;; amdgpu-corpus repo=ROCm/rocSOLVER kind=compiled arch=gfx1250 opt=O3
	.amdgcn_target "amdgcn-amd-amdhsa--gfx1250"
	.amdhsa_code_object_version 6
	.section	.text._ZN9rocsolver6v33100L18trti2_kernel_smallILi1EfPfEEv13rocblas_fill_17rocblas_diagonal_T1_iil,"axG",@progbits,_ZN9rocsolver6v33100L18trti2_kernel_smallILi1EfPfEEv13rocblas_fill_17rocblas_diagonal_T1_iil,comdat
	.globl	_ZN9rocsolver6v33100L18trti2_kernel_smallILi1EfPfEEv13rocblas_fill_17rocblas_diagonal_T1_iil ; -- Begin function _ZN9rocsolver6v33100L18trti2_kernel_smallILi1EfPfEEv13rocblas_fill_17rocblas_diagonal_T1_iil
	.p2align	8
	.type	_ZN9rocsolver6v33100L18trti2_kernel_smallILi1EfPfEEv13rocblas_fill_17rocblas_diagonal_T1_iil,@function
_ZN9rocsolver6v33100L18trti2_kernel_smallILi1EfPfEEv13rocblas_fill_17rocblas_diagonal_T1_iil: ; @_ZN9rocsolver6v33100L18trti2_kernel_smallILi1EfPfEEv13rocblas_fill_17rocblas_diagonal_T1_iil
; %bb.0:
	s_mov_b32 s2, exec_lo
	v_cmpx_eq_u32_e32 0, v0
	s_cbranch_execz .LBB0_2
; %bb.1:
	s_clause 0x1
	s_load_b96 s[4:6], s[0:1], 0x8
	s_load_b64 s[2:3], s[0:1], 0x18
	s_bfe_u32 s7, ttmp6, 0x4000c
	s_and_b32 s8, ttmp6, 15
	s_add_co_i32 s7, s7, 1
	s_getreg_b32 s10, hwreg(HW_REG_IB_STS2, 6, 4)
	s_mul_i32 s7, ttmp9, s7
	s_wait_xcnt 0x0
	s_load_b32 s0, s[0:1], 0x4
	s_add_co_i32 s8, s8, s7
	s_wait_kmcnt 0x0
	s_ashr_i32 s9, s6, 31
	s_cmp_eq_u32 s10, 0
	s_cselect_b32 s10, ttmp9, s8
	s_mov_b32 s8, s6
	s_ashr_i32 s11, s10, 31
	s_lshl_b64 s[8:9], s[8:9], 2
	s_mul_u64 s[2:3], s[2:3], s[10:11]
	s_delay_alu instid0(SALU_CYCLE_1)
	s_lshl_b64 s[2:3], s[2:3], 2
	s_cmp_eq_u32 s0, 0x84
	s_add_nc_u64 s[2:3], s[4:5], s[2:3]
	s_cselect_b32 s0, -1, 0
	s_add_nc_u64 s[4:5], s[2:3], s[8:9]
	s_load_b32 s4, s[4:5], 0x0
	s_wait_kmcnt 0x0
	v_div_scale_f32 v0, null, s4, s4, 1.0
	v_div_scale_f32 v3, vcc_lo, 1.0, s4, 1.0
	s_delay_alu instid0(VALU_DEP_2)
	v_rcp_f32_e32 v1, v0
	v_nop
	v_xor_b32_e32 v0, 0x80000000, v0
	s_delay_alu instid0(TRANS32_DEP_1) | instid1(VALU_DEP_1)
	v_fma_f32 v2, v0, v1, 1.0
	s_delay_alu instid0(VALU_DEP_1) | instskip(NEXT) | instid1(VALU_DEP_1)
	v_fmac_f32_e32 v1, v2, v1
	v_mul_f32_e32 v2, v3, v1
	s_delay_alu instid0(VALU_DEP_1) | instskip(NEXT) | instid1(VALU_DEP_1)
	v_fma_f32 v4, v0, v2, v3
	v_fmac_f32_e32 v2, v4, v1
	s_delay_alu instid0(VALU_DEP_1) | instskip(NEXT) | instid1(VALU_DEP_1)
	v_fmac_f32_e32 v3, v0, v2
	v_div_fmas_f32 v0, v3, v1, v2
	v_mov_b32_e32 v1, s6
	s_delay_alu instid0(VALU_DEP_2) | instskip(NEXT) | instid1(VALU_DEP_1)
	v_div_fixup_f32 v0, v0, s4, 1.0
	v_cndmask_b32_e64 v0, v0, s4, s0
	global_store_b32 v1, v0, s[2:3] scale_offset
.LBB0_2:
	s_endpgm
	.section	.rodata,"a",@progbits
	.p2align	6, 0x0
	.amdhsa_kernel _ZN9rocsolver6v33100L18trti2_kernel_smallILi1EfPfEEv13rocblas_fill_17rocblas_diagonal_T1_iil
		.amdhsa_group_segment_fixed_size 0
		.amdhsa_private_segment_fixed_size 0
		.amdhsa_kernarg_size 32
		.amdhsa_user_sgpr_count 2
		.amdhsa_user_sgpr_dispatch_ptr 0
		.amdhsa_user_sgpr_queue_ptr 0
		.amdhsa_user_sgpr_kernarg_segment_ptr 1
		.amdhsa_user_sgpr_dispatch_id 0
		.amdhsa_user_sgpr_kernarg_preload_length 0
		.amdhsa_user_sgpr_kernarg_preload_offset 0
		.amdhsa_user_sgpr_private_segment_size 0
		.amdhsa_wavefront_size32 1
		.amdhsa_uses_dynamic_stack 0
		.amdhsa_enable_private_segment 0
		.amdhsa_system_sgpr_workgroup_id_x 1
		.amdhsa_system_sgpr_workgroup_id_y 0
		.amdhsa_system_sgpr_workgroup_id_z 0
		.amdhsa_system_sgpr_workgroup_info 0
		.amdhsa_system_vgpr_workitem_id 0
		.amdhsa_next_free_vgpr 5
		.amdhsa_next_free_sgpr 12
		.amdhsa_named_barrier_count 0
		.amdhsa_reserve_vcc 1
		.amdhsa_float_round_mode_32 0
		.amdhsa_float_round_mode_16_64 0
		.amdhsa_float_denorm_mode_32 3
		.amdhsa_float_denorm_mode_16_64 3
		.amdhsa_fp16_overflow 0
		.amdhsa_memory_ordered 1
		.amdhsa_forward_progress 1
		.amdhsa_inst_pref_size 3
		.amdhsa_round_robin_scheduling 0
		.amdhsa_exception_fp_ieee_invalid_op 0
		.amdhsa_exception_fp_denorm_src 0
		.amdhsa_exception_fp_ieee_div_zero 0
		.amdhsa_exception_fp_ieee_overflow 0
		.amdhsa_exception_fp_ieee_underflow 0
		.amdhsa_exception_fp_ieee_inexact 0
		.amdhsa_exception_int_div_zero 0
	.end_amdhsa_kernel
	.section	.text._ZN9rocsolver6v33100L18trti2_kernel_smallILi1EfPfEEv13rocblas_fill_17rocblas_diagonal_T1_iil,"axG",@progbits,_ZN9rocsolver6v33100L18trti2_kernel_smallILi1EfPfEEv13rocblas_fill_17rocblas_diagonal_T1_iil,comdat
.Lfunc_end0:
	.size	_ZN9rocsolver6v33100L18trti2_kernel_smallILi1EfPfEEv13rocblas_fill_17rocblas_diagonal_T1_iil, .Lfunc_end0-_ZN9rocsolver6v33100L18trti2_kernel_smallILi1EfPfEEv13rocblas_fill_17rocblas_diagonal_T1_iil
                                        ; -- End function
	.set _ZN9rocsolver6v33100L18trti2_kernel_smallILi1EfPfEEv13rocblas_fill_17rocblas_diagonal_T1_iil.num_vgpr, 5
	.set _ZN9rocsolver6v33100L18trti2_kernel_smallILi1EfPfEEv13rocblas_fill_17rocblas_diagonal_T1_iil.num_agpr, 0
	.set _ZN9rocsolver6v33100L18trti2_kernel_smallILi1EfPfEEv13rocblas_fill_17rocblas_diagonal_T1_iil.numbered_sgpr, 12
	.set _ZN9rocsolver6v33100L18trti2_kernel_smallILi1EfPfEEv13rocblas_fill_17rocblas_diagonal_T1_iil.num_named_barrier, 0
	.set _ZN9rocsolver6v33100L18trti2_kernel_smallILi1EfPfEEv13rocblas_fill_17rocblas_diagonal_T1_iil.private_seg_size, 0
	.set _ZN9rocsolver6v33100L18trti2_kernel_smallILi1EfPfEEv13rocblas_fill_17rocblas_diagonal_T1_iil.uses_vcc, 1
	.set _ZN9rocsolver6v33100L18trti2_kernel_smallILi1EfPfEEv13rocblas_fill_17rocblas_diagonal_T1_iil.uses_flat_scratch, 0
	.set _ZN9rocsolver6v33100L18trti2_kernel_smallILi1EfPfEEv13rocblas_fill_17rocblas_diagonal_T1_iil.has_dyn_sized_stack, 0
	.set _ZN9rocsolver6v33100L18trti2_kernel_smallILi1EfPfEEv13rocblas_fill_17rocblas_diagonal_T1_iil.has_recursion, 0
	.set _ZN9rocsolver6v33100L18trti2_kernel_smallILi1EfPfEEv13rocblas_fill_17rocblas_diagonal_T1_iil.has_indirect_call, 0
	.section	.AMDGPU.csdata,"",@progbits
; Kernel info:
; codeLenInByte = 276
; TotalNumSgprs: 14
; NumVgprs: 5
; ScratchSize: 0
; MemoryBound: 0
; FloatMode: 240
; IeeeMode: 1
; LDSByteSize: 0 bytes/workgroup (compile time only)
; SGPRBlocks: 0
; VGPRBlocks: 0
; NumSGPRsForWavesPerEU: 14
; NumVGPRsForWavesPerEU: 5
; NamedBarCnt: 0
; Occupancy: 16
; WaveLimiterHint : 0
; COMPUTE_PGM_RSRC2:SCRATCH_EN: 0
; COMPUTE_PGM_RSRC2:USER_SGPR: 2
; COMPUTE_PGM_RSRC2:TRAP_HANDLER: 0
; COMPUTE_PGM_RSRC2:TGID_X_EN: 1
; COMPUTE_PGM_RSRC2:TGID_Y_EN: 0
; COMPUTE_PGM_RSRC2:TGID_Z_EN: 0
; COMPUTE_PGM_RSRC2:TIDIG_COMP_CNT: 0
	.section	.text._ZN9rocsolver6v33100L18trti2_kernel_smallILi2EfPfEEv13rocblas_fill_17rocblas_diagonal_T1_iil,"axG",@progbits,_ZN9rocsolver6v33100L18trti2_kernel_smallILi2EfPfEEv13rocblas_fill_17rocblas_diagonal_T1_iil,comdat
	.globl	_ZN9rocsolver6v33100L18trti2_kernel_smallILi2EfPfEEv13rocblas_fill_17rocblas_diagonal_T1_iil ; -- Begin function _ZN9rocsolver6v33100L18trti2_kernel_smallILi2EfPfEEv13rocblas_fill_17rocblas_diagonal_T1_iil
	.p2align	8
	.type	_ZN9rocsolver6v33100L18trti2_kernel_smallILi2EfPfEEv13rocblas_fill_17rocblas_diagonal_T1_iil,@function
_ZN9rocsolver6v33100L18trti2_kernel_smallILi2EfPfEEv13rocblas_fill_17rocblas_diagonal_T1_iil: ; @_ZN9rocsolver6v33100L18trti2_kernel_smallILi2EfPfEEv13rocblas_fill_17rocblas_diagonal_T1_iil
; %bb.0:
	s_mov_b32 s2, exec_lo
	v_cmpx_gt_u32_e32 2, v0
	s_cbranch_execz .LBB1_20
; %bb.1:
	s_load_b256 s[4:11], s[0:1], 0x0
	s_wait_xcnt 0x0
	s_bfe_u32 s0, ttmp6, 0x4000c
	s_and_b32 s1, ttmp6, 15
	s_add_co_i32 s0, s0, 1
	s_getreg_b32 s2, hwreg(HW_REG_IB_STS2, 6, 4)
	s_mul_i32 s0, ttmp9, s0
	v_dual_mov_b32 v9, 0 :: v_dual_lshlrev_b32 v8, 2, v0
	s_add_co_i32 s0, s1, s0
	s_wait_kmcnt 0x0
	s_ashr_i32 s1, s8, 31
	s_cmp_eq_u32 s2, 0
	s_cselect_b32 s2, ttmp9, s0
	s_mov_b32 s0, s8
	s_ashr_i32 s3, s2, 31
	s_lshl_b64 s[0:1], s[0:1], 2
	s_mul_u64 s[2:3], s[10:11], s[2:3]
	s_delay_alu instid0(SALU_CYCLE_1) | instskip(NEXT) | instid1(SALU_CYCLE_1)
	s_lshl_b64 s[2:3], s[2:3], 2
	s_add_nc_u64 s[2:3], s[6:7], s[2:3]
	s_delay_alu instid0(SALU_CYCLE_1)
	s_add_nc_u64 s[0:1], s[2:3], s[0:1]
	s_ashr_i32 s3, s9, 31
	v_add_nc_u64_e32 v[2:3], s[0:1], v[8:9]
	s_mov_b32 s2, s9
	v_mov_b32_e32 v9, -1.0
	s_cmp_lg_u32 s5, 0x84
	s_delay_alu instid0(VALU_DEP_2)
	v_lshl_add_u64 v[4:5], s[2:3], 2, v[2:3]
	s_cselect_b32 s2, -1, 0
	s_cmp_eq_u32 s5, 0x84
	s_clause 0x1
	global_load_b32 v6, v0, s[0:1] scale_offset
	global_load_b32 v7, v[4:5], off
	s_wait_xcnt 0x1
	v_cmp_eq_u32_e64 s0, 0, v0
	s_cbranch_scc1 .LBB1_3
; %bb.2:
	v_cmp_eq_u32_e64 s1, 1, v0
	s_wait_loadcnt 0x0
	s_delay_alu instid0(VALU_DEP_1) | instskip(NEXT) | instid1(VALU_DEP_1)
	v_cndmask_b32_e64 v1, v6, v7, s1
	v_div_scale_f32 v9, null, v1, v1, 1.0
	s_delay_alu instid0(VALU_DEP_1) | instskip(SKIP_1) | instid1(TRANS32_DEP_1)
	v_rcp_f32_e32 v10, v9
	v_nop
	v_fma_f32 v11, -v9, v10, 1.0
	s_delay_alu instid0(VALU_DEP_1) | instskip(SKIP_1) | instid1(VALU_DEP_1)
	v_fmac_f32_e32 v10, v11, v10
	v_div_scale_f32 v12, vcc_lo, 1.0, v1, 1.0
	v_mul_f32_e32 v11, v12, v10
	s_delay_alu instid0(VALU_DEP_1) | instskip(NEXT) | instid1(VALU_DEP_1)
	v_fma_f32 v13, -v9, v11, v12
	v_fmac_f32_e32 v11, v13, v10
	s_delay_alu instid0(VALU_DEP_1) | instskip(NEXT) | instid1(VALU_DEP_1)
	v_fma_f32 v9, -v9, v11, v12
	v_div_fmas_f32 v9, v9, v10, v11
	s_delay_alu instid0(VALU_DEP_1) | instskip(NEXT) | instid1(VALU_DEP_1)
	v_div_fixup_f32 v1, v9, v1, 1.0
	v_dual_cndmask_b32 v7, v7, v1, s1 :: v_dual_cndmask_b32 v6, v6, v1, s0
	v_xor_b32_e32 v9, 0x80000000, v1
.LBB1_3:
	v_add_nc_u32_e32 v1, 8, v8
	s_cmp_eq_u32 s4, 0x79
	ds_store_b32 v8, v9
	s_cbranch_scc1 .LBB1_7
; %bb.4:
	s_wait_loadcnt 0x0
	v_mov_b64_e32 v[8:9], v[6:7]
	s_mov_b32 s0, exec_lo
	ds_store_b32 v1, v6
	s_wait_dscnt 0x0
	s_barrier_signal -1
	s_barrier_wait -1
	v_cmpx_eq_u32_e32 1, v0
	s_cbranch_execz .LBB1_11
; %bb.5:
	s_and_b32 vcc_lo, exec_lo, s2
	s_cbranch_vccz .LBB1_8
; %bb.6:
	ds_load_b32 v8, v1
	v_cmp_eq_u32_e32 vcc_lo, 1, v0
	v_cndmask_b32_e32 v9, v6, v7, vcc_lo
	s_wait_dscnt 0x0
	s_delay_alu instid0(VALU_DEP_1)
	v_mul_f32_e32 v8, v9, v8
	s_cbranch_execz .LBB1_9
	s_branch .LBB1_10
.LBB1_7:
                                        ; implicit-def: $vgpr8_vgpr9
	s_branch .LBB1_12
.LBB1_8:
                                        ; implicit-def: $vgpr8
.LBB1_9:
	ds_load_b32 v8, v1
.LBB1_10:
	v_mov_b32_e32 v9, 0
	ds_load_b32 v9, v9
	s_wait_dscnt 0x0
	v_dual_mul_f32 v8, v8, v9 :: v_dual_mov_b32 v9, v7
.LBB1_11:
	s_or_b32 exec_lo, exec_lo, s0
	s_cbranch_execnz .LBB1_19
.LBB1_12:
	s_mov_b32 s0, exec_lo
	s_wait_loadcnt 0x0
	ds_store_b32 v1, v7
	s_wait_dscnt 0x0
	s_barrier_signal -1
	s_barrier_wait -1
	v_cmpx_eq_u32_e32 0, v0
	s_cbranch_execz .LBB1_18
; %bb.13:
	s_and_b32 vcc_lo, exec_lo, s2
	s_cbranch_vccz .LBB1_15
; %bb.14:
	ds_load_b32 v8, v1
	v_cmp_eq_u32_e32 vcc_lo, 1, v0
	v_cndmask_b32_e32 v0, v6, v7, vcc_lo
	s_wait_dscnt 0x0
	s_delay_alu instid0(VALU_DEP_1)
	v_mul_f32_e32 v0, v0, v8
	s_cbranch_execz .LBB1_16
	s_branch .LBB1_17
.LBB1_15:
                                        ; implicit-def: $vgpr0
.LBB1_16:
	ds_load_b32 v0, v1
.LBB1_17:
	v_mov_b32_e32 v1, 0
	ds_load_b32 v1, v1 offset:4
	s_wait_dscnt 0x0
	v_mul_f32_e32 v7, v0, v1
.LBB1_18:
	s_or_b32 exec_lo, exec_lo, s0
	s_delay_alu instid0(VALU_DEP_1)
	v_mov_b64_e32 v[8:9], v[6:7]
.LBB1_19:
	s_clause 0x1
	global_store_b32 v[2:3], v8, off
	global_store_b32 v[4:5], v9, off
.LBB1_20:
	s_endpgm
	.section	.rodata,"a",@progbits
	.p2align	6, 0x0
	.amdhsa_kernel _ZN9rocsolver6v33100L18trti2_kernel_smallILi2EfPfEEv13rocblas_fill_17rocblas_diagonal_T1_iil
		.amdhsa_group_segment_fixed_size 16
		.amdhsa_private_segment_fixed_size 0
		.amdhsa_kernarg_size 32
		.amdhsa_user_sgpr_count 2
		.amdhsa_user_sgpr_dispatch_ptr 0
		.amdhsa_user_sgpr_queue_ptr 0
		.amdhsa_user_sgpr_kernarg_segment_ptr 1
		.amdhsa_user_sgpr_dispatch_id 0
		.amdhsa_user_sgpr_kernarg_preload_length 0
		.amdhsa_user_sgpr_kernarg_preload_offset 0
		.amdhsa_user_sgpr_private_segment_size 0
		.amdhsa_wavefront_size32 1
		.amdhsa_uses_dynamic_stack 0
		.amdhsa_enable_private_segment 0
		.amdhsa_system_sgpr_workgroup_id_x 1
		.amdhsa_system_sgpr_workgroup_id_y 0
		.amdhsa_system_sgpr_workgroup_id_z 0
		.amdhsa_system_sgpr_workgroup_info 0
		.amdhsa_system_vgpr_workitem_id 0
		.amdhsa_next_free_vgpr 14
		.amdhsa_next_free_sgpr 12
		.amdhsa_named_barrier_count 0
		.amdhsa_reserve_vcc 1
		.amdhsa_float_round_mode_32 0
		.amdhsa_float_round_mode_16_64 0
		.amdhsa_float_denorm_mode_32 3
		.amdhsa_float_denorm_mode_16_64 3
		.amdhsa_fp16_overflow 0
		.amdhsa_memory_ordered 1
		.amdhsa_forward_progress 1
		.amdhsa_inst_pref_size 6
		.amdhsa_round_robin_scheduling 0
		.amdhsa_exception_fp_ieee_invalid_op 0
		.amdhsa_exception_fp_denorm_src 0
		.amdhsa_exception_fp_ieee_div_zero 0
		.amdhsa_exception_fp_ieee_overflow 0
		.amdhsa_exception_fp_ieee_underflow 0
		.amdhsa_exception_fp_ieee_inexact 0
		.amdhsa_exception_int_div_zero 0
	.end_amdhsa_kernel
	.section	.text._ZN9rocsolver6v33100L18trti2_kernel_smallILi2EfPfEEv13rocblas_fill_17rocblas_diagonal_T1_iil,"axG",@progbits,_ZN9rocsolver6v33100L18trti2_kernel_smallILi2EfPfEEv13rocblas_fill_17rocblas_diagonal_T1_iil,comdat
.Lfunc_end1:
	.size	_ZN9rocsolver6v33100L18trti2_kernel_smallILi2EfPfEEv13rocblas_fill_17rocblas_diagonal_T1_iil, .Lfunc_end1-_ZN9rocsolver6v33100L18trti2_kernel_smallILi2EfPfEEv13rocblas_fill_17rocblas_diagonal_T1_iil
                                        ; -- End function
	.set _ZN9rocsolver6v33100L18trti2_kernel_smallILi2EfPfEEv13rocblas_fill_17rocblas_diagonal_T1_iil.num_vgpr, 14
	.set _ZN9rocsolver6v33100L18trti2_kernel_smallILi2EfPfEEv13rocblas_fill_17rocblas_diagonal_T1_iil.num_agpr, 0
	.set _ZN9rocsolver6v33100L18trti2_kernel_smallILi2EfPfEEv13rocblas_fill_17rocblas_diagonal_T1_iil.numbered_sgpr, 12
	.set _ZN9rocsolver6v33100L18trti2_kernel_smallILi2EfPfEEv13rocblas_fill_17rocblas_diagonal_T1_iil.num_named_barrier, 0
	.set _ZN9rocsolver6v33100L18trti2_kernel_smallILi2EfPfEEv13rocblas_fill_17rocblas_diagonal_T1_iil.private_seg_size, 0
	.set _ZN9rocsolver6v33100L18trti2_kernel_smallILi2EfPfEEv13rocblas_fill_17rocblas_diagonal_T1_iil.uses_vcc, 1
	.set _ZN9rocsolver6v33100L18trti2_kernel_smallILi2EfPfEEv13rocblas_fill_17rocblas_diagonal_T1_iil.uses_flat_scratch, 0
	.set _ZN9rocsolver6v33100L18trti2_kernel_smallILi2EfPfEEv13rocblas_fill_17rocblas_diagonal_T1_iil.has_dyn_sized_stack, 0
	.set _ZN9rocsolver6v33100L18trti2_kernel_smallILi2EfPfEEv13rocblas_fill_17rocblas_diagonal_T1_iil.has_recursion, 0
	.set _ZN9rocsolver6v33100L18trti2_kernel_smallILi2EfPfEEv13rocblas_fill_17rocblas_diagonal_T1_iil.has_indirect_call, 0
	.section	.AMDGPU.csdata,"",@progbits
; Kernel info:
; codeLenInByte = 648
; TotalNumSgprs: 14
; NumVgprs: 14
; ScratchSize: 0
; MemoryBound: 0
; FloatMode: 240
; IeeeMode: 1
; LDSByteSize: 16 bytes/workgroup (compile time only)
; SGPRBlocks: 0
; VGPRBlocks: 0
; NumSGPRsForWavesPerEU: 14
; NumVGPRsForWavesPerEU: 14
; NamedBarCnt: 0
; Occupancy: 16
; WaveLimiterHint : 0
; COMPUTE_PGM_RSRC2:SCRATCH_EN: 0
; COMPUTE_PGM_RSRC2:USER_SGPR: 2
; COMPUTE_PGM_RSRC2:TRAP_HANDLER: 0
; COMPUTE_PGM_RSRC2:TGID_X_EN: 1
; COMPUTE_PGM_RSRC2:TGID_Y_EN: 0
; COMPUTE_PGM_RSRC2:TGID_Z_EN: 0
; COMPUTE_PGM_RSRC2:TIDIG_COMP_CNT: 0
	.section	.text._ZN9rocsolver6v33100L18trti2_kernel_smallILi3EfPfEEv13rocblas_fill_17rocblas_diagonal_T1_iil,"axG",@progbits,_ZN9rocsolver6v33100L18trti2_kernel_smallILi3EfPfEEv13rocblas_fill_17rocblas_diagonal_T1_iil,comdat
	.globl	_ZN9rocsolver6v33100L18trti2_kernel_smallILi3EfPfEEv13rocblas_fill_17rocblas_diagonal_T1_iil ; -- Begin function _ZN9rocsolver6v33100L18trti2_kernel_smallILi3EfPfEEv13rocblas_fill_17rocblas_diagonal_T1_iil
	.p2align	8
	.type	_ZN9rocsolver6v33100L18trti2_kernel_smallILi3EfPfEEv13rocblas_fill_17rocblas_diagonal_T1_iil,@function
_ZN9rocsolver6v33100L18trti2_kernel_smallILi3EfPfEEv13rocblas_fill_17rocblas_diagonal_T1_iil: ; @_ZN9rocsolver6v33100L18trti2_kernel_smallILi3EfPfEEv13rocblas_fill_17rocblas_diagonal_T1_iil
; %bb.0:
	s_mov_b32 s2, exec_lo
	v_cmpx_gt_u32_e32 3, v0
	s_cbranch_execz .LBB2_32
; %bb.1:
	s_load_b256 s[4:11], s[0:1], 0x0
	s_wait_xcnt 0x0
	s_bfe_u32 s0, ttmp6, 0x4000c
	s_and_b32 s1, ttmp6, 15
	s_add_co_i32 s0, s0, 1
	s_getreg_b32 s2, hwreg(HW_REG_IB_STS2, 6, 4)
	s_mul_i32 s0, ttmp9, s0
	v_dual_mov_b32 v7, 0 :: v_dual_lshlrev_b32 v6, 2, v0
	s_add_co_i32 s0, s1, s0
	v_mov_b32_e32 v5, -1.0
	s_wait_kmcnt 0x0
	s_ashr_i32 s1, s8, 31
	s_cmp_eq_u32 s2, 0
	v_add3_u32 v14, s9, s9, v0
	s_cselect_b32 s2, ttmp9, s0
	s_mov_b32 s0, s8
	s_ashr_i32 s3, s2, 31
	s_lshl_b64 s[0:1], s[0:1], 2
	s_mul_u64 s[2:3], s[10:11], s[2:3]
	s_delay_alu instid0(SALU_CYCLE_1) | instskip(NEXT) | instid1(SALU_CYCLE_1)
	s_lshl_b64 s[2:3], s[2:3], 2
	s_add_nc_u64 s[2:3], s[6:7], s[2:3]
	s_delay_alu instid0(SALU_CYCLE_1)
	s_add_nc_u64 s[6:7], s[2:3], s[0:1]
	s_ashr_i32 s1, s9, 31
	v_add_nc_u64_e32 v[10:11], s[6:7], v[6:7]
	s_mov_b32 s0, s9
	s_cmp_lg_u32 s5, 0x84
	s_cselect_b32 s3, -1, 0
	s_cmp_eq_u32 s5, 0x84
	s_delay_alu instid0(VALU_DEP_1)
	v_lshl_add_u64 v[12:13], s[0:1], 2, v[10:11]
	v_cmp_eq_u32_e64 s0, 0, v0
	s_clause 0x2
	global_load_b32 v2, v0, s[6:7] scale_offset
	global_load_b32 v4, v14, s[6:7] scale_offset
	global_load_b32 v3, v[12:13], off
	s_cbranch_scc1 .LBB2_3
; %bb.2:
	v_cmp_eq_u32_e64 s1, 1, v0
	v_cmp_eq_u32_e64 s2, 2, v0
	s_wait_loadcnt 0x0
	s_delay_alu instid0(VALU_DEP_2) | instskip(NEXT) | instid1(VALU_DEP_1)
	v_cndmask_b32_e64 v1, v2, v3, s1
	v_cndmask_b32_e64 v1, v1, v4, s2
	s_delay_alu instid0(VALU_DEP_1) | instskip(NEXT) | instid1(VALU_DEP_1)
	v_div_scale_f32 v5, null, v1, v1, 1.0
	v_rcp_f32_e32 v7, v5
	v_nop
	s_delay_alu instid0(TRANS32_DEP_1) | instskip(NEXT) | instid1(VALU_DEP_1)
	v_fma_f32 v8, -v5, v7, 1.0
	v_fmac_f32_e32 v7, v8, v7
	v_div_scale_f32 v9, vcc_lo, 1.0, v1, 1.0
	s_delay_alu instid0(VALU_DEP_1) | instskip(NEXT) | instid1(VALU_DEP_1)
	v_mul_f32_e32 v8, v9, v7
	v_fma_f32 v15, -v5, v8, v9
	s_delay_alu instid0(VALU_DEP_1) | instskip(NEXT) | instid1(VALU_DEP_1)
	v_fmac_f32_e32 v8, v15, v7
	v_fma_f32 v5, -v5, v8, v9
	s_delay_alu instid0(VALU_DEP_1) | instskip(NEXT) | instid1(VALU_DEP_1)
	v_div_fmas_f32 v5, v5, v7, v8
	v_div_fixup_f32 v1, v5, v1, 1.0
	s_delay_alu instid0(VALU_DEP_1)
	v_dual_cndmask_b32 v4, v4, v1, s2 :: v_dual_cndmask_b32 v3, v3, v1, s1
	v_cndmask_b32_e64 v2, v2, v1, s0
	v_xor_b32_e32 v5, 0x80000000, v1
.LBB2_3:
	v_ashrrev_i32_e32 v15, 31, v14
	v_add_nc_u32_e32 v1, 16, v6
	s_cmp_eq_u32 s4, 0x79
	s_wait_loadcnt 0x0
	ds_store_2addr_b32 v6, v5, v3 offset1:4
	s_wait_dscnt 0x0
	s_cbranch_scc1 .LBB2_7
; %bb.4:
	v_dual_mov_b32 v8, v4 :: v_dual_mov_b32 v7, v3
	v_cmp_eq_u32_e64 s0, 2, v0
	v_mov_b32_e32 v6, v2
	s_barrier_signal -1
	s_barrier_wait -1
	s_and_saveexec_b32 s1, s0
	s_cbranch_execz .LBB2_11
; %bb.5:
	s_and_b32 vcc_lo, exec_lo, s3
	s_cbranch_vccz .LBB2_8
; %bb.6:
	ds_load_b32 v5, v1
	v_cmp_eq_u32_e32 vcc_lo, 1, v0
	v_cndmask_b32_e32 v6, v2, v3, vcc_lo
	v_cmp_eq_u32_e32 vcc_lo, 2, v0
	s_delay_alu instid0(VALU_DEP_2) | instskip(SKIP_1) | instid1(VALU_DEP_1)
	v_cndmask_b32_e32 v6, v6, v4, vcc_lo
	s_wait_dscnt 0x0
	v_mul_f32_e32 v5, v6, v5
	s_cbranch_execz .LBB2_9
	s_branch .LBB2_10
.LBB2_7:
                                        ; implicit-def: $vgpr6_vgpr7_vgpr8
	s_cbranch_execnz .LBB2_18
	s_branch .LBB2_31
.LBB2_8:
                                        ; implicit-def: $vgpr5
.LBB2_9:
	ds_load_b32 v5, v1
.LBB2_10:
	v_mov_b32_e32 v6, 0
	ds_load_b32 v6, v6 offset:4
	s_wait_dscnt 0x0
	v_dual_mul_f32 v5, v5, v6 :: v_dual_mov_b32 v8, v4
	v_dual_mov_b32 v7, v3 :: v_dual_mov_b32 v6, v2
	s_delay_alu instid0(VALU_DEP_2)
	v_mov_b32_e32 v7, v5
.LBB2_11:
	s_or_b32 exec_lo, exec_lo, s1
	s_mov_b32 s1, 0
	s_mov_b32 s2, exec_lo
	ds_store_b32 v1, v6
	s_wait_dscnt 0x0
	s_barrier_signal -1
	s_barrier_wait -1
	v_cmpx_ne_u32_e32 0, v0
	s_cbranch_execz .LBB2_17
; %bb.12:
	s_and_not1_b32 vcc_lo, exec_lo, s3
	s_cbranch_vccnz .LBB2_14
; %bb.13:
	ds_load_b32 v5, v1
	v_cmp_eq_u32_e32 vcc_lo, 1, v0
	v_cndmask_b32_e32 v6, v6, v7, vcc_lo
	v_cmp_eq_u32_e32 vcc_lo, 2, v0
	s_delay_alu instid0(VALU_DEP_2) | instskip(SKIP_1) | instid1(VALU_DEP_1)
	v_cndmask_b32_e32 v6, v6, v8, vcc_lo
	s_wait_dscnt 0x0
	v_mul_f32_e32 v5, v6, v5
	s_cbranch_execz .LBB2_15
	s_branch .LBB2_16
.LBB2_14:
                                        ; implicit-def: $vgpr5
.LBB2_15:
	ds_load_b32 v5, v1
.LBB2_16:
	v_mov_b32_e32 v6, 0
	ds_load_2addr_b32 v[16:17], v6 offset1:5
	s_wait_dscnt 0x0
	v_fma_f32 v6, v7, v17, v5
	s_delay_alu instid0(VALU_DEP_1) | instskip(NEXT) | instid1(VALU_DEP_1)
	v_cndmask_b32_e64 v5, v5, v6, s0
	v_mul_f32_e32 v6, v5, v16
.LBB2_17:
	s_or_b32 exec_lo, exec_lo, s2
	s_delay_alu instid0(SALU_CYCLE_1)
	s_and_b32 vcc_lo, exec_lo, s1
	s_cbranch_vccz .LBB2_31
.LBB2_18:
	v_cmp_eq_u32_e64 s0, 0, v0
	s_barrier_signal -1
	s_barrier_wait -1
	s_and_saveexec_b32 s1, s0
	s_cbranch_execz .LBB2_24
; %bb.19:
	s_and_b32 vcc_lo, exec_lo, s3
	s_cbranch_vccz .LBB2_21
; %bb.20:
	ds_load_b32 v5, v1
	v_cmp_eq_u32_e32 vcc_lo, 1, v0
	v_cndmask_b32_e32 v3, v2, v3, vcc_lo
	v_cmp_eq_u32_e32 vcc_lo, 2, v0
	s_delay_alu instid0(VALU_DEP_2) | instskip(SKIP_1) | instid1(VALU_DEP_1)
	v_cndmask_b32_e32 v3, v3, v4, vcc_lo
	s_wait_dscnt 0x0
	v_mul_f32_e32 v3, v3, v5
	s_cbranch_execz .LBB2_22
	s_branch .LBB2_23
.LBB2_21:
                                        ; implicit-def: $vgpr3
.LBB2_22:
	ds_load_b32 v3, v1
.LBB2_23:
	v_mov_b32_e32 v5, 0
	ds_load_b32 v5, v5 offset:4
	s_wait_dscnt 0x0
	v_mul_f32_e32 v3, v3, v5
.LBB2_24:
	s_or_b32 exec_lo, exec_lo, s1
	s_delay_alu instid0(SALU_CYCLE_1)
	s_mov_b32 s1, exec_lo
	ds_store_b32 v1, v4
	s_wait_dscnt 0x0
	s_barrier_signal -1
	s_barrier_wait -1
	v_cmpx_ne_u32_e32 2, v0
	s_cbranch_execz .LBB2_30
; %bb.25:
	s_and_not1_b32 vcc_lo, exec_lo, s3
	s_cbranch_vccnz .LBB2_27
; %bb.26:
	ds_load_b32 v5, v1
	v_cmp_eq_u32_e32 vcc_lo, 1, v0
	v_cndmask_b32_e32 v6, v2, v3, vcc_lo
	v_cmp_eq_u32_e32 vcc_lo, 2, v0
	s_delay_alu instid0(VALU_DEP_2) | instskip(SKIP_1) | instid1(VALU_DEP_1)
	v_cndmask_b32_e32 v0, v6, v4, vcc_lo
	s_wait_dscnt 0x0
	v_mul_f32_e32 v0, v0, v5
	s_cbranch_execz .LBB2_28
	s_branch .LBB2_29
.LBB2_27:
                                        ; implicit-def: $vgpr0
.LBB2_28:
	ds_load_b32 v0, v1
.LBB2_29:
	v_mov_b32_e32 v1, 0
	ds_load_2addr_b32 v[4:5], v1 offset0:2 offset1:5
	s_wait_dscnt 0x0
	v_fma_f32 v1, v3, v5, v0
	s_delay_alu instid0(VALU_DEP_1) | instskip(NEXT) | instid1(VALU_DEP_1)
	v_cndmask_b32_e64 v0, v0, v1, s0
	v_mul_f32_e32 v4, v0, v4
.LBB2_30:
	s_or_b32 exec_lo, exec_lo, s1
	s_delay_alu instid0(VALU_DEP_1)
	v_dual_mov_b32 v8, v4 :: v_dual_mov_b32 v7, v3
	v_mov_b32_e32 v6, v2
.LBB2_31:
	v_lshl_add_u64 v[0:1], v[14:15], 2, s[6:7]
	s_clause 0x2
	global_store_b32 v[10:11], v6, off
	global_store_b32 v[12:13], v7, off
	global_store_b32 v[0:1], v8, off
.LBB2_32:
	s_endpgm
	.section	.rodata,"a",@progbits
	.p2align	6, 0x0
	.amdhsa_kernel _ZN9rocsolver6v33100L18trti2_kernel_smallILi3EfPfEEv13rocblas_fill_17rocblas_diagonal_T1_iil
		.amdhsa_group_segment_fixed_size 28
		.amdhsa_private_segment_fixed_size 0
		.amdhsa_kernarg_size 32
		.amdhsa_user_sgpr_count 2
		.amdhsa_user_sgpr_dispatch_ptr 0
		.amdhsa_user_sgpr_queue_ptr 0
		.amdhsa_user_sgpr_kernarg_segment_ptr 1
		.amdhsa_user_sgpr_dispatch_id 0
		.amdhsa_user_sgpr_kernarg_preload_length 0
		.amdhsa_user_sgpr_kernarg_preload_offset 0
		.amdhsa_user_sgpr_private_segment_size 0
		.amdhsa_wavefront_size32 1
		.amdhsa_uses_dynamic_stack 0
		.amdhsa_enable_private_segment 0
		.amdhsa_system_sgpr_workgroup_id_x 1
		.amdhsa_system_sgpr_workgroup_id_y 0
		.amdhsa_system_sgpr_workgroup_id_z 0
		.amdhsa_system_sgpr_workgroup_info 0
		.amdhsa_system_vgpr_workitem_id 0
		.amdhsa_next_free_vgpr 18
		.amdhsa_next_free_sgpr 12
		.amdhsa_named_barrier_count 0
		.amdhsa_reserve_vcc 1
		.amdhsa_float_round_mode_32 0
		.amdhsa_float_round_mode_16_64 0
		.amdhsa_float_denorm_mode_32 3
		.amdhsa_float_denorm_mode_16_64 3
		.amdhsa_fp16_overflow 0
		.amdhsa_memory_ordered 1
		.amdhsa_forward_progress 1
		.amdhsa_inst_pref_size 9
		.amdhsa_round_robin_scheduling 0
		.amdhsa_exception_fp_ieee_invalid_op 0
		.amdhsa_exception_fp_denorm_src 0
		.amdhsa_exception_fp_ieee_div_zero 0
		.amdhsa_exception_fp_ieee_overflow 0
		.amdhsa_exception_fp_ieee_underflow 0
		.amdhsa_exception_fp_ieee_inexact 0
		.amdhsa_exception_int_div_zero 0
	.end_amdhsa_kernel
	.section	.text._ZN9rocsolver6v33100L18trti2_kernel_smallILi3EfPfEEv13rocblas_fill_17rocblas_diagonal_T1_iil,"axG",@progbits,_ZN9rocsolver6v33100L18trti2_kernel_smallILi3EfPfEEv13rocblas_fill_17rocblas_diagonal_T1_iil,comdat
.Lfunc_end2:
	.size	_ZN9rocsolver6v33100L18trti2_kernel_smallILi3EfPfEEv13rocblas_fill_17rocblas_diagonal_T1_iil, .Lfunc_end2-_ZN9rocsolver6v33100L18trti2_kernel_smallILi3EfPfEEv13rocblas_fill_17rocblas_diagonal_T1_iil
                                        ; -- End function
	.set _ZN9rocsolver6v33100L18trti2_kernel_smallILi3EfPfEEv13rocblas_fill_17rocblas_diagonal_T1_iil.num_vgpr, 18
	.set _ZN9rocsolver6v33100L18trti2_kernel_smallILi3EfPfEEv13rocblas_fill_17rocblas_diagonal_T1_iil.num_agpr, 0
	.set _ZN9rocsolver6v33100L18trti2_kernel_smallILi3EfPfEEv13rocblas_fill_17rocblas_diagonal_T1_iil.numbered_sgpr, 12
	.set _ZN9rocsolver6v33100L18trti2_kernel_smallILi3EfPfEEv13rocblas_fill_17rocblas_diagonal_T1_iil.num_named_barrier, 0
	.set _ZN9rocsolver6v33100L18trti2_kernel_smallILi3EfPfEEv13rocblas_fill_17rocblas_diagonal_T1_iil.private_seg_size, 0
	.set _ZN9rocsolver6v33100L18trti2_kernel_smallILi3EfPfEEv13rocblas_fill_17rocblas_diagonal_T1_iil.uses_vcc, 1
	.set _ZN9rocsolver6v33100L18trti2_kernel_smallILi3EfPfEEv13rocblas_fill_17rocblas_diagonal_T1_iil.uses_flat_scratch, 0
	.set _ZN9rocsolver6v33100L18trti2_kernel_smallILi3EfPfEEv13rocblas_fill_17rocblas_diagonal_T1_iil.has_dyn_sized_stack, 0
	.set _ZN9rocsolver6v33100L18trti2_kernel_smallILi3EfPfEEv13rocblas_fill_17rocblas_diagonal_T1_iil.has_recursion, 0
	.set _ZN9rocsolver6v33100L18trti2_kernel_smallILi3EfPfEEv13rocblas_fill_17rocblas_diagonal_T1_iil.has_indirect_call, 0
	.section	.AMDGPU.csdata,"",@progbits
; Kernel info:
; codeLenInByte = 1040
; TotalNumSgprs: 14
; NumVgprs: 18
; ScratchSize: 0
; MemoryBound: 0
; FloatMode: 240
; IeeeMode: 1
; LDSByteSize: 28 bytes/workgroup (compile time only)
; SGPRBlocks: 0
; VGPRBlocks: 1
; NumSGPRsForWavesPerEU: 14
; NumVGPRsForWavesPerEU: 18
; NamedBarCnt: 0
; Occupancy: 16
; WaveLimiterHint : 0
; COMPUTE_PGM_RSRC2:SCRATCH_EN: 0
; COMPUTE_PGM_RSRC2:USER_SGPR: 2
; COMPUTE_PGM_RSRC2:TRAP_HANDLER: 0
; COMPUTE_PGM_RSRC2:TGID_X_EN: 1
; COMPUTE_PGM_RSRC2:TGID_Y_EN: 0
; COMPUTE_PGM_RSRC2:TGID_Z_EN: 0
; COMPUTE_PGM_RSRC2:TIDIG_COMP_CNT: 0
	.section	.text._ZN9rocsolver6v33100L18trti2_kernel_smallILi4EfPfEEv13rocblas_fill_17rocblas_diagonal_T1_iil,"axG",@progbits,_ZN9rocsolver6v33100L18trti2_kernel_smallILi4EfPfEEv13rocblas_fill_17rocblas_diagonal_T1_iil,comdat
	.globl	_ZN9rocsolver6v33100L18trti2_kernel_smallILi4EfPfEEv13rocblas_fill_17rocblas_diagonal_T1_iil ; -- Begin function _ZN9rocsolver6v33100L18trti2_kernel_smallILi4EfPfEEv13rocblas_fill_17rocblas_diagonal_T1_iil
	.p2align	8
	.type	_ZN9rocsolver6v33100L18trti2_kernel_smallILi4EfPfEEv13rocblas_fill_17rocblas_diagonal_T1_iil,@function
_ZN9rocsolver6v33100L18trti2_kernel_smallILi4EfPfEEv13rocblas_fill_17rocblas_diagonal_T1_iil: ; @_ZN9rocsolver6v33100L18trti2_kernel_smallILi4EfPfEEv13rocblas_fill_17rocblas_diagonal_T1_iil
; %bb.0:
	s_mov_b32 s2, exec_lo
	v_cmpx_gt_u32_e32 4, v0
	s_cbranch_execz .LBB3_56
; %bb.1:
	s_load_b256 s[4:11], s[0:1], 0x0
	s_wait_xcnt 0x0
	s_bfe_u32 s0, ttmp6, 0x4000c
	s_and_b32 s1, ttmp6, 15
	s_add_co_i32 s0, s0, 1
	s_getreg_b32 s2, hwreg(HW_REG_IB_STS2, 6, 4)
	s_mul_i32 s0, ttmp9, s0
	v_dual_mov_b32 v7, 0 :: v_dual_lshlrev_b32 v6, 2, v0
	s_add_co_i32 s0, s1, s0
	s_wait_kmcnt 0x0
	s_ashr_i32 s1, s8, 31
	s_cmp_eq_u32 s2, 0
	v_add3_u32 v14, s9, s9, v0
	s_cselect_b32 s2, ttmp9, s0
	s_mov_b32 s0, s8
	s_ashr_i32 s3, s2, 31
	s_lshl_b64 s[0:1], s[0:1], 2
	s_mul_u64 s[2:3], s[10:11], s[2:3]
	v_add_nc_u32_e32 v16, s9, v14
	s_lshl_b64 s[2:3], s[2:3], 2
	s_delay_alu instid0(SALU_CYCLE_1) | instskip(NEXT) | instid1(SALU_CYCLE_1)
	s_add_nc_u64 s[2:3], s[6:7], s[2:3]
	s_add_nc_u64 s[6:7], s[2:3], s[0:1]
	s_ashr_i32 s1, s9, 31
	v_add_nc_u64_e32 v[10:11], s[6:7], v[6:7]
	s_mov_b32 s0, s9
	v_mov_b32_e32 v7, -1.0
	s_cmp_lg_u32 s5, 0x84
	s_cselect_b32 s8, -1, 0
	s_cmp_eq_u32 s5, 0x84
	s_delay_alu instid0(VALU_DEP_2)
	v_lshl_add_u64 v[12:13], s[0:1], 2, v[10:11]
	v_cmp_eq_u32_e64 s0, 0, v0
	s_clause 0x3
	global_load_b32 v2, v0, s[6:7] scale_offset
	global_load_b32 v4, v14, s[6:7] scale_offset
	;; [unrolled: 1-line block ×3, first 2 shown]
	global_load_b32 v3, v[12:13], off
	s_cbranch_scc1 .LBB3_3
; %bb.2:
	v_cmp_eq_u32_e64 s1, 1, v0
	v_cmp_eq_u32_e64 s2, 2, v0
	;; [unrolled: 1-line block ×3, first 2 shown]
	s_wait_loadcnt 0x0
	s_delay_alu instid0(VALU_DEP_3) | instskip(NEXT) | instid1(VALU_DEP_1)
	v_cndmask_b32_e64 v1, v2, v3, s1
	v_cndmask_b32_e64 v1, v1, v4, s2
	s_delay_alu instid0(VALU_DEP_1) | instskip(NEXT) | instid1(VALU_DEP_1)
	v_cndmask_b32_e64 v1, v1, v5, s3
	v_div_scale_f32 v7, null, v1, v1, 1.0
	v_div_scale_f32 v15, vcc_lo, 1.0, v1, 1.0
	s_delay_alu instid0(VALU_DEP_2) | instskip(SKIP_1) | instid1(TRANS32_DEP_1)
	v_rcp_f32_e32 v8, v7
	v_nop
	v_fma_f32 v9, -v7, v8, 1.0
	s_delay_alu instid0(VALU_DEP_1) | instskip(NEXT) | instid1(VALU_DEP_1)
	v_fmac_f32_e32 v8, v9, v8
	v_mul_f32_e32 v9, v15, v8
	s_delay_alu instid0(VALU_DEP_1) | instskip(NEXT) | instid1(VALU_DEP_1)
	v_fma_f32 v17, -v7, v9, v15
	v_fmac_f32_e32 v9, v17, v8
	s_delay_alu instid0(VALU_DEP_1) | instskip(NEXT) | instid1(VALU_DEP_1)
	v_fma_f32 v7, -v7, v9, v15
	v_div_fmas_f32 v7, v7, v8, v9
	s_delay_alu instid0(VALU_DEP_1) | instskip(NEXT) | instid1(VALU_DEP_1)
	v_div_fixup_f32 v1, v7, v1, 1.0
	v_dual_cndmask_b32 v5, v5, v1, s3 :: v_dual_cndmask_b32 v3, v3, v1, s1
	v_dual_cndmask_b32 v4, v4, v1, s2 :: v_dual_cndmask_b32 v2, v2, v1, s0
	v_xor_b32_e32 v7, 0x80000000, v1
.LBB3_3:
	v_dual_ashrrev_i32 v15, 31, v14 :: v_dual_ashrrev_i32 v17, 31, v16
	v_add_nc_u32_e32 v1, 16, v6
	s_cmp_eq_u32 s4, 0x79
	ds_store_b32 v6, v7
	s_cbranch_scc1 .LBB3_7
; %bb.4:
	s_wait_loadcnt 0x0
	v_mov_b64_e32 v[8:9], v[4:5]
	v_mov_b64_e32 v[6:7], v[2:3]
	v_cmp_eq_u32_e64 s1, 3, v0
	ds_store_b32 v1, v4
	s_wait_dscnt 0x0
	s_barrier_signal -1
	s_barrier_wait -1
	s_and_saveexec_b32 s0, s1
	s_cbranch_execz .LBB3_11
; %bb.5:
	s_and_b32 vcc_lo, exec_lo, s8
	s_cbranch_vccz .LBB3_8
; %bb.6:
	ds_load_b32 v6, v1
	v_cmp_eq_u32_e32 vcc_lo, 1, v0
	v_cndmask_b32_e32 v7, v2, v3, vcc_lo
	v_cmp_eq_u32_e32 vcc_lo, 2, v0
	s_delay_alu instid0(VALU_DEP_2) | instskip(SKIP_1) | instid1(VALU_DEP_2)
	v_cndmask_b32_e32 v7, v7, v4, vcc_lo
	v_cmp_eq_u32_e32 vcc_lo, 3, v0
	v_cndmask_b32_e32 v7, v7, v5, vcc_lo
	s_wait_dscnt 0x0
	s_delay_alu instid0(VALU_DEP_1)
	v_mul_f32_e32 v6, v7, v6
	s_cbranch_execz .LBB3_9
	s_branch .LBB3_10
.LBB3_7:
                                        ; implicit-def: $vgpr6_vgpr7_vgpr8_vgpr9
	s_cbranch_execnz .LBB3_34
	s_branch .LBB3_55
.LBB3_8:
                                        ; implicit-def: $vgpr6
.LBB3_9:
	ds_load_b32 v6, v1
.LBB3_10:
	v_mov_b32_e32 v7, 0
	ds_load_b32 v7, v7 offset:8
	s_wait_dscnt 0x0
	v_mul_f32_e32 v18, v6, v7
	v_mov_b64_e32 v[8:9], v[4:5]
	v_mov_b64_e32 v[6:7], v[2:3]
	s_delay_alu instid0(VALU_DEP_3)
	v_mov_b32_e32 v8, v18
.LBB3_11:
	s_or_b32 exec_lo, exec_lo, s0
	v_cmp_lt_u32_e64 s0, 1, v0
	ds_store_b32 v1, v7
	s_wait_dscnt 0x0
	s_barrier_signal -1
	s_barrier_wait -1
	s_and_saveexec_b32 s2, s0
	s_cbranch_execz .LBB3_17
; %bb.12:
	s_and_not1_b32 vcc_lo, exec_lo, s8
	s_cbranch_vccnz .LBB3_14
; %bb.13:
	ds_load_b32 v18, v1
	v_cmp_eq_u32_e32 vcc_lo, 1, v0
	v_cndmask_b32_e32 v7, v6, v7, vcc_lo
	v_cmp_eq_u32_e32 vcc_lo, 2, v0
	s_delay_alu instid0(VALU_DEP_2) | instskip(SKIP_1) | instid1(VALU_DEP_2)
	v_cndmask_b32_e32 v7, v7, v8, vcc_lo
	v_cmp_eq_u32_e32 vcc_lo, 3, v0
	v_cndmask_b32_e32 v7, v7, v9, vcc_lo
	s_wait_dscnt 0x0
	s_delay_alu instid0(VALU_DEP_1)
	v_mul_f32_e32 v7, v7, v18
	s_cbranch_execz .LBB3_15
	s_branch .LBB3_16
.LBB3_14:
                                        ; implicit-def: $vgpr7
.LBB3_15:
	ds_load_b32 v7, v1
.LBB3_16:
	v_mov_b32_e32 v18, 0
	ds_load_2addr_b32 v[18:19], v18 offset0:1 offset1:6
	s_wait_dscnt 0x0
	v_fma_f32 v19, v8, v19, v7
	s_delay_alu instid0(VALU_DEP_1) | instskip(NEXT) | instid1(VALU_DEP_1)
	v_cndmask_b32_e64 v7, v7, v19, s1
	v_mul_f32_e32 v7, v7, v18
.LBB3_17:
	s_or_b32 exec_lo, exec_lo, s2
	s_mov_b32 s1, 0
	s_mov_b32 s4, exec_lo
	ds_store_b32 v1, v6
	s_wait_dscnt 0x0
	s_barrier_signal -1
	s_barrier_wait -1
	v_cmpx_ne_u32_e32 0, v0
	s_cbranch_execz .LBB3_33
; %bb.18:
	s_and_not1_b32 vcc_lo, exec_lo, s8
	s_cbranch_vccnz .LBB3_20
; %bb.19:
	ds_load_b32 v18, v1
	v_cmp_eq_u32_e32 vcc_lo, 1, v0
	v_cndmask_b32_e32 v19, v6, v7, vcc_lo
	v_cmp_eq_u32_e32 vcc_lo, 2, v0
	s_delay_alu instid0(VALU_DEP_2) | instskip(SKIP_1) | instid1(VALU_DEP_2)
	v_cndmask_b32_e32 v19, v19, v8, vcc_lo
	v_cmp_eq_u32_e32 vcc_lo, 3, v0
	v_cndmask_b32_e32 v19, v19, v9, vcc_lo
	s_wait_dscnt 0x0
	s_delay_alu instid0(VALU_DEP_1)
	v_mul_f32_e32 v19, v19, v18
	s_cbranch_execz .LBB3_21
	s_branch .LBB3_22
.LBB3_20:
                                        ; implicit-def: $vgpr19
.LBB3_21:
	ds_load_b32 v19, v1
.LBB3_22:
	s_and_saveexec_b32 s5, s0
	s_cbranch_execz .LBB3_32
; %bb.23:
	v_dual_add_nc_u32 v18, -2, v0 :: v_dual_add_nc_u32 v21, -1, v0
	v_mov_b32_e32 v20, 1
	s_mov_b32 s9, exec_lo
	s_delay_alu instid0(VALU_DEP_2)
	v_cmpx_lt_u32_e32 6, v18
	s_cbranch_execz .LBB3_27
; %bb.24:
	v_and_b32_e32 v18, -8, v21
	s_mov_b32 s10, 0
	s_mov_b64 s[2:3], 8
	s_mov_b32 s11, 20
	s_delay_alu instid0(VALU_DEP_1)
	v_sub_nc_u32_e32 v18, 0, v18
.LBB3_25:                               ; =>This Inner Loop Header: Depth=1
	s_add_co_i32 s0, s2, -7
	s_delay_alu instid0(SALU_CYCLE_1) | instskip(SKIP_1) | instid1(SALU_CYCLE_1)
	s_cmp_eq_u32 s0, 1
	s_cselect_b32 vcc_lo, -1, 0
	v_dual_mov_b32 v20, s11 :: v_dual_cndmask_b32 v30, v6, v7, vcc_lo
	s_cmp_eq_u32 s0, 2
	ds_load_2addr_b32 v[22:23], v20 offset1:1
	ds_load_2addr_b32 v[24:25], v20 offset0:2 offset1:3
	ds_load_2addr_b32 v[26:27], v20 offset0:4 offset1:5
	;; [unrolled: 1-line block ×3, first 2 shown]
	s_cselect_b32 vcc_lo, -1, 0
	s_cmp_eq_u32 s0, 3
	v_cndmask_b32_e32 v20, v30, v8, vcc_lo
	s_cselect_b32 vcc_lo, -1, 0
	s_add_co_i32 s12, s2, -6
	s_delay_alu instid0(SALU_CYCLE_1) | instskip(NEXT) | instid1(VALU_DEP_1)
	s_cmp_eq_u32 s12, 1
	v_cndmask_b32_e32 v20, v20, v9, vcc_lo
	s_cselect_b32 s0, -1, 0
	s_cmp_eq_u32 s12, 2
	v_cndmask_b32_e64 v30, v6, v7, s0
	s_cselect_b32 vcc_lo, -1, 0
	s_cmp_eq_u32 s12, 3
	s_delay_alu instid0(VALU_DEP_1)
	v_cndmask_b32_e32 v30, v30, v8, vcc_lo
	s_cselect_b32 vcc_lo, -1, 0
	s_add_co_i32 s12, s2, -5
	s_wait_dscnt 0x3
	v_fmac_f32_e32 v19, v20, v22
	s_cmp_eq_u32 s12, 1
	s_cselect_b32 s0, -1, 0
	s_cmp_eq_u32 s12, 2
	v_cndmask_b32_e64 v31, v6, v7, s0
	v_cndmask_b32_e32 v30, v30, v9, vcc_lo
	s_cselect_b32 vcc_lo, -1, 0
	s_cmp_eq_u32 s12, 3
	s_delay_alu instid0(VALU_DEP_2)
	v_cndmask_b32_e32 v20, v31, v8, vcc_lo
	s_cselect_b32 vcc_lo, -1, 0
	s_add_co_i32 s12, s2, -4
	v_fmac_f32_e32 v19, v30, v23
	s_cmp_eq_u32 s12, 1
	v_cndmask_b32_e32 v20, v20, v9, vcc_lo
	s_cselect_b32 s0, -1, 0
	s_cmp_eq_u32 s12, 2
	v_cndmask_b32_e64 v22, v6, v7, s0
	s_cselect_b32 vcc_lo, -1, 0
	s_cmp_eq_u32 s12, 3
	s_wait_dscnt 0x2
	v_fmac_f32_e32 v19, v20, v24
	v_cndmask_b32_e32 v22, v22, v8, vcc_lo
	s_cselect_b32 vcc_lo, -1, 0
	s_add_co_i32 s12, s2, -3
	s_delay_alu instid0(SALU_CYCLE_1) | instskip(NEXT) | instid1(VALU_DEP_1)
	s_cmp_eq_u32 s12, 1
	v_cndmask_b32_e32 v22, v22, v9, vcc_lo
	s_cselect_b32 s0, -1, 0
	s_cmp_eq_u32 s12, 2
	v_cndmask_b32_e64 v20, v6, v7, s0
	s_cselect_b32 vcc_lo, -1, 0
	s_cmp_eq_u32 s12, 3
	s_delay_alu instid0(VALU_DEP_1) | instskip(SKIP_2) | instid1(SALU_CYCLE_1)
	v_cndmask_b32_e32 v20, v20, v8, vcc_lo
	s_cselect_b32 vcc_lo, -1, 0
	s_add_co_i32 s12, s2, -2
	s_cmp_eq_u32 s12, 1
	s_delay_alu instid0(VALU_DEP_1)
	v_cndmask_b32_e32 v20, v20, v9, vcc_lo
	s_cselect_b32 s0, -1, 0
	s_cmp_eq_u32 s12, 2
	s_cselect_b32 vcc_lo, -1, 0
	v_fmac_f32_e32 v19, v22, v25
	v_cndmask_b32_e64 v22, v6, v7, s0
	s_cmp_eq_u32 s12, 3
	s_delay_alu instid0(VALU_DEP_1) | instskip(SKIP_2) | instid1(SALU_CYCLE_1)
	v_cndmask_b32_e32 v22, v22, v8, vcc_lo
	s_cselect_b32 vcc_lo, -1, 0
	s_add_co_i32 s12, s2, -1
	s_cmp_eq_u32 s12, 1
	s_cselect_b32 s0, -1, 0
	s_wait_dscnt 0x1
	v_dual_fmac_f32 v19, v20, v26 :: v_dual_cndmask_b32 v20, v6, v7, s0
	s_cmp_eq_u32 s12, 2
	v_cndmask_b32_e32 v22, v22, v9, vcc_lo
	s_cselect_b32 vcc_lo, -1, 0
	s_cmp_eq_u32 s12, 3
	v_cndmask_b32_e32 v20, v20, v8, vcc_lo
	s_cselect_b32 vcc_lo, -1, 0
	s_cmp_eq_u32 s2, 1
	v_fmac_f32_e32 v19, v22, v27
	s_cselect_b32 s0, -1, 0
	s_cmp_eq_u32 s2, 2
	v_cndmask_b32_e64 v22, v6, v7, s0
	s_cselect_b32 s0, -1, 0
	s_cmp_eq_u32 s2, 3
	s_add_nc_u64 s[2:3], s[2:3], 8
	s_delay_alu instid0(SALU_CYCLE_1)
	v_dual_cndmask_b32 v20, v20, v9 :: v_dual_add_nc_u32 v23, s2, v18
	v_cndmask_b32_e64 v22, v22, v8, s0
	s_cselect_b32 vcc_lo, -1, 0
	s_add_co_i32 s0, s2, -7
	s_wait_dscnt 0x0
	v_dual_fmac_f32 v19, v20, v28 :: v_dual_mov_b32 v20, s0
	v_cndmask_b32_e32 v22, v22, v9, vcc_lo
	v_cmp_eq_u32_e32 vcc_lo, 8, v23
	s_add_co_i32 s11, s11, 32
	s_delay_alu instid0(VALU_DEP_2) | instskip(SKIP_1) | instid1(SALU_CYCLE_1)
	v_fmac_f32_e32 v19, v22, v29
	s_or_b32 s10, vcc_lo, s10
	s_and_not1_b32 exec_lo, exec_lo, s10
	s_cbranch_execnz .LBB3_25
; %bb.26:
	s_or_b32 exec_lo, exec_lo, s10
.LBB3_27:
	s_delay_alu instid0(SALU_CYCLE_1) | instskip(SKIP_3) | instid1(VALU_DEP_1)
	s_or_b32 exec_lo, exec_lo, s9
	v_and_b32_e32 v18, 7, v21
	s_mov_b32 s2, 0
	s_mov_b32 s0, exec_lo
	v_cmpx_ne_u32_e32 0, v18
	s_cbranch_execz .LBB3_31
; %bb.28:
	v_lshl_add_u32 v22, v20, 2, 16
	v_mov_b32_e32 v21, 0
.LBB3_29:                               ; =>This Inner Loop Header: Depth=1
	ds_load_b32 v23, v22
	v_cmp_eq_u32_e32 vcc_lo, 1, v20
	v_add_nc_u32_e32 v18, -1, v18
	v_dual_add_nc_u32 v22, 4, v22 :: v_dual_cndmask_b32 v24, v6, v7, vcc_lo
	v_cmp_eq_u32_e32 vcc_lo, 2, v20
	s_delay_alu instid0(VALU_DEP_2) | instskip(SKIP_2) | instid1(VALU_DEP_3)
	v_cndmask_b32_e32 v24, v24, v8, vcc_lo
	v_cmp_eq_u32_e32 vcc_lo, 3, v20
	v_add_nc_u64_e32 v[20:21], 1, v[20:21]
	v_cndmask_b32_e32 v24, v24, v9, vcc_lo
	v_cmp_eq_u32_e32 vcc_lo, 0, v18
	s_wait_dscnt 0x0
	s_delay_alu instid0(VALU_DEP_2) | instskip(SKIP_1) | instid1(SALU_CYCLE_1)
	v_fmac_f32_e32 v19, v24, v23
	s_or_b32 s2, vcc_lo, s2
	s_and_not1_b32 exec_lo, exec_lo, s2
	s_cbranch_execnz .LBB3_29
; %bb.30:
	s_or_b32 exec_lo, exec_lo, s2
.LBB3_31:
	s_delay_alu instid0(SALU_CYCLE_1)
	s_or_b32 exec_lo, exec_lo, s0
.LBB3_32:
	s_delay_alu instid0(SALU_CYCLE_1)
	s_or_b32 exec_lo, exec_lo, s5
	v_mov_b32_e32 v6, 0
	ds_load_b32 v6, v6
	s_wait_dscnt 0x0
	v_mul_f32_e32 v6, v19, v6
.LBB3_33:
	s_or_b32 exec_lo, exec_lo, s4
	s_delay_alu instid0(SALU_CYCLE_1)
	s_and_b32 vcc_lo, exec_lo, s1
	s_cbranch_vccz .LBB3_55
.LBB3_34:
	v_cmp_eq_u32_e64 s0, 0, v0
	s_wait_loadcnt 0x0
	ds_store_b32 v1, v3
	s_wait_dscnt 0x0
	s_barrier_signal -1
	s_barrier_wait -1
	s_and_saveexec_b32 s1, s0
	s_cbranch_execz .LBB3_40
; %bb.35:
	s_and_b32 vcc_lo, exec_lo, s8
	s_cbranch_vccz .LBB3_37
; %bb.36:
	ds_load_b32 v6, v1
	v_cmp_eq_u32_e32 vcc_lo, 1, v0
	v_cndmask_b32_e32 v3, v2, v3, vcc_lo
	v_cmp_eq_u32_e32 vcc_lo, 2, v0
	s_delay_alu instid0(VALU_DEP_2) | instskip(SKIP_1) | instid1(VALU_DEP_2)
	v_cndmask_b32_e32 v3, v3, v4, vcc_lo
	v_cmp_eq_u32_e32 vcc_lo, 3, v0
	v_cndmask_b32_e32 v3, v3, v5, vcc_lo
	s_wait_dscnt 0x0
	s_delay_alu instid0(VALU_DEP_1)
	v_mul_f32_e32 v3, v3, v6
	s_cbranch_execz .LBB3_38
	s_branch .LBB3_39
.LBB3_37:
                                        ; implicit-def: $vgpr3
.LBB3_38:
	ds_load_b32 v3, v1
.LBB3_39:
	v_mov_b32_e32 v6, 0
	ds_load_b32 v6, v6 offset:4
	s_wait_dscnt 0x0
	v_mul_f32_e32 v3, v3, v6
.LBB3_40:
	s_or_b32 exec_lo, exec_lo, s1
	v_cmp_gt_u32_e64 s1, 2, v0
	v_cndmask_b32_e64 v6, 0, 1, s8
	ds_store_b32 v1, v4
	s_wait_dscnt 0x0
	s_barrier_signal -1
	s_barrier_wait -1
	s_and_saveexec_b32 s2, s1
	s_cbranch_execz .LBB3_46
; %bb.41:
	s_and_not1_b32 vcc_lo, exec_lo, s8
	s_cbranch_vccnz .LBB3_43
; %bb.42:
	ds_load_b32 v7, v1
	v_cmp_eq_u32_e32 vcc_lo, 1, v0
	v_cndmask_b32_e32 v8, v2, v3, vcc_lo
	v_cmp_eq_u32_e32 vcc_lo, 2, v0
	s_delay_alu instid0(VALU_DEP_2) | instskip(SKIP_1) | instid1(VALU_DEP_2)
	v_cndmask_b32_e32 v4, v8, v4, vcc_lo
	v_cmp_eq_u32_e32 vcc_lo, 3, v0
	v_cndmask_b32_e32 v4, v4, v5, vcc_lo
	s_wait_dscnt 0x0
	s_delay_alu instid0(VALU_DEP_1)
	v_mul_f32_e32 v4, v4, v7
	s_cbranch_execz .LBB3_44
	s_branch .LBB3_45
.LBB3_43:
                                        ; implicit-def: $vgpr4
.LBB3_44:
	ds_load_b32 v4, v1
.LBB3_45:
	v_mov_b32_e32 v7, 0
	ds_load_2addr_b32 v[8:9], v7 offset0:2 offset1:5
	s_wait_dscnt 0x0
	v_fma_f32 v7, v3, v9, v4
	s_delay_alu instid0(VALU_DEP_1) | instskip(NEXT) | instid1(VALU_DEP_1)
	v_cndmask_b32_e64 v4, v4, v7, s0
	v_mul_f32_e32 v4, v4, v8
.LBB3_46:
	s_or_b32 exec_lo, exec_lo, s2
	s_delay_alu instid0(SALU_CYCLE_1)
	s_mov_b32 s2, exec_lo
	ds_store_b32 v1, v5
	s_wait_dscnt 0x0
	s_barrier_signal -1
	s_barrier_wait -1
	v_cmpx_ne_u32_e32 3, v0
	s_cbranch_execz .LBB3_54
; %bb.47:
	v_cmp_ne_u32_e32 vcc_lo, 1, v6
	s_cbranch_vccnz .LBB3_49
; %bb.48:
	ds_load_b32 v6, v1
	v_cmp_eq_u32_e32 vcc_lo, 1, v0
	v_cndmask_b32_e32 v7, v2, v3, vcc_lo
	v_cmp_eq_u32_e32 vcc_lo, 2, v0
	s_delay_alu instid0(VALU_DEP_2) | instskip(SKIP_1) | instid1(VALU_DEP_2)
	v_cndmask_b32_e32 v7, v7, v4, vcc_lo
	v_cmp_eq_u32_e32 vcc_lo, 3, v0
	v_cndmask_b32_e32 v7, v7, v5, vcc_lo
	s_wait_dscnt 0x0
	s_delay_alu instid0(VALU_DEP_1)
	v_mul_f32_e32 v6, v7, v6
	s_cbranch_execz .LBB3_50
	s_branch .LBB3_51
.LBB3_49:
                                        ; implicit-def: $vgpr6
.LBB3_50:
	ds_load_b32 v6, v1
.LBB3_51:
	s_and_saveexec_b32 s3, s1
	s_cbranch_execz .LBB3_53
; %bb.52:
	v_dual_mov_b32 v7, 0 :: v_dual_add_nc_u32 v0, 1, v0
	ds_load_b32 v1, v1 offset:4
	v_cmp_eq_u32_e32 vcc_lo, 1, v0
	ds_load_b32 v7, v7 offset:24
	v_cndmask_b32_e32 v8, v2, v3, vcc_lo
	v_cmp_eq_u32_e32 vcc_lo, 2, v0
	s_delay_alu instid0(VALU_DEP_2) | instskip(SKIP_1) | instid1(VALU_DEP_2)
	v_cndmask_b32_e32 v8, v8, v4, vcc_lo
	v_cmp_eq_u32_e32 vcc_lo, 3, v0
	v_cndmask_b32_e32 v0, v8, v5, vcc_lo
	s_wait_dscnt 0x1
	s_delay_alu instid0(VALU_DEP_1) | instskip(SKIP_1) | instid1(VALU_DEP_1)
	v_fmac_f32_e32 v6, v0, v1
	s_wait_dscnt 0x0
	v_fma_f32 v0, v4, v7, v6
	s_delay_alu instid0(VALU_DEP_1)
	v_cndmask_b32_e64 v6, v6, v0, s0
.LBB3_53:
	s_or_b32 exec_lo, exec_lo, s3
	v_mov_b32_e32 v0, 0
	ds_load_b32 v0, v0 offset:12
	s_wait_dscnt 0x0
	v_mul_f32_e32 v5, v6, v0
.LBB3_54:
	s_or_b32 exec_lo, exec_lo, s2
	s_delay_alu instid0(VALU_DEP_1)
	v_mov_b64_e32 v[8:9], v[4:5]
	v_mov_b64_e32 v[6:7], v[2:3]
.LBB3_55:
	s_wait_xcnt 0x3
	v_lshl_add_u64 v[0:1], v[14:15], 2, s[6:7]
	s_wait_loadcnt 0x0
	v_lshl_add_u64 v[2:3], v[16:17], 2, s[6:7]
	s_clause 0x3
	global_store_b32 v[10:11], v6, off
	global_store_b32 v[12:13], v7, off
	;; [unrolled: 1-line block ×4, first 2 shown]
.LBB3_56:
	s_endpgm
	.section	.rodata,"a",@progbits
	.p2align	6, 0x0
	.amdhsa_kernel _ZN9rocsolver6v33100L18trti2_kernel_smallILi4EfPfEEv13rocblas_fill_17rocblas_diagonal_T1_iil
		.amdhsa_group_segment_fixed_size 32
		.amdhsa_private_segment_fixed_size 0
		.amdhsa_kernarg_size 32
		.amdhsa_user_sgpr_count 2
		.amdhsa_user_sgpr_dispatch_ptr 0
		.amdhsa_user_sgpr_queue_ptr 0
		.amdhsa_user_sgpr_kernarg_segment_ptr 1
		.amdhsa_user_sgpr_dispatch_id 0
		.amdhsa_user_sgpr_kernarg_preload_length 0
		.amdhsa_user_sgpr_kernarg_preload_offset 0
		.amdhsa_user_sgpr_private_segment_size 0
		.amdhsa_wavefront_size32 1
		.amdhsa_uses_dynamic_stack 0
		.amdhsa_enable_private_segment 0
		.amdhsa_system_sgpr_workgroup_id_x 1
		.amdhsa_system_sgpr_workgroup_id_y 0
		.amdhsa_system_sgpr_workgroup_id_z 0
		.amdhsa_system_sgpr_workgroup_info 0
		.amdhsa_system_vgpr_workitem_id 0
		.amdhsa_next_free_vgpr 32
		.amdhsa_next_free_sgpr 13
		.amdhsa_named_barrier_count 0
		.amdhsa_reserve_vcc 1
		.amdhsa_float_round_mode_32 0
		.amdhsa_float_round_mode_16_64 0
		.amdhsa_float_denorm_mode_32 3
		.amdhsa_float_denorm_mode_16_64 3
		.amdhsa_fp16_overflow 0
		.amdhsa_memory_ordered 1
		.amdhsa_forward_progress 1
		.amdhsa_inst_pref_size 18
		.amdhsa_round_robin_scheduling 0
		.amdhsa_exception_fp_ieee_invalid_op 0
		.amdhsa_exception_fp_denorm_src 0
		.amdhsa_exception_fp_ieee_div_zero 0
		.amdhsa_exception_fp_ieee_overflow 0
		.amdhsa_exception_fp_ieee_underflow 0
		.amdhsa_exception_fp_ieee_inexact 0
		.amdhsa_exception_int_div_zero 0
	.end_amdhsa_kernel
	.section	.text._ZN9rocsolver6v33100L18trti2_kernel_smallILi4EfPfEEv13rocblas_fill_17rocblas_diagonal_T1_iil,"axG",@progbits,_ZN9rocsolver6v33100L18trti2_kernel_smallILi4EfPfEEv13rocblas_fill_17rocblas_diagonal_T1_iil,comdat
.Lfunc_end3:
	.size	_ZN9rocsolver6v33100L18trti2_kernel_smallILi4EfPfEEv13rocblas_fill_17rocblas_diagonal_T1_iil, .Lfunc_end3-_ZN9rocsolver6v33100L18trti2_kernel_smallILi4EfPfEEv13rocblas_fill_17rocblas_diagonal_T1_iil
                                        ; -- End function
	.set _ZN9rocsolver6v33100L18trti2_kernel_smallILi4EfPfEEv13rocblas_fill_17rocblas_diagonal_T1_iil.num_vgpr, 32
	.set _ZN9rocsolver6v33100L18trti2_kernel_smallILi4EfPfEEv13rocblas_fill_17rocblas_diagonal_T1_iil.num_agpr, 0
	.set _ZN9rocsolver6v33100L18trti2_kernel_smallILi4EfPfEEv13rocblas_fill_17rocblas_diagonal_T1_iil.numbered_sgpr, 13
	.set _ZN9rocsolver6v33100L18trti2_kernel_smallILi4EfPfEEv13rocblas_fill_17rocblas_diagonal_T1_iil.num_named_barrier, 0
	.set _ZN9rocsolver6v33100L18trti2_kernel_smallILi4EfPfEEv13rocblas_fill_17rocblas_diagonal_T1_iil.private_seg_size, 0
	.set _ZN9rocsolver6v33100L18trti2_kernel_smallILi4EfPfEEv13rocblas_fill_17rocblas_diagonal_T1_iil.uses_vcc, 1
	.set _ZN9rocsolver6v33100L18trti2_kernel_smallILi4EfPfEEv13rocblas_fill_17rocblas_diagonal_T1_iil.uses_flat_scratch, 0
	.set _ZN9rocsolver6v33100L18trti2_kernel_smallILi4EfPfEEv13rocblas_fill_17rocblas_diagonal_T1_iil.has_dyn_sized_stack, 0
	.set _ZN9rocsolver6v33100L18trti2_kernel_smallILi4EfPfEEv13rocblas_fill_17rocblas_diagonal_T1_iil.has_recursion, 0
	.set _ZN9rocsolver6v33100L18trti2_kernel_smallILi4EfPfEEv13rocblas_fill_17rocblas_diagonal_T1_iil.has_indirect_call, 0
	.section	.AMDGPU.csdata,"",@progbits
; Kernel info:
; codeLenInByte = 2260
; TotalNumSgprs: 15
; NumVgprs: 32
; ScratchSize: 0
; MemoryBound: 0
; FloatMode: 240
; IeeeMode: 1
; LDSByteSize: 32 bytes/workgroup (compile time only)
; SGPRBlocks: 0
; VGPRBlocks: 1
; NumSGPRsForWavesPerEU: 15
; NumVGPRsForWavesPerEU: 32
; NamedBarCnt: 0
; Occupancy: 16
; WaveLimiterHint : 0
; COMPUTE_PGM_RSRC2:SCRATCH_EN: 0
; COMPUTE_PGM_RSRC2:USER_SGPR: 2
; COMPUTE_PGM_RSRC2:TRAP_HANDLER: 0
; COMPUTE_PGM_RSRC2:TGID_X_EN: 1
; COMPUTE_PGM_RSRC2:TGID_Y_EN: 0
; COMPUTE_PGM_RSRC2:TGID_Z_EN: 0
; COMPUTE_PGM_RSRC2:TIDIG_COMP_CNT: 0
	.section	.text._ZN9rocsolver6v33100L18trti2_kernel_smallILi5EfPfEEv13rocblas_fill_17rocblas_diagonal_T1_iil,"axG",@progbits,_ZN9rocsolver6v33100L18trti2_kernel_smallILi5EfPfEEv13rocblas_fill_17rocblas_diagonal_T1_iil,comdat
	.globl	_ZN9rocsolver6v33100L18trti2_kernel_smallILi5EfPfEEv13rocblas_fill_17rocblas_diagonal_T1_iil ; -- Begin function _ZN9rocsolver6v33100L18trti2_kernel_smallILi5EfPfEEv13rocblas_fill_17rocblas_diagonal_T1_iil
	.p2align	8
	.type	_ZN9rocsolver6v33100L18trti2_kernel_smallILi5EfPfEEv13rocblas_fill_17rocblas_diagonal_T1_iil,@function
_ZN9rocsolver6v33100L18trti2_kernel_smallILi5EfPfEEv13rocblas_fill_17rocblas_diagonal_T1_iil: ; @_ZN9rocsolver6v33100L18trti2_kernel_smallILi5EfPfEEv13rocblas_fill_17rocblas_diagonal_T1_iil
; %bb.0:
	s_mov_b32 s2, exec_lo
	v_cmpx_gt_u32_e32 5, v0
	s_cbranch_execz .LBB4_82
; %bb.1:
	s_load_b256 s[8:15], s[0:1], 0x0
	s_wait_xcnt 0x0
	s_bfe_u32 s0, ttmp6, 0x4000c
	s_and_b32 s1, ttmp6, 15
	s_add_co_i32 s0, s0, 1
	s_getreg_b32 s2, hwreg(HW_REG_IB_STS2, 6, 4)
	s_mul_i32 s0, ttmp9, s0
	v_dual_mov_b32 v1, 0 :: v_dual_lshlrev_b32 v8, 2, v0
	s_add_co_i32 s0, s1, s0
	s_wait_kmcnt 0x0
	s_ashr_i32 s1, s12, 31
	s_cmp_eq_u32 s2, 0
	v_add3_u32 v18, s13, s13, v0
	s_cselect_b32 s2, ttmp9, s0
	s_mov_b32 s0, s12
	s_ashr_i32 s3, s2, 31
	s_delay_alu instid0(VALU_DEP_1) | instskip(SKIP_3) | instid1(SALU_CYCLE_1)
	v_dual_mov_b32 v9, v1 :: v_dual_add_nc_u32 v20, s13, v18
	s_mul_u64 s[2:3], s[14:15], s[2:3]
	s_lshl_b64 s[0:1], s[0:1], 2
	s_lshl_b64 s[2:3], s[2:3], 2
	s_add_nc_u64 s[2:3], s[10:11], s[2:3]
	v_add_nc_u32_e32 v22, s13, v20
	s_add_nc_u64 s[6:7], s[2:3], s[0:1]
	s_mov_b32 s0, s13
	v_add_nc_u64_e32 v[14:15], s[6:7], v[8:9]
	s_ashr_i32 s1, s13, 31
	v_mov_b32_e32 v9, -1.0
	s_cmp_lg_u32 s9, 0x84
	s_cselect_b32 s5, -1, 0
	s_cmp_eq_u32 s9, 0x84
	s_delay_alu instid0(VALU_DEP_2)
	v_lshl_add_u64 v[16:17], s[0:1], 2, v[14:15]
	v_cmp_eq_u32_e64 s0, 0, v0
	s_clause 0x4
	global_load_b32 v2, v0, s[6:7] scale_offset
	global_load_b32 v3, v[16:17], off
	global_load_b32 v4, v18, s[6:7] scale_offset
	global_load_b32 v5, v20, s[6:7] scale_offset
	;; [unrolled: 1-line block ×3, first 2 shown]
	s_cbranch_scc1 .LBB4_3
; %bb.2:
	v_cmp_eq_u32_e64 s1, 1, v0
	v_cmp_eq_u32_e64 s2, 2, v0
	;; [unrolled: 1-line block ×4, first 2 shown]
	s_wait_loadcnt 0x3
	v_cndmask_b32_e64 v7, v2, v3, s1
	s_wait_loadcnt 0x2
	s_delay_alu instid0(VALU_DEP_1) | instskip(SKIP_1) | instid1(VALU_DEP_1)
	v_cndmask_b32_e64 v7, v7, v4, s2
	s_wait_loadcnt 0x1
	v_cndmask_b32_e64 v7, v7, v5, s3
	s_wait_loadcnt 0x0
	s_delay_alu instid0(VALU_DEP_1) | instskip(NEXT) | instid1(VALU_DEP_1)
	v_cndmask_b32_e64 v7, v7, v6, s4
	v_div_scale_f32 v9, null, v7, v7, 1.0
	v_div_scale_f32 v12, vcc_lo, 1.0, v7, 1.0
	s_delay_alu instid0(VALU_DEP_2) | instskip(SKIP_1) | instid1(TRANS32_DEP_1)
	v_rcp_f32_e32 v10, v9
	v_nop
	v_fma_f32 v11, -v9, v10, 1.0
	s_delay_alu instid0(VALU_DEP_1) | instskip(NEXT) | instid1(VALU_DEP_1)
	v_fmac_f32_e32 v10, v11, v10
	v_mul_f32_e32 v11, v12, v10
	s_delay_alu instid0(VALU_DEP_1) | instskip(NEXT) | instid1(VALU_DEP_1)
	v_fma_f32 v13, -v9, v11, v12
	v_fmac_f32_e32 v11, v13, v10
	s_delay_alu instid0(VALU_DEP_1) | instskip(NEXT) | instid1(VALU_DEP_1)
	v_fma_f32 v9, -v9, v11, v12
	v_div_fmas_f32 v9, v9, v10, v11
	s_delay_alu instid0(VALU_DEP_1) | instskip(NEXT) | instid1(VALU_DEP_1)
	v_div_fixup_f32 v7, v9, v7, 1.0
	v_dual_cndmask_b32 v6, v6, v7, s4 :: v_dual_cndmask_b32 v5, v5, v7, s3
	v_dual_cndmask_b32 v4, v4, v7, s2 :: v_dual_cndmask_b32 v3, v3, v7, s1
	v_cndmask_b32_e64 v2, v2, v7, s0
	v_xor_b32_e32 v9, 0x80000000, v7
.LBB4_3:
	v_dual_ashrrev_i32 v19, 31, v18 :: v_dual_ashrrev_i32 v21, 31, v20
	v_dual_ashrrev_i32 v23, 31, v22 :: v_dual_add_nc_u32 v7, 32, v8
	s_cmp_eq_u32 s8, 0x79
	ds_store_b32 v8, v9
	s_cbranch_scc1 .LBB4_7
; %bb.4:
	s_wait_loadcnt 0x0
	v_dual_mov_b32 v12, v6 :: v_dual_mov_b32 v11, v5
	v_cmp_eq_u32_e64 s0, 4, v0
	v_dual_mov_b32 v10, v4 :: v_dual_mov_b32 v9, v3
	v_mov_b32_e32 v8, v2
	ds_store_b32 v7, v5
	s_wait_dscnt 0x0
	s_barrier_signal -1
	s_barrier_wait -1
	s_and_saveexec_b32 s1, s0
	s_cbranch_execz .LBB4_11
; %bb.5:
	s_and_b32 vcc_lo, exec_lo, s5
	s_cbranch_vccz .LBB4_8
; %bb.6:
	v_cmp_eq_u32_e32 vcc_lo, 1, v0
	ds_load_b32 v9, v7
	v_cndmask_b32_e32 v8, v2, v3, vcc_lo
	v_cmp_eq_u32_e32 vcc_lo, 2, v0
	s_delay_alu instid0(VALU_DEP_2) | instskip(SKIP_1) | instid1(VALU_DEP_2)
	v_cndmask_b32_e32 v8, v8, v4, vcc_lo
	v_cmp_eq_u32_e32 vcc_lo, 3, v0
	v_cndmask_b32_e32 v8, v8, v5, vcc_lo
	v_cmp_eq_u32_e32 vcc_lo, 4, v0
	s_delay_alu instid0(VALU_DEP_2) | instskip(SKIP_1) | instid1(VALU_DEP_1)
	v_cndmask_b32_e32 v8, v8, v6, vcc_lo
	s_wait_dscnt 0x0
	v_mul_f32_e32 v8, v8, v9
	s_cbranch_execz .LBB4_9
	s_branch .LBB4_10
.LBB4_7:
                                        ; implicit-def: $vgpr8_vgpr9_vgpr10_vgpr11_vgpr12
	s_cbranch_execnz .LBB4_50
	s_branch .LBB4_81
.LBB4_8:
                                        ; implicit-def: $vgpr8
.LBB4_9:
	ds_load_b32 v8, v7
.LBB4_10:
	v_mov_b32_e32 v9, 0
	ds_load_b32 v9, v9 offset:12
	s_wait_dscnt 0x0
	v_dual_mul_f32 v13, v8, v9 :: v_dual_mov_b32 v12, v6
	v_dual_mov_b32 v11, v5 :: v_dual_mov_b32 v10, v4
	v_dual_mov_b32 v9, v3 :: v_dual_mov_b32 v8, v2
	s_delay_alu instid0(VALU_DEP_3)
	v_mov_b32_e32 v11, v13
.LBB4_11:
	s_or_b32 exec_lo, exec_lo, s1
	v_cmp_lt_u32_e64 s1, 2, v0
	ds_store_b32 v7, v10
	s_wait_dscnt 0x0
	s_barrier_signal -1
	s_barrier_wait -1
	s_and_saveexec_b32 s2, s1
	s_cbranch_execz .LBB4_17
; %bb.12:
	s_and_not1_b32 vcc_lo, exec_lo, s5
	s_cbranch_vccnz .LBB4_14
; %bb.13:
	v_cmp_eq_u32_e32 vcc_lo, 1, v0
	ds_load_b32 v24, v7
	v_cndmask_b32_e32 v13, v8, v9, vcc_lo
	v_cmp_eq_u32_e32 vcc_lo, 2, v0
	s_delay_alu instid0(VALU_DEP_2) | instskip(SKIP_1) | instid1(VALU_DEP_2)
	v_cndmask_b32_e32 v10, v13, v10, vcc_lo
	v_cmp_eq_u32_e32 vcc_lo, 3, v0
	v_cndmask_b32_e32 v10, v10, v11, vcc_lo
	v_cmp_eq_u32_e32 vcc_lo, 4, v0
	s_delay_alu instid0(VALU_DEP_2) | instskip(SKIP_1) | instid1(VALU_DEP_1)
	v_cndmask_b32_e32 v10, v10, v12, vcc_lo
	s_wait_dscnt 0x0
	v_mul_f32_e32 v10, v10, v24
	s_cbranch_execz .LBB4_15
	s_branch .LBB4_16
.LBB4_14:
                                        ; implicit-def: $vgpr10
.LBB4_15:
	ds_load_b32 v10, v7
.LBB4_16:
	v_mov_b32_e32 v13, 0
	ds_load_2addr_b32 v[24:25], v13 offset0:2 offset1:11
	s_wait_dscnt 0x0
	v_fma_f32 v13, v11, v25, v10
	s_delay_alu instid0(VALU_DEP_1) | instskip(NEXT) | instid1(VALU_DEP_1)
	v_cndmask_b32_e64 v10, v10, v13, s0
	v_mul_f32_e32 v10, v10, v24
.LBB4_17:
	s_or_b32 exec_lo, exec_lo, s2
	v_cmp_lt_u32_e64 s0, 1, v0
	ds_store_b32 v7, v9
	s_wait_dscnt 0x0
	s_barrier_signal -1
	s_barrier_wait -1
	s_and_saveexec_b32 s4, s0
	s_cbranch_execz .LBB4_33
; %bb.18:
	s_and_not1_b32 vcc_lo, exec_lo, s5
	s_cbranch_vccnz .LBB4_20
; %bb.19:
	v_cmp_eq_u32_e32 vcc_lo, 1, v0
	ds_load_b32 v24, v7
	v_cndmask_b32_e32 v13, v8, v9, vcc_lo
	v_cmp_eq_u32_e32 vcc_lo, 2, v0
	s_delay_alu instid0(VALU_DEP_2) | instskip(SKIP_1) | instid1(VALU_DEP_2)
	v_cndmask_b32_e32 v13, v13, v10, vcc_lo
	v_cmp_eq_u32_e32 vcc_lo, 3, v0
	v_cndmask_b32_e32 v13, v13, v11, vcc_lo
	v_cmp_eq_u32_e32 vcc_lo, 4, v0
	s_delay_alu instid0(VALU_DEP_2) | instskip(SKIP_1) | instid1(VALU_DEP_1)
	v_cndmask_b32_e32 v13, v13, v12, vcc_lo
	s_wait_dscnt 0x0
	v_mul_f32_e32 v13, v13, v24
	s_cbranch_execz .LBB4_21
	s_branch .LBB4_22
.LBB4_20:
                                        ; implicit-def: $vgpr13
.LBB4_21:
	ds_load_b32 v13, v7
.LBB4_22:
	s_and_saveexec_b32 s8, s1
	s_cbranch_execz .LBB4_32
; %bb.23:
	v_dual_add_nc_u32 v24, -3, v0 :: v_dual_add_nc_u32 v25, -2, v0
	v_mov_b32_e32 v26, 2
	s_mov_b32 s9, exec_lo
	s_delay_alu instid0(VALU_DEP_2)
	v_cmpx_lt_u32_e32 6, v24
	s_cbranch_execz .LBB4_27
; %bb.24:
	v_and_b32_e32 v24, -8, v25
	s_mov_b32 s10, 0
	s_mov_b64 s[2:3], 9
	s_mov_b32 s11, 40
	s_delay_alu instid0(VALU_DEP_1)
	v_sub_nc_u32_e32 v24, 0, v24
.LBB4_25:                               ; =>This Inner Loop Header: Depth=1
	s_add_co_i32 s1, s2, -7
	s_delay_alu instid0(SALU_CYCLE_1) | instskip(SKIP_1) | instid1(SALU_CYCLE_1)
	s_cmp_eq_u32 s1, 1
	s_cselect_b32 vcc_lo, -1, 0
	v_dual_mov_b32 v30, s11 :: v_dual_cndmask_b32 v34, v8, v9, vcc_lo
	s_cmp_eq_u32 s1, 2
	ds_load_2addr_b64 v[26:29], v30 offset1:1
	ds_load_2addr_b64 v[30:33], v30 offset0:2 offset1:3
	s_cselect_b32 vcc_lo, -1, 0
	s_cmp_eq_u32 s1, 3
	v_cndmask_b32_e32 v34, v34, v10, vcc_lo
	s_cselect_b32 vcc_lo, -1, 0
	s_cmp_eq_u32 s1, 4
	s_delay_alu instid0(VALU_DEP_1) | instskip(SKIP_2) | instid1(SALU_CYCLE_1)
	v_cndmask_b32_e32 v34, v34, v11, vcc_lo
	s_cselect_b32 vcc_lo, -1, 0
	s_add_co_i32 s12, s2, -6
	s_cmp_eq_u32 s12, 1
	s_delay_alu instid0(VALU_DEP_1)
	v_cndmask_b32_e32 v34, v34, v12, vcc_lo
	s_cselect_b32 s1, -1, 0
	s_cmp_eq_u32 s12, 2
	v_cndmask_b32_e64 v35, v8, v9, s1
	s_cselect_b32 vcc_lo, -1, 0
	s_cmp_eq_u32 s12, 3
	s_wait_dscnt 0x1
	v_fmac_f32_e32 v13, v34, v26
	v_cndmask_b32_e32 v35, v35, v10, vcc_lo
	s_cselect_b32 vcc_lo, -1, 0
	s_cmp_eq_u32 s12, 4
	s_delay_alu instid0(VALU_DEP_1) | instskip(SKIP_2) | instid1(SALU_CYCLE_1)
	v_cndmask_b32_e32 v26, v35, v11, vcc_lo
	s_cselect_b32 vcc_lo, -1, 0
	s_add_co_i32 s12, s2, -5
	s_cmp_eq_u32 s12, 1
	s_delay_alu instid0(VALU_DEP_1)
	v_cndmask_b32_e32 v26, v26, v12, vcc_lo
	s_cselect_b32 s1, -1, 0
	s_cmp_eq_u32 s12, 2
	v_cndmask_b32_e64 v34, v8, v9, s1
	s_cselect_b32 vcc_lo, -1, 0
	s_cmp_eq_u32 s12, 3
	v_fmac_f32_e32 v13, v26, v27
	s_delay_alu instid0(VALU_DEP_2) | instskip(SKIP_2) | instid1(VALU_DEP_1)
	v_cndmask_b32_e32 v34, v34, v10, vcc_lo
	s_cselect_b32 vcc_lo, -1, 0
	s_cmp_eq_u32 s12, 4
	v_cndmask_b32_e32 v26, v34, v11, vcc_lo
	s_cselect_b32 vcc_lo, -1, 0
	s_add_co_i32 s12, s2, -4
	s_delay_alu instid0(SALU_CYCLE_1) | instskip(NEXT) | instid1(VALU_DEP_1)
	s_cmp_eq_u32 s12, 1
	v_cndmask_b32_e32 v26, v26, v12, vcc_lo
	s_cselect_b32 s1, -1, 0
	s_cmp_eq_u32 s12, 2
	v_cndmask_b32_e64 v27, v8, v9, s1
	s_cselect_b32 vcc_lo, -1, 0
	s_cmp_eq_u32 s12, 3
	s_delay_alu instid0(VALU_DEP_1) | instskip(SKIP_2) | instid1(VALU_DEP_1)
	v_cndmask_b32_e32 v27, v27, v10, vcc_lo
	s_cselect_b32 vcc_lo, -1, 0
	s_cmp_eq_u32 s12, 4
	v_dual_fmac_f32 v13, v26, v28 :: v_dual_cndmask_b32 v26, v27, v11
	s_cselect_b32 vcc_lo, -1, 0
	s_add_co_i32 s12, s2, -3
	s_delay_alu instid0(SALU_CYCLE_1)
	s_cmp_eq_u32 s12, 1
	s_cselect_b32 s1, -1, 0
	s_cmp_eq_u32 s12, 2
	v_dual_cndmask_b32 v27, v8, v9, s1 :: v_dual_cndmask_b32 v26, v26, v12, vcc_lo
	s_cselect_b32 vcc_lo, -1, 0
	s_cmp_eq_u32 s12, 3
	s_delay_alu instid0(VALU_DEP_1) | instskip(SKIP_2) | instid1(VALU_DEP_1)
	v_cndmask_b32_e32 v27, v27, v10, vcc_lo
	s_cselect_b32 vcc_lo, -1, 0
	s_cmp_eq_u32 s12, 4
	v_dual_fmac_f32 v13, v26, v29 :: v_dual_cndmask_b32 v26, v27, v11
	s_cselect_b32 vcc_lo, -1, 0
	s_add_co_i32 s12, s2, -2
	s_delay_alu instid0(SALU_CYCLE_1) | instskip(NEXT) | instid1(VALU_DEP_1)
	s_cmp_eq_u32 s12, 1
	v_cndmask_b32_e32 v26, v26, v12, vcc_lo
	s_cselect_b32 s1, -1, 0
	s_cmp_eq_u32 s12, 2
	v_cndmask_b32_e64 v27, v8, v9, s1
	s_cselect_b32 vcc_lo, -1, 0
	s_cmp_eq_u32 s12, 3
	s_delay_alu instid0(VALU_DEP_1) | instskip(SKIP_3) | instid1(VALU_DEP_1)
	v_cndmask_b32_e32 v27, v27, v10, vcc_lo
	s_cselect_b32 vcc_lo, -1, 0
	s_cmp_eq_u32 s12, 4
	s_wait_dscnt 0x0
	v_dual_fmac_f32 v13, v26, v30 :: v_dual_cndmask_b32 v26, v27, v11
	s_cselect_b32 vcc_lo, -1, 0
	s_add_co_i32 s12, s2, -1
	s_delay_alu instid0(SALU_CYCLE_1) | instskip(NEXT) | instid1(VALU_DEP_1)
	s_cmp_eq_u32 s12, 1
	v_cndmask_b32_e32 v26, v26, v12, vcc_lo
	s_cselect_b32 s1, -1, 0
	s_cmp_eq_u32 s12, 2
	v_cndmask_b32_e64 v27, v8, v9, s1
	s_cselect_b32 vcc_lo, -1, 0
	v_fmac_f32_e32 v13, v26, v31
	s_cmp_eq_u32 s12, 3
	s_delay_alu instid0(VALU_DEP_2) | instskip(SKIP_2) | instid1(VALU_DEP_1)
	v_cndmask_b32_e32 v27, v27, v10, vcc_lo
	s_cselect_b32 vcc_lo, -1, 0
	s_cmp_eq_u32 s12, 4
	v_cndmask_b32_e32 v26, v27, v11, vcc_lo
	s_cselect_b32 vcc_lo, -1, 0
	s_cmp_eq_u32 s2, 1
	s_cselect_b32 s1, -1, 0
	s_cmp_eq_u32 s2, 2
	v_cndmask_b32_e64 v27, v8, v9, s1
	s_cselect_b32 s1, -1, 0
	s_cmp_eq_u32 s2, 3
	v_cndmask_b32_e32 v26, v26, v12, vcc_lo
	s_cselect_b32 vcc_lo, -1, 0
	s_cmp_eq_u32 s2, 4
	s_add_nc_u64 s[2:3], s[2:3], 8
	s_delay_alu instid0(SALU_CYCLE_1) | instskip(NEXT) | instid1(VALU_DEP_1)
	v_dual_cndmask_b32 v27, v27, v10, s1 :: v_dual_add_nc_u32 v28, s2, v24
	v_dual_fmac_f32 v13, v26, v32 :: v_dual_cndmask_b32 v27, v27, v11, vcc_lo
	s_cselect_b32 vcc_lo, -1, 0
	s_add_co_i32 s1, s2, -7
	s_add_co_i32 s11, s11, 32
	s_delay_alu instid0(VALU_DEP_1) | instskip(SKIP_1) | instid1(VALU_DEP_2)
	v_dual_mov_b32 v26, s1 :: v_dual_cndmask_b32 v27, v27, v12
	v_cmp_eq_u32_e32 vcc_lo, 9, v28
	v_fmac_f32_e32 v13, v27, v33
	s_or_b32 s10, vcc_lo, s10
	s_delay_alu instid0(SALU_CYCLE_1)
	s_and_not1_b32 exec_lo, exec_lo, s10
	s_cbranch_execnz .LBB4_25
; %bb.26:
	s_or_b32 exec_lo, exec_lo, s10
.LBB4_27:
	s_delay_alu instid0(SALU_CYCLE_1) | instskip(SKIP_3) | instid1(VALU_DEP_1)
	s_or_b32 exec_lo, exec_lo, s9
	v_and_b32_e32 v24, 7, v25
	s_mov_b32 s2, 0
	s_mov_b32 s1, exec_lo
	v_cmpx_ne_u32_e32 0, v24
	s_cbranch_execz .LBB4_31
; %bb.28:
	v_lshl_add_u32 v25, v26, 2, 32
	v_mov_b32_e32 v27, 0
.LBB4_29:                               ; =>This Inner Loop Header: Depth=1
	v_cmp_eq_u32_e32 vcc_lo, 1, v26
	ds_load_b32 v29, v25
	v_dual_add_nc_u32 v24, -1, v24 :: v_dual_add_nc_u32 v25, 4, v25
	v_cndmask_b32_e32 v28, v8, v9, vcc_lo
	v_cmp_eq_u32_e32 vcc_lo, 2, v26
	s_delay_alu instid0(VALU_DEP_2) | instskip(SKIP_1) | instid1(VALU_DEP_2)
	v_cndmask_b32_e32 v28, v28, v10, vcc_lo
	v_cmp_eq_u32_e32 vcc_lo, 3, v26
	v_cndmask_b32_e32 v28, v28, v11, vcc_lo
	v_cmp_eq_u32_e32 vcc_lo, 4, v26
	v_add_nc_u64_e32 v[26:27], 1, v[26:27]
	s_delay_alu instid0(VALU_DEP_3) | instskip(SKIP_2) | instid1(VALU_DEP_2)
	v_cndmask_b32_e32 v28, v28, v12, vcc_lo
	v_cmp_eq_u32_e32 vcc_lo, 0, v24
	s_wait_dscnt 0x0
	v_fmac_f32_e32 v13, v28, v29
	s_or_b32 s2, vcc_lo, s2
	s_delay_alu instid0(SALU_CYCLE_1)
	s_and_not1_b32 exec_lo, exec_lo, s2
	s_cbranch_execnz .LBB4_29
; %bb.30:
	s_or_b32 exec_lo, exec_lo, s2
.LBB4_31:
	s_delay_alu instid0(SALU_CYCLE_1)
	s_or_b32 exec_lo, exec_lo, s1
.LBB4_32:
	s_delay_alu instid0(SALU_CYCLE_1)
	s_or_b32 exec_lo, exec_lo, s8
	v_mov_b32_e32 v9, 0
	ds_load_b32 v9, v9 offset:4
	s_wait_dscnt 0x0
	v_mul_f32_e32 v9, v13, v9
.LBB4_33:
	s_or_b32 exec_lo, exec_lo, s4
	s_mov_b32 s1, 0
	s_mov_b32 s4, exec_lo
	ds_store_b32 v7, v8
	s_wait_dscnt 0x0
	s_barrier_signal -1
	s_barrier_wait -1
	v_cmpx_ne_u32_e32 0, v0
	s_cbranch_execz .LBB4_49
; %bb.34:
	s_and_not1_b32 vcc_lo, exec_lo, s5
	s_cbranch_vccnz .LBB4_36
; %bb.35:
	v_cmp_eq_u32_e32 vcc_lo, 1, v0
	ds_load_b32 v24, v7
	v_cndmask_b32_e32 v13, v8, v9, vcc_lo
	v_cmp_eq_u32_e32 vcc_lo, 2, v0
	s_delay_alu instid0(VALU_DEP_2) | instskip(SKIP_1) | instid1(VALU_DEP_2)
	v_cndmask_b32_e32 v13, v13, v10, vcc_lo
	v_cmp_eq_u32_e32 vcc_lo, 3, v0
	v_cndmask_b32_e32 v13, v13, v11, vcc_lo
	v_cmp_eq_u32_e32 vcc_lo, 4, v0
	s_delay_alu instid0(VALU_DEP_2) | instskip(SKIP_1) | instid1(VALU_DEP_1)
	v_cndmask_b32_e32 v13, v13, v12, vcc_lo
	s_wait_dscnt 0x0
	v_mul_f32_e32 v13, v13, v24
	s_cbranch_execz .LBB4_37
	s_branch .LBB4_38
.LBB4_36:
                                        ; implicit-def: $vgpr13
.LBB4_37:
	ds_load_b32 v13, v7
.LBB4_38:
	s_and_saveexec_b32 s8, s0
	s_cbranch_execz .LBB4_48
; %bb.39:
	v_dual_add_nc_u32 v24, -2, v0 :: v_dual_add_nc_u32 v25, -1, v0
	v_mov_b32_e32 v26, 1
	s_mov_b32 s9, exec_lo
	s_delay_alu instid0(VALU_DEP_2)
	v_cmpx_lt_u32_e32 6, v24
	s_cbranch_execz .LBB4_43
; %bb.40:
	v_and_b32_e32 v24, -8, v25
	s_mov_b32 s10, 0
	s_mov_b64 s[2:3], 8
	s_mov_b32 s11, 36
	s_delay_alu instid0(VALU_DEP_1)
	v_sub_nc_u32_e32 v24, 0, v24
.LBB4_41:                               ; =>This Inner Loop Header: Depth=1
	s_add_co_i32 s0, s2, -7
	s_delay_alu instid0(SALU_CYCLE_1) | instskip(SKIP_1) | instid1(SALU_CYCLE_1)
	s_cmp_eq_u32 s0, 1
	s_cselect_b32 vcc_lo, -1, 0
	v_dual_mov_b32 v32, s11 :: v_dual_cndmask_b32 v34, v8, v9, vcc_lo
	s_cmp_eq_u32 s0, 2
	ds_load_2addr_b32 v[26:27], v32 offset1:1
	ds_load_2addr_b32 v[28:29], v32 offset0:2 offset1:3
	ds_load_2addr_b32 v[30:31], v32 offset0:4 offset1:5
	;; [unrolled: 1-line block ×3, first 2 shown]
	s_cselect_b32 vcc_lo, -1, 0
	s_cmp_eq_u32 s0, 3
	v_cndmask_b32_e32 v34, v34, v10, vcc_lo
	s_cselect_b32 vcc_lo, -1, 0
	s_cmp_eq_u32 s0, 4
	s_delay_alu instid0(VALU_DEP_1) | instskip(SKIP_2) | instid1(SALU_CYCLE_1)
	v_cndmask_b32_e32 v34, v34, v11, vcc_lo
	s_cselect_b32 vcc_lo, -1, 0
	s_add_co_i32 s12, s2, -6
	s_cmp_eq_u32 s12, 1
	s_delay_alu instid0(VALU_DEP_1)
	v_cndmask_b32_e32 v34, v34, v12, vcc_lo
	s_cselect_b32 s0, -1, 0
	s_cmp_eq_u32 s12, 2
	v_cndmask_b32_e64 v35, v8, v9, s0
	s_cselect_b32 vcc_lo, -1, 0
	s_cmp_eq_u32 s12, 3
	s_wait_dscnt 0x3
	v_fmac_f32_e32 v13, v34, v26
	v_cndmask_b32_e32 v35, v35, v10, vcc_lo
	s_cselect_b32 vcc_lo, -1, 0
	s_cmp_eq_u32 s12, 4
	s_delay_alu instid0(VALU_DEP_1) | instskip(SKIP_2) | instid1(SALU_CYCLE_1)
	v_cndmask_b32_e32 v26, v35, v11, vcc_lo
	s_cselect_b32 vcc_lo, -1, 0
	s_add_co_i32 s12, s2, -5
	s_cmp_eq_u32 s12, 1
	s_delay_alu instid0(VALU_DEP_1)
	v_cndmask_b32_e32 v26, v26, v12, vcc_lo
	s_cselect_b32 s0, -1, 0
	s_cmp_eq_u32 s12, 2
	v_cndmask_b32_e64 v34, v8, v9, s0
	s_cselect_b32 vcc_lo, -1, 0
	s_cmp_eq_u32 s12, 3
	v_fmac_f32_e32 v13, v26, v27
	s_delay_alu instid0(VALU_DEP_2) | instskip(SKIP_2) | instid1(VALU_DEP_1)
	v_cndmask_b32_e32 v34, v34, v10, vcc_lo
	s_cselect_b32 vcc_lo, -1, 0
	s_cmp_eq_u32 s12, 4
	v_cndmask_b32_e32 v26, v34, v11, vcc_lo
	s_cselect_b32 vcc_lo, -1, 0
	s_add_co_i32 s12, s2, -4
	s_delay_alu instid0(SALU_CYCLE_1) | instskip(NEXT) | instid1(VALU_DEP_1)
	s_cmp_eq_u32 s12, 1
	v_cndmask_b32_e32 v26, v26, v12, vcc_lo
	s_cselect_b32 s0, -1, 0
	s_cmp_eq_u32 s12, 2
	v_cndmask_b32_e64 v27, v8, v9, s0
	s_cselect_b32 vcc_lo, -1, 0
	s_cmp_eq_u32 s12, 3
	s_delay_alu instid0(VALU_DEP_1) | instskip(SKIP_3) | instid1(VALU_DEP_1)
	v_cndmask_b32_e32 v27, v27, v10, vcc_lo
	s_cselect_b32 vcc_lo, -1, 0
	s_cmp_eq_u32 s12, 4
	s_wait_dscnt 0x2
	v_dual_fmac_f32 v13, v26, v28 :: v_dual_cndmask_b32 v26, v27, v11
	s_cselect_b32 vcc_lo, -1, 0
	s_add_co_i32 s12, s2, -3
	s_delay_alu instid0(SALU_CYCLE_1)
	s_cmp_eq_u32 s12, 1
	s_cselect_b32 s0, -1, 0
	s_cmp_eq_u32 s12, 2
	v_dual_cndmask_b32 v27, v8, v9, s0 :: v_dual_cndmask_b32 v26, v26, v12, vcc_lo
	s_cselect_b32 vcc_lo, -1, 0
	s_cmp_eq_u32 s12, 3
	s_delay_alu instid0(VALU_DEP_1) | instskip(SKIP_2) | instid1(VALU_DEP_1)
	v_cndmask_b32_e32 v27, v27, v10, vcc_lo
	s_cselect_b32 vcc_lo, -1, 0
	s_cmp_eq_u32 s12, 4
	v_dual_fmac_f32 v13, v26, v29 :: v_dual_cndmask_b32 v26, v27, v11
	s_cselect_b32 vcc_lo, -1, 0
	s_add_co_i32 s12, s2, -2
	s_delay_alu instid0(SALU_CYCLE_1) | instskip(NEXT) | instid1(VALU_DEP_1)
	s_cmp_eq_u32 s12, 1
	v_cndmask_b32_e32 v26, v26, v12, vcc_lo
	s_cselect_b32 s0, -1, 0
	s_cmp_eq_u32 s12, 2
	v_cndmask_b32_e64 v27, v8, v9, s0
	s_cselect_b32 vcc_lo, -1, 0
	s_cmp_eq_u32 s12, 3
	s_delay_alu instid0(VALU_DEP_1) | instskip(SKIP_3) | instid1(VALU_DEP_1)
	v_cndmask_b32_e32 v27, v27, v10, vcc_lo
	s_cselect_b32 vcc_lo, -1, 0
	s_cmp_eq_u32 s12, 4
	s_wait_dscnt 0x1
	v_dual_fmac_f32 v13, v26, v30 :: v_dual_cndmask_b32 v26, v27, v11
	s_cselect_b32 vcc_lo, -1, 0
	s_add_co_i32 s12, s2, -1
	s_delay_alu instid0(SALU_CYCLE_1) | instskip(NEXT) | instid1(VALU_DEP_1)
	s_cmp_eq_u32 s12, 1
	v_cndmask_b32_e32 v26, v26, v12, vcc_lo
	s_cselect_b32 s0, -1, 0
	s_cmp_eq_u32 s12, 2
	v_cndmask_b32_e64 v27, v8, v9, s0
	s_cselect_b32 vcc_lo, -1, 0
	v_fmac_f32_e32 v13, v26, v31
	s_cmp_eq_u32 s12, 3
	s_delay_alu instid0(VALU_DEP_2) | instskip(SKIP_2) | instid1(VALU_DEP_1)
	v_cndmask_b32_e32 v27, v27, v10, vcc_lo
	s_cselect_b32 vcc_lo, -1, 0
	s_cmp_eq_u32 s12, 4
	v_cndmask_b32_e32 v26, v27, v11, vcc_lo
	s_cselect_b32 vcc_lo, -1, 0
	s_cmp_eq_u32 s2, 1
	s_cselect_b32 s0, -1, 0
	s_cmp_eq_u32 s2, 2
	v_cndmask_b32_e64 v27, v8, v9, s0
	s_cselect_b32 s0, -1, 0
	s_cmp_eq_u32 s2, 3
	v_cndmask_b32_e32 v26, v26, v12, vcc_lo
	s_cselect_b32 vcc_lo, -1, 0
	s_cmp_eq_u32 s2, 4
	s_add_nc_u64 s[2:3], s[2:3], 8
	s_delay_alu instid0(SALU_CYCLE_1) | instskip(SKIP_1) | instid1(VALU_DEP_1)
	v_dual_cndmask_b32 v27, v27, v10, s0 :: v_dual_add_nc_u32 v28, s2, v24
	s_wait_dscnt 0x0
	v_dual_fmac_f32 v13, v26, v32 :: v_dual_cndmask_b32 v27, v27, v11, vcc_lo
	s_cselect_b32 vcc_lo, -1, 0
	s_add_co_i32 s0, s2, -7
	s_add_co_i32 s11, s11, 32
	s_delay_alu instid0(VALU_DEP_1) | instskip(SKIP_1) | instid1(VALU_DEP_2)
	v_dual_mov_b32 v26, s0 :: v_dual_cndmask_b32 v27, v27, v12
	v_cmp_eq_u32_e32 vcc_lo, 8, v28
	v_fmac_f32_e32 v13, v27, v33
	s_or_b32 s10, vcc_lo, s10
	s_delay_alu instid0(SALU_CYCLE_1)
	s_and_not1_b32 exec_lo, exec_lo, s10
	s_cbranch_execnz .LBB4_41
; %bb.42:
	s_or_b32 exec_lo, exec_lo, s10
.LBB4_43:
	s_delay_alu instid0(SALU_CYCLE_1) | instskip(SKIP_3) | instid1(VALU_DEP_1)
	s_or_b32 exec_lo, exec_lo, s9
	v_and_b32_e32 v24, 7, v25
	s_mov_b32 s2, 0
	s_mov_b32 s0, exec_lo
	v_cmpx_ne_u32_e32 0, v24
	s_cbranch_execz .LBB4_47
; %bb.44:
	v_lshl_add_u32 v25, v26, 2, 32
	v_mov_b32_e32 v27, 0
.LBB4_45:                               ; =>This Inner Loop Header: Depth=1
	v_cmp_eq_u32_e32 vcc_lo, 1, v26
	ds_load_b32 v29, v25
	v_dual_add_nc_u32 v24, -1, v24 :: v_dual_add_nc_u32 v25, 4, v25
	v_cndmask_b32_e32 v28, v8, v9, vcc_lo
	v_cmp_eq_u32_e32 vcc_lo, 2, v26
	s_delay_alu instid0(VALU_DEP_2) | instskip(SKIP_1) | instid1(VALU_DEP_2)
	v_cndmask_b32_e32 v28, v28, v10, vcc_lo
	v_cmp_eq_u32_e32 vcc_lo, 3, v26
	v_cndmask_b32_e32 v28, v28, v11, vcc_lo
	v_cmp_eq_u32_e32 vcc_lo, 4, v26
	v_add_nc_u64_e32 v[26:27], 1, v[26:27]
	s_delay_alu instid0(VALU_DEP_3) | instskip(SKIP_2) | instid1(VALU_DEP_2)
	v_cndmask_b32_e32 v28, v28, v12, vcc_lo
	v_cmp_eq_u32_e32 vcc_lo, 0, v24
	s_wait_dscnt 0x0
	v_fmac_f32_e32 v13, v28, v29
	s_or_b32 s2, vcc_lo, s2
	s_delay_alu instid0(SALU_CYCLE_1)
	s_and_not1_b32 exec_lo, exec_lo, s2
	s_cbranch_execnz .LBB4_45
; %bb.46:
	s_or_b32 exec_lo, exec_lo, s2
.LBB4_47:
	s_delay_alu instid0(SALU_CYCLE_1)
	s_or_b32 exec_lo, exec_lo, s0
.LBB4_48:
	s_delay_alu instid0(SALU_CYCLE_1)
	s_or_b32 exec_lo, exec_lo, s8
	v_mov_b32_e32 v8, 0
	ds_load_b32 v8, v8
	s_wait_dscnt 0x0
	v_mul_f32_e32 v8, v13, v8
.LBB4_49:
	s_or_b32 exec_lo, exec_lo, s4
	s_delay_alu instid0(SALU_CYCLE_1)
	s_and_b32 vcc_lo, exec_lo, s1
	s_cbranch_vccz .LBB4_81
.LBB4_50:
	v_cmp_eq_u32_e64 s0, 0, v0
	s_wait_loadcnt 0x3
	ds_store_b32 v7, v3
	s_wait_loadcnt_dscnt 0x0
	s_barrier_signal -1
	s_barrier_wait -1
	s_and_saveexec_b32 s1, s0
	s_cbranch_execz .LBB4_56
; %bb.51:
	s_and_b32 vcc_lo, exec_lo, s5
	s_cbranch_vccz .LBB4_53
; %bb.52:
	v_cmp_eq_u32_e32 vcc_lo, 1, v0
	ds_load_b32 v8, v7
	v_cndmask_b32_e32 v3, v2, v3, vcc_lo
	v_cmp_eq_u32_e32 vcc_lo, 2, v0
	s_delay_alu instid0(VALU_DEP_2) | instskip(SKIP_1) | instid1(VALU_DEP_2)
	v_cndmask_b32_e32 v3, v3, v4, vcc_lo
	v_cmp_eq_u32_e32 vcc_lo, 3, v0
	v_cndmask_b32_e32 v3, v3, v5, vcc_lo
	v_cmp_eq_u32_e32 vcc_lo, 4, v0
	s_delay_alu instid0(VALU_DEP_2) | instskip(SKIP_1) | instid1(VALU_DEP_1)
	v_cndmask_b32_e32 v3, v3, v6, vcc_lo
	s_wait_dscnt 0x0
	v_mul_f32_e32 v3, v3, v8
	s_cbranch_execz .LBB4_54
	s_branch .LBB4_55
.LBB4_53:
                                        ; implicit-def: $vgpr3
.LBB4_54:
	ds_load_b32 v3, v7
.LBB4_55:
	v_mov_b32_e32 v8, 0
	ds_load_b32 v8, v8 offset:4
	s_wait_dscnt 0x0
	v_mul_f32_e32 v3, v3, v8
.LBB4_56:
	s_or_b32 exec_lo, exec_lo, s1
	v_cndmask_b32_e64 v8, 0, 1, s5
	s_mov_b32 s1, exec_lo
	ds_store_b32 v7, v4
	s_wait_dscnt 0x0
	s_barrier_signal -1
	s_barrier_wait -1
	v_cmpx_gt_u32_e32 2, v0
	s_cbranch_execz .LBB4_62
; %bb.57:
	s_and_not1_b32 vcc_lo, exec_lo, s5
	s_cbranch_vccnz .LBB4_59
; %bb.58:
	v_cmp_eq_u32_e32 vcc_lo, 1, v0
	ds_load_b32 v10, v7
	v_cndmask_b32_e32 v9, v2, v3, vcc_lo
	v_cmp_eq_u32_e32 vcc_lo, 2, v0
	s_delay_alu instid0(VALU_DEP_2) | instskip(SKIP_1) | instid1(VALU_DEP_2)
	v_cndmask_b32_e32 v4, v9, v4, vcc_lo
	v_cmp_eq_u32_e32 vcc_lo, 3, v0
	v_cndmask_b32_e32 v4, v4, v5, vcc_lo
	v_cmp_eq_u32_e32 vcc_lo, 4, v0
	s_delay_alu instid0(VALU_DEP_2) | instskip(SKIP_1) | instid1(VALU_DEP_1)
	v_cndmask_b32_e32 v4, v4, v6, vcc_lo
	s_wait_dscnt 0x0
	v_mul_f32_e32 v4, v4, v10
	s_cbranch_execz .LBB4_60
	s_branch .LBB4_61
.LBB4_59:
                                        ; implicit-def: $vgpr4
.LBB4_60:
	ds_load_b32 v4, v7
.LBB4_61:
	v_mov_b32_e32 v9, 0
	ds_load_2addr_b32 v[10:11], v9 offset0:2 offset1:9
	s_wait_dscnt 0x0
	v_fma_f32 v9, v3, v11, v4
	s_delay_alu instid0(VALU_DEP_1) | instskip(NEXT) | instid1(VALU_DEP_1)
	v_cndmask_b32_e64 v4, v4, v9, s0
	v_mul_f32_e32 v4, v4, v10
.LBB4_62:
	s_or_b32 exec_lo, exec_lo, s1
	v_cmp_gt_u32_e64 s1, 3, v0
	ds_store_b32 v7, v5
	s_wait_dscnt 0x0
	s_barrier_signal -1
	s_barrier_wait -1
	s_and_saveexec_b32 s2, s1
	s_cbranch_execz .LBB4_70
; %bb.63:
	v_cmp_ne_u32_e32 vcc_lo, 1, v8
	s_cbranch_vccnz .LBB4_65
; %bb.64:
	v_cmp_eq_u32_e32 vcc_lo, 1, v0
	ds_load_b32 v10, v7
	v_cndmask_b32_e32 v9, v2, v3, vcc_lo
	v_cmp_eq_u32_e32 vcc_lo, 2, v0
	s_delay_alu instid0(VALU_DEP_2) | instskip(SKIP_1) | instid1(VALU_DEP_2)
	v_cndmask_b32_e32 v9, v9, v4, vcc_lo
	v_cmp_eq_u32_e32 vcc_lo, 3, v0
	v_cndmask_b32_e32 v9, v9, v5, vcc_lo
	v_cmp_eq_u32_e32 vcc_lo, 4, v0
	s_delay_alu instid0(VALU_DEP_2) | instskip(SKIP_1) | instid1(VALU_DEP_1)
	v_cndmask_b32_e32 v9, v9, v6, vcc_lo
	s_wait_dscnt 0x0
	v_mul_f32_e32 v9, v9, v10
	s_cbranch_execz .LBB4_66
	s_branch .LBB4_67
.LBB4_65:
                                        ; implicit-def: $vgpr9
.LBB4_66:
	ds_load_b32 v9, v7
.LBB4_67:
	s_mov_b32 s3, exec_lo
	v_cmpx_ne_u32_e32 2, v0
	s_cbranch_execz .LBB4_69
; %bb.68:
	v_add_nc_u32_e32 v10, 1, v0
	ds_load_b32 v11, v7 offset:4
	v_cmp_eq_u32_e32 vcc_lo, 1, v10
	v_cndmask_b32_e32 v12, v2, v3, vcc_lo
	v_cmp_eq_u32_e32 vcc_lo, 2, v10
	s_delay_alu instid0(VALU_DEP_2) | instskip(SKIP_4) | instid1(VALU_DEP_2)
	v_dual_mov_b32 v13, 0 :: v_dual_cndmask_b32 v12, v12, v4
	ds_load_b32 v13, v13 offset:40
	v_cmp_eq_u32_e32 vcc_lo, 3, v10
	v_cndmask_b32_e32 v5, v12, v5, vcc_lo
	v_cmp_eq_u32_e32 vcc_lo, 4, v10
	v_cndmask_b32_e32 v5, v5, v6, vcc_lo
	s_wait_dscnt 0x1
	s_delay_alu instid0(VALU_DEP_1) | instskip(SKIP_1) | instid1(VALU_DEP_1)
	v_fmac_f32_e32 v9, v5, v11
	s_wait_dscnt 0x0
	v_fma_f32 v5, v4, v13, v9
	s_delay_alu instid0(VALU_DEP_1)
	v_cndmask_b32_e64 v9, v9, v5, s0
.LBB4_69:
	s_or_b32 exec_lo, exec_lo, s3
	v_mov_b32_e32 v5, 0
	ds_load_b32 v5, v5 offset:12
	s_wait_dscnt 0x0
	v_mul_f32_e32 v5, v9, v5
.LBB4_70:
	s_or_b32 exec_lo, exec_lo, s2
	s_delay_alu instid0(SALU_CYCLE_1)
	s_mov_b32 s0, exec_lo
	ds_store_b32 v7, v6
	s_wait_dscnt 0x0
	s_barrier_signal -1
	s_barrier_wait -1
	v_cmpx_ne_u32_e32 4, v0
	s_cbranch_execz .LBB4_80
; %bb.71:
	v_cmp_ne_u32_e32 vcc_lo, 1, v8
	s_cbranch_vccnz .LBB4_73
; %bb.72:
	v_cmp_eq_u32_e32 vcc_lo, 1, v0
	ds_load_b32 v9, v7
	v_cndmask_b32_e32 v8, v2, v3, vcc_lo
	v_cmp_eq_u32_e32 vcc_lo, 2, v0
	s_delay_alu instid0(VALU_DEP_2) | instskip(SKIP_1) | instid1(VALU_DEP_2)
	v_cndmask_b32_e32 v8, v8, v4, vcc_lo
	v_cmp_eq_u32_e32 vcc_lo, 3, v0
	v_cndmask_b32_e32 v8, v8, v5, vcc_lo
	v_cmp_eq_u32_e32 vcc_lo, 4, v0
	s_delay_alu instid0(VALU_DEP_2) | instskip(SKIP_1) | instid1(VALU_DEP_1)
	v_cndmask_b32_e32 v8, v8, v6, vcc_lo
	s_wait_dscnt 0x0
	v_mul_f32_e32 v8, v8, v9
	s_cbranch_execz .LBB4_74
	s_branch .LBB4_75
.LBB4_73:
                                        ; implicit-def: $vgpr8
.LBB4_74:
	ds_load_b32 v8, v7
.LBB4_75:
	s_and_saveexec_b32 s2, s1
	s_cbranch_execz .LBB4_79
; %bb.76:
	v_lshl_add_u32 v7, v0, 2, 36
	s_mov_b32 s1, 0
.LBB4_77:                               ; =>This Inner Loop Header: Depth=1
	v_add_nc_u64_e32 v[0:1], 1, v[0:1]
	ds_load_b32 v9, v7
	v_add_nc_u32_e32 v7, 4, v7
	v_cmp_eq_u32_e32 vcc_lo, 1, v0
	v_cndmask_b32_e32 v10, v2, v3, vcc_lo
	v_cmp_eq_u32_e32 vcc_lo, 2, v0
	s_delay_alu instid0(VALU_DEP_2) | instskip(SKIP_1) | instid1(VALU_DEP_2)
	v_cndmask_b32_e32 v10, v10, v4, vcc_lo
	v_cmp_eq_u32_e32 vcc_lo, 3, v0
	v_cndmask_b32_e32 v10, v10, v5, vcc_lo
	v_cmp_eq_u32_e32 vcc_lo, 4, v0
	s_delay_alu instid0(VALU_DEP_2) | instskip(SKIP_2) | instid1(VALU_DEP_2)
	v_cndmask_b32_e32 v10, v10, v6, vcc_lo
	v_cmp_lt_u32_e32 vcc_lo, 2, v0
	s_wait_dscnt 0x0
	v_fmac_f32_e32 v8, v10, v9
	s_or_b32 s1, vcc_lo, s1
	s_delay_alu instid0(SALU_CYCLE_1)
	s_and_not1_b32 exec_lo, exec_lo, s1
	s_cbranch_execnz .LBB4_77
; %bb.78:
	s_or_b32 exec_lo, exec_lo, s1
.LBB4_79:
	s_delay_alu instid0(SALU_CYCLE_1)
	s_or_b32 exec_lo, exec_lo, s2
	v_mov_b32_e32 v0, 0
	ds_load_b32 v0, v0 offset:16
	s_wait_dscnt 0x0
	v_mul_f32_e32 v6, v8, v0
.LBB4_80:
	s_or_b32 exec_lo, exec_lo, s0
	s_delay_alu instid0(VALU_DEP_1)
	v_dual_mov_b32 v12, v6 :: v_dual_mov_b32 v11, v5
	v_dual_mov_b32 v10, v4 :: v_dual_mov_b32 v9, v3
	v_mov_b32_e32 v8, v2
.LBB4_81:
	s_wait_xcnt 0x4
	v_lshl_add_u64 v[0:1], v[18:19], 2, s[6:7]
	s_wait_loadcnt 0x3
	v_lshl_add_u64 v[2:3], v[20:21], 2, s[6:7]
	s_wait_loadcnt 0x1
	v_lshl_add_u64 v[4:5], v[22:23], 2, s[6:7]
	s_clause 0x4
	global_store_b32 v[14:15], v8, off
	global_store_b32 v[16:17], v9, off
	;; [unrolled: 1-line block ×5, first 2 shown]
.LBB4_82:
	s_endpgm
	.section	.rodata,"a",@progbits
	.p2align	6, 0x0
	.amdhsa_kernel _ZN9rocsolver6v33100L18trti2_kernel_smallILi5EfPfEEv13rocblas_fill_17rocblas_diagonal_T1_iil
		.amdhsa_group_segment_fixed_size 52
		.amdhsa_private_segment_fixed_size 0
		.amdhsa_kernarg_size 32
		.amdhsa_user_sgpr_count 2
		.amdhsa_user_sgpr_dispatch_ptr 0
		.amdhsa_user_sgpr_queue_ptr 0
		.amdhsa_user_sgpr_kernarg_segment_ptr 1
		.amdhsa_user_sgpr_dispatch_id 0
		.amdhsa_user_sgpr_kernarg_preload_length 0
		.amdhsa_user_sgpr_kernarg_preload_offset 0
		.amdhsa_user_sgpr_private_segment_size 0
		.amdhsa_wavefront_size32 1
		.amdhsa_uses_dynamic_stack 0
		.amdhsa_enable_private_segment 0
		.amdhsa_system_sgpr_workgroup_id_x 1
		.amdhsa_system_sgpr_workgroup_id_y 0
		.amdhsa_system_sgpr_workgroup_id_z 0
		.amdhsa_system_sgpr_workgroup_info 0
		.amdhsa_system_vgpr_workitem_id 0
		.amdhsa_next_free_vgpr 36
		.amdhsa_next_free_sgpr 16
		.amdhsa_named_barrier_count 0
		.amdhsa_reserve_vcc 1
		.amdhsa_float_round_mode_32 0
		.amdhsa_float_round_mode_16_64 0
		.amdhsa_float_denorm_mode_32 3
		.amdhsa_float_denorm_mode_16_64 3
		.amdhsa_fp16_overflow 0
		.amdhsa_memory_ordered 1
		.amdhsa_forward_progress 1
		.amdhsa_inst_pref_size 30
		.amdhsa_round_robin_scheduling 0
		.amdhsa_exception_fp_ieee_invalid_op 0
		.amdhsa_exception_fp_denorm_src 0
		.amdhsa_exception_fp_ieee_div_zero 0
		.amdhsa_exception_fp_ieee_overflow 0
		.amdhsa_exception_fp_ieee_underflow 0
		.amdhsa_exception_fp_ieee_inexact 0
		.amdhsa_exception_int_div_zero 0
	.end_amdhsa_kernel
	.section	.text._ZN9rocsolver6v33100L18trti2_kernel_smallILi5EfPfEEv13rocblas_fill_17rocblas_diagonal_T1_iil,"axG",@progbits,_ZN9rocsolver6v33100L18trti2_kernel_smallILi5EfPfEEv13rocblas_fill_17rocblas_diagonal_T1_iil,comdat
.Lfunc_end4:
	.size	_ZN9rocsolver6v33100L18trti2_kernel_smallILi5EfPfEEv13rocblas_fill_17rocblas_diagonal_T1_iil, .Lfunc_end4-_ZN9rocsolver6v33100L18trti2_kernel_smallILi5EfPfEEv13rocblas_fill_17rocblas_diagonal_T1_iil
                                        ; -- End function
	.set _ZN9rocsolver6v33100L18trti2_kernel_smallILi5EfPfEEv13rocblas_fill_17rocblas_diagonal_T1_iil.num_vgpr, 36
	.set _ZN9rocsolver6v33100L18trti2_kernel_smallILi5EfPfEEv13rocblas_fill_17rocblas_diagonal_T1_iil.num_agpr, 0
	.set _ZN9rocsolver6v33100L18trti2_kernel_smallILi5EfPfEEv13rocblas_fill_17rocblas_diagonal_T1_iil.numbered_sgpr, 16
	.set _ZN9rocsolver6v33100L18trti2_kernel_smallILi5EfPfEEv13rocblas_fill_17rocblas_diagonal_T1_iil.num_named_barrier, 0
	.set _ZN9rocsolver6v33100L18trti2_kernel_smallILi5EfPfEEv13rocblas_fill_17rocblas_diagonal_T1_iil.private_seg_size, 0
	.set _ZN9rocsolver6v33100L18trti2_kernel_smallILi5EfPfEEv13rocblas_fill_17rocblas_diagonal_T1_iil.uses_vcc, 1
	.set _ZN9rocsolver6v33100L18trti2_kernel_smallILi5EfPfEEv13rocblas_fill_17rocblas_diagonal_T1_iil.uses_flat_scratch, 0
	.set _ZN9rocsolver6v33100L18trti2_kernel_smallILi5EfPfEEv13rocblas_fill_17rocblas_diagonal_T1_iil.has_dyn_sized_stack, 0
	.set _ZN9rocsolver6v33100L18trti2_kernel_smallILi5EfPfEEv13rocblas_fill_17rocblas_diagonal_T1_iil.has_recursion, 0
	.set _ZN9rocsolver6v33100L18trti2_kernel_smallILi5EfPfEEv13rocblas_fill_17rocblas_diagonal_T1_iil.has_indirect_call, 0
	.section	.AMDGPU.csdata,"",@progbits
; Kernel info:
; codeLenInByte = 3812
; TotalNumSgprs: 18
; NumVgprs: 36
; ScratchSize: 0
; MemoryBound: 0
; FloatMode: 240
; IeeeMode: 1
; LDSByteSize: 52 bytes/workgroup (compile time only)
; SGPRBlocks: 0
; VGPRBlocks: 2
; NumSGPRsForWavesPerEU: 18
; NumVGPRsForWavesPerEU: 36
; NamedBarCnt: 0
; Occupancy: 16
; WaveLimiterHint : 0
; COMPUTE_PGM_RSRC2:SCRATCH_EN: 0
; COMPUTE_PGM_RSRC2:USER_SGPR: 2
; COMPUTE_PGM_RSRC2:TRAP_HANDLER: 0
; COMPUTE_PGM_RSRC2:TGID_X_EN: 1
; COMPUTE_PGM_RSRC2:TGID_Y_EN: 0
; COMPUTE_PGM_RSRC2:TGID_Z_EN: 0
; COMPUTE_PGM_RSRC2:TIDIG_COMP_CNT: 0
	.section	.text._ZN9rocsolver6v33100L18trti2_kernel_smallILi6EfPfEEv13rocblas_fill_17rocblas_diagonal_T1_iil,"axG",@progbits,_ZN9rocsolver6v33100L18trti2_kernel_smallILi6EfPfEEv13rocblas_fill_17rocblas_diagonal_T1_iil,comdat
	.globl	_ZN9rocsolver6v33100L18trti2_kernel_smallILi6EfPfEEv13rocblas_fill_17rocblas_diagonal_T1_iil ; -- Begin function _ZN9rocsolver6v33100L18trti2_kernel_smallILi6EfPfEEv13rocblas_fill_17rocblas_diagonal_T1_iil
	.p2align	8
	.type	_ZN9rocsolver6v33100L18trti2_kernel_smallILi6EfPfEEv13rocblas_fill_17rocblas_diagonal_T1_iil,@function
_ZN9rocsolver6v33100L18trti2_kernel_smallILi6EfPfEEv13rocblas_fill_17rocblas_diagonal_T1_iil: ; @_ZN9rocsolver6v33100L18trti2_kernel_smallILi6EfPfEEv13rocblas_fill_17rocblas_diagonal_T1_iil
; %bb.0:
	s_mov_b32 s2, exec_lo
	v_cmpx_gt_u32_e32 6, v0
	s_cbranch_execz .LBB5_108
; %bb.1:
	s_load_b256 s[8:15], s[0:1], 0x0
	s_wait_xcnt 0x0
	s_bfe_u32 s0, ttmp6, 0x4000c
	s_and_b32 s1, ttmp6, 15
	s_add_co_i32 s0, s0, 1
	s_getreg_b32 s2, hwreg(HW_REG_IB_STS2, 6, 4)
	s_mul_i32 s0, ttmp9, s0
	v_dual_mov_b32 v1, 0 :: v_dual_lshlrev_b32 v8, 2, v0
	s_add_co_i32 s0, s1, s0
	s_wait_kmcnt 0x0
	s_ashr_i32 s1, s12, 31
	s_cmp_eq_u32 s2, 0
	v_add3_u32 v14, s13, s13, v0
	s_cselect_b32 s2, ttmp9, s0
	s_mov_b32 s0, s12
	s_ashr_i32 s3, s2, 31
	s_delay_alu instid0(VALU_DEP_1) | instskip(SKIP_3) | instid1(SALU_CYCLE_1)
	v_dual_mov_b32 v9, v1 :: v_dual_add_nc_u32 v20, s13, v14
	s_mul_u64 s[2:3], s[14:15], s[2:3]
	s_lshl_b64 s[0:1], s[0:1], 2
	s_lshl_b64 s[2:3], s[2:3], 2
	s_add_nc_u64 s[2:3], s[10:11], s[2:3]
	v_add_nc_u32_e32 v22, s13, v20
	s_add_nc_u64 s[6:7], s[2:3], s[0:1]
	s_mov_b32 s0, s13
	v_add_nc_u64_e32 v[16:17], s[6:7], v[8:9]
	s_ashr_i32 s1, s13, 31
	v_dual_mov_b32 v9, -1.0 :: v_dual_add_nc_u32 v24, s13, v22
	s_cmp_lg_u32 s9, 0x84
	s_cselect_b32 s10, -1, 0
	s_delay_alu instid0(VALU_DEP_2)
	v_lshl_add_u64 v[18:19], s[0:1], 2, v[16:17]
	v_cmp_eq_u32_e64 s0, 0, v0
	s_cmp_eq_u32 s9, 0x84
	s_clause 0x5
	global_load_b32 v2, v0, s[6:7] scale_offset
	global_load_b32 v3, v[18:19], off
	global_load_b32 v4, v14, s[6:7] scale_offset
	global_load_b32 v5, v20, s[6:7] scale_offset
	;; [unrolled: 1-line block ×4, first 2 shown]
	s_cbranch_scc1 .LBB5_3
; %bb.2:
	v_cmp_eq_u32_e64 s1, 1, v0
	v_cmp_eq_u32_e64 s2, 2, v0
	;; [unrolled: 1-line block ×5, first 2 shown]
	s_wait_loadcnt 0x4
	v_cndmask_b32_e64 v9, v2, v3, s1
	s_wait_loadcnt 0x3
	s_delay_alu instid0(VALU_DEP_1) | instskip(SKIP_1) | instid1(VALU_DEP_1)
	v_cndmask_b32_e64 v9, v9, v4, s2
	s_wait_loadcnt 0x2
	v_cndmask_b32_e64 v9, v9, v5, s3
	s_wait_loadcnt 0x1
	s_delay_alu instid0(VALU_DEP_1) | instskip(SKIP_1) | instid1(VALU_DEP_1)
	v_cndmask_b32_e64 v9, v9, v6, s4
	s_wait_loadcnt 0x0
	v_cndmask_b32_e64 v9, v9, v7, s5
	s_delay_alu instid0(VALU_DEP_1) | instskip(SKIP_1) | instid1(VALU_DEP_2)
	v_div_scale_f32 v10, null, v9, v9, 1.0
	v_div_scale_f32 v13, vcc_lo, 1.0, v9, 1.0
	v_rcp_f32_e32 v11, v10
	v_nop
	s_delay_alu instid0(TRANS32_DEP_1) | instskip(NEXT) | instid1(VALU_DEP_1)
	v_fma_f32 v12, -v10, v11, 1.0
	v_fmac_f32_e32 v11, v12, v11
	s_delay_alu instid0(VALU_DEP_1) | instskip(NEXT) | instid1(VALU_DEP_1)
	v_mul_f32_e32 v12, v13, v11
	v_fma_f32 v15, -v10, v12, v13
	s_delay_alu instid0(VALU_DEP_1) | instskip(NEXT) | instid1(VALU_DEP_1)
	v_fmac_f32_e32 v12, v15, v11
	v_fma_f32 v10, -v10, v12, v13
	s_delay_alu instid0(VALU_DEP_1) | instskip(NEXT) | instid1(VALU_DEP_1)
	v_div_fmas_f32 v10, v10, v11, v12
	v_div_fixup_f32 v9, v10, v9, 1.0
	s_delay_alu instid0(VALU_DEP_1)
	v_dual_cndmask_b32 v7, v7, v9, s5 :: v_dual_cndmask_b32 v6, v6, v9, s4
	v_dual_cndmask_b32 v5, v5, v9, s3 :: v_dual_cndmask_b32 v4, v4, v9, s2
	;; [unrolled: 1-line block ×3, first 2 shown]
	v_xor_b32_e32 v9, 0x80000000, v9
.LBB5_3:
	v_dual_ashrrev_i32 v15, 31, v14 :: v_dual_ashrrev_i32 v21, 31, v20
	v_dual_ashrrev_i32 v23, 31, v22 :: v_dual_ashrrev_i32 v25, 31, v24
	v_add_nc_u32_e32 v27, 32, v8
	s_cmp_eq_u32 s8, 0x79
	ds_store_b32 v8, v9
	s_cbranch_scc1 .LBB5_7
; %bb.4:
	s_wait_loadcnt 0x0
	v_mov_b64_e32 v[12:13], v[6:7]
	v_mov_b64_e32 v[10:11], v[4:5]
	;; [unrolled: 1-line block ×3, first 2 shown]
	v_cmp_eq_u32_e64 s0, 5, v0
	ds_store_b32 v27, v6
	s_wait_dscnt 0x0
	s_barrier_signal -1
	s_barrier_wait -1
	s_and_saveexec_b32 s1, s0
	s_cbranch_execz .LBB5_11
; %bb.5:
	s_and_b32 vcc_lo, exec_lo, s10
	s_cbranch_vccz .LBB5_8
; %bb.6:
	v_cmp_eq_u32_e32 vcc_lo, 1, v0
	ds_load_b32 v9, v27
	v_cndmask_b32_e32 v8, v2, v3, vcc_lo
	v_cmp_eq_u32_e32 vcc_lo, 2, v0
	s_delay_alu instid0(VALU_DEP_2) | instskip(SKIP_1) | instid1(VALU_DEP_2)
	v_cndmask_b32_e32 v8, v8, v4, vcc_lo
	v_cmp_eq_u32_e32 vcc_lo, 3, v0
	v_cndmask_b32_e32 v8, v8, v5, vcc_lo
	v_cmp_eq_u32_e32 vcc_lo, 4, v0
	s_delay_alu instid0(VALU_DEP_2) | instskip(SKIP_1) | instid1(VALU_DEP_2)
	v_cndmask_b32_e32 v8, v8, v6, vcc_lo
	v_cmp_eq_u32_e32 vcc_lo, 5, v0
	v_cndmask_b32_e32 v8, v8, v7, vcc_lo
	s_wait_dscnt 0x0
	s_delay_alu instid0(VALU_DEP_1)
	v_mul_f32_e32 v8, v8, v9
	s_cbranch_execz .LBB5_9
	s_branch .LBB5_10
.LBB5_7:
                                        ; implicit-def: $vgpr8_vgpr9_vgpr10_vgpr11_vgpr12_vgpr13
	s_cbranch_execnz .LBB5_66
	s_branch .LBB5_107
.LBB5_8:
                                        ; implicit-def: $vgpr8
.LBB5_9:
	ds_load_b32 v8, v27
.LBB5_10:
	v_mov_b32_e32 v9, 0
	ds_load_b32 v9, v9 offset:16
	s_wait_dscnt 0x0
	v_mul_f32_e32 v26, v8, v9
	v_mov_b64_e32 v[12:13], v[6:7]
	v_mov_b64_e32 v[10:11], v[4:5]
	;; [unrolled: 1-line block ×3, first 2 shown]
	s_delay_alu instid0(VALU_DEP_4)
	v_mov_b32_e32 v12, v26
.LBB5_11:
	s_or_b32 exec_lo, exec_lo, s1
	v_cmp_lt_u32_e64 s1, 3, v0
	ds_store_b32 v27, v11
	s_wait_dscnt 0x0
	s_barrier_signal -1
	s_barrier_wait -1
	s_and_saveexec_b32 s2, s1
	s_cbranch_execz .LBB5_17
; %bb.12:
	s_and_not1_b32 vcc_lo, exec_lo, s10
	s_cbranch_vccnz .LBB5_14
; %bb.13:
	v_cmp_eq_u32_e32 vcc_lo, 1, v0
	ds_load_b32 v28, v27
	v_cndmask_b32_e32 v26, v8, v9, vcc_lo
	v_cmp_eq_u32_e32 vcc_lo, 2, v0
	s_delay_alu instid0(VALU_DEP_2) | instskip(SKIP_1) | instid1(VALU_DEP_2)
	v_cndmask_b32_e32 v26, v26, v10, vcc_lo
	v_cmp_eq_u32_e32 vcc_lo, 3, v0
	v_cndmask_b32_e32 v11, v26, v11, vcc_lo
	v_cmp_eq_u32_e32 vcc_lo, 4, v0
	s_delay_alu instid0(VALU_DEP_2) | instskip(SKIP_1) | instid1(VALU_DEP_2)
	v_cndmask_b32_e32 v11, v11, v12, vcc_lo
	v_cmp_eq_u32_e32 vcc_lo, 5, v0
	v_cndmask_b32_e32 v11, v11, v13, vcc_lo
	s_wait_dscnt 0x0
	s_delay_alu instid0(VALU_DEP_1)
	v_mul_f32_e32 v11, v11, v28
	s_cbranch_execz .LBB5_15
	s_branch .LBB5_16
.LBB5_14:
                                        ; implicit-def: $vgpr11
.LBB5_15:
	ds_load_b32 v11, v27
.LBB5_16:
	v_mov_b32_e32 v26, 0
	ds_load_2addr_b32 v[28:29], v26 offset0:3 offset1:12
	s_wait_dscnt 0x0
	v_fma_f32 v26, v12, v29, v11
	s_delay_alu instid0(VALU_DEP_1) | instskip(NEXT) | instid1(VALU_DEP_1)
	v_cndmask_b32_e64 v11, v11, v26, s0
	v_mul_f32_e32 v11, v11, v28
.LBB5_17:
	s_or_b32 exec_lo, exec_lo, s2
	v_cmp_lt_u32_e64 s0, 2, v0
	ds_store_b32 v27, v10
	s_wait_dscnt 0x0
	s_barrier_signal -1
	s_barrier_wait -1
	s_and_saveexec_b32 s4, s0
	s_cbranch_execz .LBB5_33
; %bb.18:
	s_and_not1_b32 vcc_lo, exec_lo, s10
	s_cbranch_vccnz .LBB5_20
; %bb.19:
	v_cmp_eq_u32_e32 vcc_lo, 1, v0
	ds_load_b32 v28, v27
	v_cndmask_b32_e32 v26, v8, v9, vcc_lo
	v_cmp_eq_u32_e32 vcc_lo, 2, v0
	s_delay_alu instid0(VALU_DEP_2) | instskip(SKIP_1) | instid1(VALU_DEP_2)
	v_cndmask_b32_e32 v26, v26, v10, vcc_lo
	v_cmp_eq_u32_e32 vcc_lo, 3, v0
	v_cndmask_b32_e32 v26, v26, v11, vcc_lo
	v_cmp_eq_u32_e32 vcc_lo, 4, v0
	s_delay_alu instid0(VALU_DEP_2) | instskip(SKIP_1) | instid1(VALU_DEP_2)
	v_cndmask_b32_e32 v26, v26, v12, vcc_lo
	v_cmp_eq_u32_e32 vcc_lo, 5, v0
	v_cndmask_b32_e32 v26, v26, v13, vcc_lo
	s_wait_dscnt 0x0
	s_delay_alu instid0(VALU_DEP_1)
	v_mul_f32_e32 v30, v26, v28
	s_cbranch_execz .LBB5_21
	s_branch .LBB5_22
.LBB5_20:
                                        ; implicit-def: $vgpr30
.LBB5_21:
	ds_load_b32 v30, v27
.LBB5_22:
	s_and_saveexec_b32 s5, s1
	s_cbranch_execz .LBB5_32
; %bb.23:
	v_dual_add_nc_u32 v26, -4, v0 :: v_dual_add_nc_u32 v29, -3, v0
	v_mov_b32_e32 v28, 3
	s_mov_b32 s8, exec_lo
	s_delay_alu instid0(VALU_DEP_2)
	v_cmpx_lt_u32_e32 6, v26
	s_cbranch_execz .LBB5_27
; %bb.24:
	v_and_b32_e32 v26, -8, v29
	s_mov_b32 s9, 0
	s_mov_b64 s[2:3], 10
	s_mov_b32 s11, 44
	s_delay_alu instid0(VALU_DEP_1)
	v_sub_nc_u32_e32 v26, 0, v26
.LBB5_25:                               ; =>This Inner Loop Header: Depth=1
	s_add_co_i32 s1, s2, -7
	s_delay_alu instid0(SALU_CYCLE_1)
	s_cmp_eq_u32 s1, 1
	s_cselect_b32 vcc_lo, -1, 0
	v_dual_mov_b32 v28, s11 :: v_dual_cndmask_b32 v31, v8, v9
	s_cmp_eq_u32 s1, 2
	ds_load_2addr_b32 v[32:33], v28 offset1:1
	ds_load_2addr_b32 v[34:35], v28 offset0:2 offset1:3
	ds_load_2addr_b32 v[36:37], v28 offset0:4 offset1:5
	;; [unrolled: 1-line block ×3, first 2 shown]
	s_cselect_b32 vcc_lo, -1, 0
	s_cmp_eq_u32 s1, 3
	v_cndmask_b32_e32 v28, v31, v10, vcc_lo
	s_cselect_b32 vcc_lo, -1, 0
	s_cmp_eq_u32 s1, 4
	s_delay_alu instid0(VALU_DEP_1) | instskip(SKIP_2) | instid1(VALU_DEP_1)
	v_cndmask_b32_e32 v28, v28, v11, vcc_lo
	s_cselect_b32 vcc_lo, -1, 0
	s_cmp_eq_u32 s1, 5
	v_cndmask_b32_e32 v28, v28, v12, vcc_lo
	s_cselect_b32 vcc_lo, -1, 0
	s_add_co_i32 s12, s2, -6
	s_delay_alu instid0(SALU_CYCLE_1) | instskip(NEXT) | instid1(VALU_DEP_1)
	s_cmp_eq_u32 s12, 1
	v_cndmask_b32_e32 v28, v28, v13, vcc_lo
	s_cselect_b32 s1, -1, 0
	s_cmp_eq_u32 s12, 2
	v_cndmask_b32_e64 v31, v8, v9, s1
	s_cselect_b32 vcc_lo, -1, 0
	s_cmp_eq_u32 s12, 3
	s_delay_alu instid0(VALU_DEP_1)
	v_cndmask_b32_e32 v31, v31, v10, vcc_lo
	s_cselect_b32 vcc_lo, -1, 0
	s_wait_dscnt 0x3
	v_fmac_f32_e32 v30, v28, v32
	s_cmp_eq_u32 s12, 4
	v_cndmask_b32_e32 v28, v31, v11, vcc_lo
	s_cselect_b32 vcc_lo, -1, 0
	s_cmp_eq_u32 s12, 5
	s_delay_alu instid0(VALU_DEP_1) | instskip(SKIP_2) | instid1(SALU_CYCLE_1)
	v_cndmask_b32_e32 v28, v28, v12, vcc_lo
	s_cselect_b32 vcc_lo, -1, 0
	s_add_co_i32 s12, s2, -5
	s_cmp_eq_u32 s12, 1
	s_delay_alu instid0(VALU_DEP_1)
	v_cndmask_b32_e32 v28, v28, v13, vcc_lo
	s_cselect_b32 s1, -1, 0
	s_cmp_eq_u32 s12, 2
	v_cndmask_b32_e64 v31, v8, v9, s1
	s_cselect_b32 vcc_lo, -1, 0
	s_cmp_eq_u32 s12, 3
	s_delay_alu instid0(VALU_DEP_1) | instskip(SKIP_3) | instid1(VALU_DEP_2)
	v_cndmask_b32_e32 v31, v31, v10, vcc_lo
	s_cselect_b32 vcc_lo, -1, 0
	v_fmac_f32_e32 v30, v28, v33
	s_cmp_eq_u32 s12, 4
	v_cndmask_b32_e32 v28, v31, v11, vcc_lo
	s_cselect_b32 vcc_lo, -1, 0
	s_cmp_eq_u32 s12, 5
	s_delay_alu instid0(VALU_DEP_1) | instskip(SKIP_2) | instid1(SALU_CYCLE_1)
	v_cndmask_b32_e32 v28, v28, v12, vcc_lo
	s_cselect_b32 vcc_lo, -1, 0
	s_add_co_i32 s12, s2, -4
	s_cmp_eq_u32 s12, 1
	s_delay_alu instid0(VALU_DEP_1)
	v_cndmask_b32_e32 v28, v28, v13, vcc_lo
	s_cselect_b32 s1, -1, 0
	s_cmp_eq_u32 s12, 2
	v_cndmask_b32_e64 v31, v8, v9, s1
	s_cselect_b32 vcc_lo, -1, 0
	s_cmp_eq_u32 s12, 3
	s_delay_alu instid0(VALU_DEP_1)
	v_cndmask_b32_e32 v31, v31, v10, vcc_lo
	s_cselect_b32 vcc_lo, -1, 0
	s_wait_dscnt 0x2
	v_fmac_f32_e32 v30, v28, v34
	s_cmp_eq_u32 s12, 4
	v_cndmask_b32_e32 v28, v31, v11, vcc_lo
	s_cselect_b32 vcc_lo, -1, 0
	s_cmp_eq_u32 s12, 5
	s_delay_alu instid0(VALU_DEP_1) | instskip(SKIP_2) | instid1(SALU_CYCLE_1)
	v_cndmask_b32_e32 v28, v28, v12, vcc_lo
	s_cselect_b32 vcc_lo, -1, 0
	s_add_co_i32 s12, s2, -3
	s_cmp_eq_u32 s12, 1
	s_delay_alu instid0(VALU_DEP_1)
	v_cndmask_b32_e32 v28, v28, v13, vcc_lo
	s_cselect_b32 s1, -1, 0
	s_cmp_eq_u32 s12, 2
	v_cndmask_b32_e64 v31, v8, v9, s1
	s_cselect_b32 vcc_lo, -1, 0
	s_cmp_eq_u32 s12, 3
	s_delay_alu instid0(VALU_DEP_1) | instskip(SKIP_2) | instid1(VALU_DEP_1)
	v_dual_fmac_f32 v30, v28, v35 :: v_dual_cndmask_b32 v31, v31, v10
	s_cselect_b32 vcc_lo, -1, 0
	s_cmp_eq_u32 s12, 4
	v_cndmask_b32_e32 v28, v31, v11, vcc_lo
	s_cselect_b32 vcc_lo, -1, 0
	s_cmp_eq_u32 s12, 5
	s_delay_alu instid0(VALU_DEP_1) | instskip(SKIP_2) | instid1(SALU_CYCLE_1)
	v_cndmask_b32_e32 v28, v28, v12, vcc_lo
	s_cselect_b32 vcc_lo, -1, 0
	s_add_co_i32 s12, s2, -2
	s_cmp_eq_u32 s12, 1
	s_delay_alu instid0(VALU_DEP_1)
	v_cndmask_b32_e32 v28, v28, v13, vcc_lo
	s_cselect_b32 s1, -1, 0
	s_cmp_eq_u32 s12, 2
	v_cndmask_b32_e64 v31, v8, v9, s1
	s_cselect_b32 vcc_lo, -1, 0
	s_cmp_eq_u32 s12, 3
	s_delay_alu instid0(VALU_DEP_1)
	v_cndmask_b32_e32 v31, v31, v10, vcc_lo
	s_cselect_b32 vcc_lo, -1, 0
	s_wait_dscnt 0x1
	v_fmac_f32_e32 v30, v28, v36
	s_cmp_eq_u32 s12, 4
	v_cndmask_b32_e32 v28, v31, v11, vcc_lo
	s_cselect_b32 vcc_lo, -1, 0
	s_cmp_eq_u32 s12, 5
	s_delay_alu instid0(VALU_DEP_1) | instskip(SKIP_2) | instid1(SALU_CYCLE_1)
	v_cndmask_b32_e32 v28, v28, v12, vcc_lo
	s_cselect_b32 vcc_lo, -1, 0
	s_add_co_i32 s12, s2, -1
	s_cmp_eq_u32 s12, 1
	s_delay_alu instid0(VALU_DEP_1)
	v_cndmask_b32_e32 v28, v28, v13, vcc_lo
	s_cselect_b32 s1, -1, 0
	s_cmp_eq_u32 s12, 2
	v_cndmask_b32_e64 v31, v8, v9, s1
	s_cselect_b32 vcc_lo, -1, 0
	s_cmp_eq_u32 s12, 3
	s_delay_alu instid0(VALU_DEP_1) | instskip(SKIP_3) | instid1(VALU_DEP_2)
	v_cndmask_b32_e32 v31, v31, v10, vcc_lo
	s_cselect_b32 vcc_lo, -1, 0
	v_fmac_f32_e32 v30, v28, v37
	s_cmp_eq_u32 s12, 4
	v_cndmask_b32_e32 v28, v31, v11, vcc_lo
	s_cselect_b32 vcc_lo, -1, 0
	s_cmp_eq_u32 s12, 5
	s_delay_alu instid0(VALU_DEP_1)
	v_cndmask_b32_e32 v28, v28, v12, vcc_lo
	s_cselect_b32 vcc_lo, -1, 0
	s_cmp_eq_u32 s2, 1
	s_cselect_b32 s1, -1, 0
	s_cmp_eq_u32 s2, 2
	v_cndmask_b32_e64 v31, v8, v9, s1
	s_cselect_b32 s1, -1, 0
	s_cmp_eq_u32 s2, 3
	v_cndmask_b32_e32 v28, v28, v13, vcc_lo
	s_cselect_b32 vcc_lo, -1, 0
	v_cndmask_b32_e64 v31, v31, v10, s1
	s_cmp_eq_u32 s2, 4
	s_wait_dscnt 0x0
	s_delay_alu instid0(VALU_DEP_1)
	v_dual_fmac_f32 v30, v28, v38 :: v_dual_cndmask_b32 v31, v31, v11
	s_cselect_b32 vcc_lo, -1, 0
	s_cmp_eq_u32 s2, 5
	s_add_nc_u64 s[2:3], s[2:3], 8
	s_delay_alu instid0(VALU_DEP_1) | instid1(SALU_CYCLE_1)
	v_dual_cndmask_b32 v31, v31, v12 :: v_dual_add_nc_u32 v32, s2, v26
	s_cselect_b32 vcc_lo, -1, 0
	s_add_co_i32 s1, s2, -7
	s_add_co_i32 s11, s11, 32
	s_delay_alu instid0(VALU_DEP_1) | instskip(SKIP_1) | instid1(VALU_DEP_2)
	v_cndmask_b32_e32 v31, v31, v13, vcc_lo
	v_cmp_eq_u32_e32 vcc_lo, 10, v32
	v_dual_mov_b32 v28, s1 :: v_dual_fmac_f32 v30, v31, v39
	s_or_b32 s9, vcc_lo, s9
	s_delay_alu instid0(SALU_CYCLE_1)
	s_and_not1_b32 exec_lo, exec_lo, s9
	s_cbranch_execnz .LBB5_25
; %bb.26:
	s_or_b32 exec_lo, exec_lo, s9
.LBB5_27:
	s_delay_alu instid0(SALU_CYCLE_1) | instskip(SKIP_3) | instid1(VALU_DEP_1)
	s_or_b32 exec_lo, exec_lo, s8
	v_and_b32_e32 v26, 7, v29
	s_mov_b32 s2, 0
	s_mov_b32 s1, exec_lo
	v_cmpx_ne_u32_e32 0, v26
	s_cbranch_execz .LBB5_31
; %bb.28:
	v_lshl_add_u32 v31, v28, 2, 32
	v_mov_b32_e32 v29, 0
.LBB5_29:                               ; =>This Inner Loop Header: Depth=1
	v_cmp_eq_u32_e32 vcc_lo, 1, v28
	ds_load_b32 v33, v31
	v_dual_add_nc_u32 v26, -1, v26 :: v_dual_add_nc_u32 v31, 4, v31
	v_cndmask_b32_e32 v32, v8, v9, vcc_lo
	v_cmp_eq_u32_e32 vcc_lo, 2, v28
	s_delay_alu instid0(VALU_DEP_2) | instskip(SKIP_1) | instid1(VALU_DEP_2)
	v_cndmask_b32_e32 v32, v32, v10, vcc_lo
	v_cmp_eq_u32_e32 vcc_lo, 3, v28
	v_cndmask_b32_e32 v32, v32, v11, vcc_lo
	v_cmp_eq_u32_e32 vcc_lo, 4, v28
	s_delay_alu instid0(VALU_DEP_2) | instskip(SKIP_2) | instid1(VALU_DEP_3)
	v_cndmask_b32_e32 v32, v32, v12, vcc_lo
	v_cmp_eq_u32_e32 vcc_lo, 5, v28
	v_add_nc_u64_e32 v[28:29], 1, v[28:29]
	v_cndmask_b32_e32 v32, v32, v13, vcc_lo
	v_cmp_eq_u32_e32 vcc_lo, 0, v26
	s_wait_dscnt 0x0
	s_delay_alu instid0(VALU_DEP_2) | instskip(SKIP_1) | instid1(SALU_CYCLE_1)
	v_fmac_f32_e32 v30, v32, v33
	s_or_b32 s2, vcc_lo, s2
	s_and_not1_b32 exec_lo, exec_lo, s2
	s_cbranch_execnz .LBB5_29
; %bb.30:
	s_or_b32 exec_lo, exec_lo, s2
.LBB5_31:
	s_delay_alu instid0(SALU_CYCLE_1)
	s_or_b32 exec_lo, exec_lo, s1
.LBB5_32:
	s_delay_alu instid0(SALU_CYCLE_1)
	s_or_b32 exec_lo, exec_lo, s5
	v_mov_b32_e32 v10, 0
	ds_load_b32 v10, v10 offset:8
	s_wait_dscnt 0x0
	v_mul_f32_e32 v10, v30, v10
.LBB5_33:
	s_or_b32 exec_lo, exec_lo, s4
	v_cmp_lt_u32_e64 s1, 1, v0
	ds_store_b32 v27, v9
	s_wait_dscnt 0x0
	s_barrier_signal -1
	s_barrier_wait -1
	s_and_saveexec_b32 s4, s1
	s_cbranch_execz .LBB5_49
; %bb.34:
	s_and_not1_b32 vcc_lo, exec_lo, s10
	s_cbranch_vccnz .LBB5_36
; %bb.35:
	v_cmp_eq_u32_e32 vcc_lo, 1, v0
	ds_load_b32 v28, v27
	v_cndmask_b32_e32 v26, v8, v9, vcc_lo
	v_cmp_eq_u32_e32 vcc_lo, 2, v0
	s_delay_alu instid0(VALU_DEP_2) | instskip(SKIP_1) | instid1(VALU_DEP_2)
	v_cndmask_b32_e32 v26, v26, v10, vcc_lo
	v_cmp_eq_u32_e32 vcc_lo, 3, v0
	v_cndmask_b32_e32 v26, v26, v11, vcc_lo
	v_cmp_eq_u32_e32 vcc_lo, 4, v0
	s_delay_alu instid0(VALU_DEP_2) | instskip(SKIP_1) | instid1(VALU_DEP_2)
	v_cndmask_b32_e32 v26, v26, v12, vcc_lo
	v_cmp_eq_u32_e32 vcc_lo, 5, v0
	v_cndmask_b32_e32 v26, v26, v13, vcc_lo
	s_wait_dscnt 0x0
	s_delay_alu instid0(VALU_DEP_1)
	v_mul_f32_e32 v30, v26, v28
	s_cbranch_execz .LBB5_37
	s_branch .LBB5_38
.LBB5_36:
                                        ; implicit-def: $vgpr30
.LBB5_37:
	ds_load_b32 v30, v27
.LBB5_38:
	s_and_saveexec_b32 s5, s0
	s_cbranch_execz .LBB5_48
; %bb.39:
	v_dual_add_nc_u32 v26, -3, v0 :: v_dual_add_nc_u32 v29, -2, v0
	v_mov_b32_e32 v28, 2
	s_mov_b32 s8, exec_lo
	s_delay_alu instid0(VALU_DEP_2)
	v_cmpx_lt_u32_e32 6, v26
	s_cbranch_execz .LBB5_43
; %bb.40:
	v_and_b32_e32 v26, -8, v29
	s_mov_b32 s9, 0
	s_mov_b64 s[2:3], 9
	s_mov_b32 s11, 40
	s_delay_alu instid0(VALU_DEP_1)
	v_sub_nc_u32_e32 v26, 0, v26
.LBB5_41:                               ; =>This Inner Loop Header: Depth=1
	s_add_co_i32 s0, s2, -7
	s_delay_alu instid0(SALU_CYCLE_1)
	s_cmp_eq_u32 s0, 1
	s_cselect_b32 vcc_lo, -1, 0
	v_dual_mov_b32 v28, s11 :: v_dual_cndmask_b32 v31, v8, v9
	s_cmp_eq_u32 s0, 2
	ds_load_2addr_b64 v[32:35], v28 offset1:1
	ds_load_2addr_b64 v[36:39], v28 offset0:2 offset1:3
	s_cselect_b32 vcc_lo, -1, 0
	s_cmp_eq_u32 s0, 3
	v_cndmask_b32_e32 v28, v31, v10, vcc_lo
	s_cselect_b32 vcc_lo, -1, 0
	s_cmp_eq_u32 s0, 4
	s_delay_alu instid0(VALU_DEP_1) | instskip(SKIP_2) | instid1(VALU_DEP_1)
	v_cndmask_b32_e32 v28, v28, v11, vcc_lo
	s_cselect_b32 vcc_lo, -1, 0
	s_cmp_eq_u32 s0, 5
	v_cndmask_b32_e32 v28, v28, v12, vcc_lo
	s_cselect_b32 vcc_lo, -1, 0
	s_add_co_i32 s12, s2, -6
	s_delay_alu instid0(SALU_CYCLE_1) | instskip(NEXT) | instid1(VALU_DEP_1)
	s_cmp_eq_u32 s12, 1
	v_cndmask_b32_e32 v28, v28, v13, vcc_lo
	s_cselect_b32 s0, -1, 0
	s_cmp_eq_u32 s12, 2
	v_cndmask_b32_e64 v31, v8, v9, s0
	s_cselect_b32 vcc_lo, -1, 0
	s_cmp_eq_u32 s12, 3
	s_delay_alu instid0(VALU_DEP_1)
	v_cndmask_b32_e32 v31, v31, v10, vcc_lo
	s_cselect_b32 vcc_lo, -1, 0
	s_wait_dscnt 0x1
	v_fmac_f32_e32 v30, v28, v32
	s_cmp_eq_u32 s12, 4
	v_cndmask_b32_e32 v28, v31, v11, vcc_lo
	s_cselect_b32 vcc_lo, -1, 0
	s_cmp_eq_u32 s12, 5
	s_delay_alu instid0(VALU_DEP_1) | instskip(SKIP_2) | instid1(SALU_CYCLE_1)
	v_cndmask_b32_e32 v28, v28, v12, vcc_lo
	s_cselect_b32 vcc_lo, -1, 0
	s_add_co_i32 s12, s2, -5
	s_cmp_eq_u32 s12, 1
	s_delay_alu instid0(VALU_DEP_1)
	v_cndmask_b32_e32 v28, v28, v13, vcc_lo
	s_cselect_b32 s0, -1, 0
	s_cmp_eq_u32 s12, 2
	v_cndmask_b32_e64 v31, v8, v9, s0
	s_cselect_b32 vcc_lo, -1, 0
	s_cmp_eq_u32 s12, 3
	s_delay_alu instid0(VALU_DEP_1) | instskip(SKIP_3) | instid1(VALU_DEP_2)
	v_cndmask_b32_e32 v31, v31, v10, vcc_lo
	s_cselect_b32 vcc_lo, -1, 0
	v_fmac_f32_e32 v30, v28, v33
	s_cmp_eq_u32 s12, 4
	v_cndmask_b32_e32 v28, v31, v11, vcc_lo
	s_cselect_b32 vcc_lo, -1, 0
	s_cmp_eq_u32 s12, 5
	s_delay_alu instid0(VALU_DEP_1) | instskip(SKIP_2) | instid1(SALU_CYCLE_1)
	v_cndmask_b32_e32 v28, v28, v12, vcc_lo
	s_cselect_b32 vcc_lo, -1, 0
	s_add_co_i32 s12, s2, -4
	s_cmp_eq_u32 s12, 1
	s_delay_alu instid0(VALU_DEP_1)
	v_cndmask_b32_e32 v28, v28, v13, vcc_lo
	s_cselect_b32 s0, -1, 0
	s_cmp_eq_u32 s12, 2
	v_cndmask_b32_e64 v31, v8, v9, s0
	s_cselect_b32 vcc_lo, -1, 0
	s_cmp_eq_u32 s12, 3
	s_delay_alu instid0(VALU_DEP_1) | instskip(SKIP_3) | instid1(VALU_DEP_2)
	v_cndmask_b32_e32 v31, v31, v10, vcc_lo
	s_cselect_b32 vcc_lo, -1, 0
	v_fmac_f32_e32 v30, v28, v34
	s_cmp_eq_u32 s12, 4
	v_cndmask_b32_e32 v28, v31, v11, vcc_lo
	s_cselect_b32 vcc_lo, -1, 0
	s_cmp_eq_u32 s12, 5
	s_delay_alu instid0(VALU_DEP_1) | instskip(SKIP_2) | instid1(SALU_CYCLE_1)
	v_cndmask_b32_e32 v28, v28, v12, vcc_lo
	s_cselect_b32 vcc_lo, -1, 0
	s_add_co_i32 s12, s2, -3
	s_cmp_eq_u32 s12, 1
	s_delay_alu instid0(VALU_DEP_1)
	v_cndmask_b32_e32 v28, v28, v13, vcc_lo
	s_cselect_b32 s0, -1, 0
	s_cmp_eq_u32 s12, 2
	v_cndmask_b32_e64 v31, v8, v9, s0
	s_cselect_b32 vcc_lo, -1, 0
	s_cmp_eq_u32 s12, 3
	s_delay_alu instid0(VALU_DEP_1) | instskip(SKIP_2) | instid1(VALU_DEP_1)
	v_dual_fmac_f32 v30, v28, v35 :: v_dual_cndmask_b32 v31, v31, v10
	s_cselect_b32 vcc_lo, -1, 0
	s_cmp_eq_u32 s12, 4
	v_cndmask_b32_e32 v28, v31, v11, vcc_lo
	s_cselect_b32 vcc_lo, -1, 0
	s_cmp_eq_u32 s12, 5
	s_delay_alu instid0(VALU_DEP_1) | instskip(SKIP_2) | instid1(SALU_CYCLE_1)
	v_cndmask_b32_e32 v28, v28, v12, vcc_lo
	s_cselect_b32 vcc_lo, -1, 0
	s_add_co_i32 s12, s2, -2
	s_cmp_eq_u32 s12, 1
	s_delay_alu instid0(VALU_DEP_1)
	v_cndmask_b32_e32 v28, v28, v13, vcc_lo
	s_cselect_b32 s0, -1, 0
	s_cmp_eq_u32 s12, 2
	v_cndmask_b32_e64 v31, v8, v9, s0
	s_cselect_b32 vcc_lo, -1, 0
	s_cmp_eq_u32 s12, 3
	s_delay_alu instid0(VALU_DEP_1)
	v_cndmask_b32_e32 v31, v31, v10, vcc_lo
	s_cselect_b32 vcc_lo, -1, 0
	s_wait_dscnt 0x0
	v_fmac_f32_e32 v30, v28, v36
	s_cmp_eq_u32 s12, 4
	v_cndmask_b32_e32 v28, v31, v11, vcc_lo
	s_cselect_b32 vcc_lo, -1, 0
	s_cmp_eq_u32 s12, 5
	s_delay_alu instid0(VALU_DEP_1) | instskip(SKIP_2) | instid1(SALU_CYCLE_1)
	v_cndmask_b32_e32 v28, v28, v12, vcc_lo
	s_cselect_b32 vcc_lo, -1, 0
	s_add_co_i32 s12, s2, -1
	s_cmp_eq_u32 s12, 1
	s_delay_alu instid0(VALU_DEP_1)
	v_cndmask_b32_e32 v28, v28, v13, vcc_lo
	s_cselect_b32 s0, -1, 0
	s_cmp_eq_u32 s12, 2
	v_cndmask_b32_e64 v31, v8, v9, s0
	s_cselect_b32 vcc_lo, -1, 0
	s_cmp_eq_u32 s12, 3
	s_delay_alu instid0(VALU_DEP_1) | instskip(SKIP_3) | instid1(VALU_DEP_2)
	v_cndmask_b32_e32 v31, v31, v10, vcc_lo
	s_cselect_b32 vcc_lo, -1, 0
	v_fmac_f32_e32 v30, v28, v37
	s_cmp_eq_u32 s12, 4
	v_cndmask_b32_e32 v28, v31, v11, vcc_lo
	s_cselect_b32 vcc_lo, -1, 0
	s_cmp_eq_u32 s12, 5
	s_delay_alu instid0(VALU_DEP_1)
	v_cndmask_b32_e32 v28, v28, v12, vcc_lo
	s_cselect_b32 vcc_lo, -1, 0
	s_cmp_eq_u32 s2, 1
	s_cselect_b32 s0, -1, 0
	s_cmp_eq_u32 s2, 2
	v_cndmask_b32_e64 v31, v8, v9, s0
	s_cselect_b32 s0, -1, 0
	s_cmp_eq_u32 s2, 3
	v_cndmask_b32_e32 v28, v28, v13, vcc_lo
	s_cselect_b32 vcc_lo, -1, 0
	v_cndmask_b32_e64 v31, v31, v10, s0
	s_cmp_eq_u32 s2, 4
	s_delay_alu instid0(VALU_DEP_1)
	v_dual_fmac_f32 v30, v28, v38 :: v_dual_cndmask_b32 v31, v31, v11
	s_cselect_b32 vcc_lo, -1, 0
	s_cmp_eq_u32 s2, 5
	s_add_nc_u64 s[2:3], s[2:3], 8
	s_delay_alu instid0(VALU_DEP_1) | instid1(SALU_CYCLE_1)
	v_dual_cndmask_b32 v31, v31, v12 :: v_dual_add_nc_u32 v32, s2, v26
	s_cselect_b32 vcc_lo, -1, 0
	s_add_co_i32 s0, s2, -7
	s_add_co_i32 s11, s11, 32
	s_delay_alu instid0(VALU_DEP_1) | instskip(SKIP_1) | instid1(VALU_DEP_2)
	v_cndmask_b32_e32 v31, v31, v13, vcc_lo
	v_cmp_eq_u32_e32 vcc_lo, 9, v32
	v_dual_mov_b32 v28, s0 :: v_dual_fmac_f32 v30, v31, v39
	s_or_b32 s9, vcc_lo, s9
	s_delay_alu instid0(SALU_CYCLE_1)
	s_and_not1_b32 exec_lo, exec_lo, s9
	s_cbranch_execnz .LBB5_41
; %bb.42:
	s_or_b32 exec_lo, exec_lo, s9
.LBB5_43:
	s_delay_alu instid0(SALU_CYCLE_1) | instskip(SKIP_3) | instid1(VALU_DEP_1)
	s_or_b32 exec_lo, exec_lo, s8
	v_and_b32_e32 v26, 7, v29
	s_mov_b32 s2, 0
	s_mov_b32 s0, exec_lo
	v_cmpx_ne_u32_e32 0, v26
	s_cbranch_execz .LBB5_47
; %bb.44:
	v_lshl_add_u32 v31, v28, 2, 32
	v_mov_b32_e32 v29, 0
.LBB5_45:                               ; =>This Inner Loop Header: Depth=1
	v_cmp_eq_u32_e32 vcc_lo, 1, v28
	ds_load_b32 v33, v31
	v_dual_add_nc_u32 v26, -1, v26 :: v_dual_add_nc_u32 v31, 4, v31
	v_cndmask_b32_e32 v32, v8, v9, vcc_lo
	v_cmp_eq_u32_e32 vcc_lo, 2, v28
	s_delay_alu instid0(VALU_DEP_2) | instskip(SKIP_1) | instid1(VALU_DEP_2)
	v_cndmask_b32_e32 v32, v32, v10, vcc_lo
	v_cmp_eq_u32_e32 vcc_lo, 3, v28
	v_cndmask_b32_e32 v32, v32, v11, vcc_lo
	v_cmp_eq_u32_e32 vcc_lo, 4, v28
	s_delay_alu instid0(VALU_DEP_2) | instskip(SKIP_2) | instid1(VALU_DEP_3)
	v_cndmask_b32_e32 v32, v32, v12, vcc_lo
	v_cmp_eq_u32_e32 vcc_lo, 5, v28
	v_add_nc_u64_e32 v[28:29], 1, v[28:29]
	v_cndmask_b32_e32 v32, v32, v13, vcc_lo
	v_cmp_eq_u32_e32 vcc_lo, 0, v26
	s_wait_dscnt 0x0
	s_delay_alu instid0(VALU_DEP_2) | instskip(SKIP_1) | instid1(SALU_CYCLE_1)
	v_fmac_f32_e32 v30, v32, v33
	s_or_b32 s2, vcc_lo, s2
	s_and_not1_b32 exec_lo, exec_lo, s2
	s_cbranch_execnz .LBB5_45
; %bb.46:
	s_or_b32 exec_lo, exec_lo, s2
.LBB5_47:
	s_delay_alu instid0(SALU_CYCLE_1)
	s_or_b32 exec_lo, exec_lo, s0
.LBB5_48:
	s_delay_alu instid0(SALU_CYCLE_1)
	s_or_b32 exec_lo, exec_lo, s5
	v_mov_b32_e32 v9, 0
	ds_load_b32 v9, v9 offset:4
	s_wait_dscnt 0x0
	v_mul_f32_e32 v9, v30, v9
.LBB5_49:
	s_or_b32 exec_lo, exec_lo, s4
	s_mov_b32 s4, 0
	s_mov_b32 s5, exec_lo
	ds_store_b32 v27, v8
	s_wait_dscnt 0x0
	s_barrier_signal -1
	s_barrier_wait -1
	v_cmpx_ne_u32_e32 0, v0
	s_cbranch_execz .LBB5_65
; %bb.50:
	s_and_not1_b32 vcc_lo, exec_lo, s10
	s_cbranch_vccnz .LBB5_52
; %bb.51:
	v_cmp_eq_u32_e32 vcc_lo, 1, v0
	ds_load_b32 v28, v27
	v_cndmask_b32_e32 v26, v8, v9, vcc_lo
	v_cmp_eq_u32_e32 vcc_lo, 2, v0
	s_delay_alu instid0(VALU_DEP_2) | instskip(SKIP_1) | instid1(VALU_DEP_2)
	v_cndmask_b32_e32 v26, v26, v10, vcc_lo
	v_cmp_eq_u32_e32 vcc_lo, 3, v0
	v_cndmask_b32_e32 v26, v26, v11, vcc_lo
	v_cmp_eq_u32_e32 vcc_lo, 4, v0
	s_delay_alu instid0(VALU_DEP_2) | instskip(SKIP_1) | instid1(VALU_DEP_2)
	v_cndmask_b32_e32 v26, v26, v12, vcc_lo
	v_cmp_eq_u32_e32 vcc_lo, 5, v0
	v_cndmask_b32_e32 v26, v26, v13, vcc_lo
	s_wait_dscnt 0x0
	s_delay_alu instid0(VALU_DEP_1)
	v_mul_f32_e32 v30, v26, v28
	s_cbranch_execz .LBB5_53
	s_branch .LBB5_54
.LBB5_52:
                                        ; implicit-def: $vgpr30
.LBB5_53:
	ds_load_b32 v30, v27
.LBB5_54:
	s_and_saveexec_b32 s8, s1
	s_cbranch_execz .LBB5_64
; %bb.55:
	v_dual_add_nc_u32 v26, -2, v0 :: v_dual_add_nc_u32 v29, -1, v0
	v_mov_b32_e32 v28, 1
	s_mov_b32 s1, exec_lo
	s_delay_alu instid0(VALU_DEP_2)
	v_cmpx_lt_u32_e32 6, v26
	s_cbranch_execz .LBB5_59
; %bb.56:
	v_and_b32_e32 v26, -8, v29
	s_mov_b32 s9, 0
	s_mov_b64 s[2:3], 8
	s_mov_b32 s11, 36
	s_delay_alu instid0(VALU_DEP_1)
	v_sub_nc_u32_e32 v26, 0, v26
.LBB5_57:                               ; =>This Inner Loop Header: Depth=1
	s_add_co_i32 s0, s2, -7
	s_delay_alu instid0(SALU_CYCLE_1)
	s_cmp_eq_u32 s0, 1
	s_cselect_b32 vcc_lo, -1, 0
	v_dual_mov_b32 v28, s11 :: v_dual_cndmask_b32 v31, v8, v9
	s_cmp_eq_u32 s0, 2
	ds_load_2addr_b32 v[32:33], v28 offset1:1
	ds_load_2addr_b32 v[34:35], v28 offset0:2 offset1:3
	ds_load_2addr_b32 v[36:37], v28 offset0:4 offset1:5
	;; [unrolled: 1-line block ×3, first 2 shown]
	s_cselect_b32 vcc_lo, -1, 0
	s_cmp_eq_u32 s0, 3
	v_cndmask_b32_e32 v28, v31, v10, vcc_lo
	s_cselect_b32 vcc_lo, -1, 0
	s_cmp_eq_u32 s0, 4
	s_delay_alu instid0(VALU_DEP_1) | instskip(SKIP_2) | instid1(VALU_DEP_1)
	v_cndmask_b32_e32 v28, v28, v11, vcc_lo
	s_cselect_b32 vcc_lo, -1, 0
	s_cmp_eq_u32 s0, 5
	v_cndmask_b32_e32 v28, v28, v12, vcc_lo
	s_cselect_b32 vcc_lo, -1, 0
	s_add_co_i32 s12, s2, -6
	s_delay_alu instid0(SALU_CYCLE_1) | instskip(NEXT) | instid1(VALU_DEP_1)
	s_cmp_eq_u32 s12, 1
	v_cndmask_b32_e32 v28, v28, v13, vcc_lo
	s_cselect_b32 s0, -1, 0
	s_cmp_eq_u32 s12, 2
	v_cndmask_b32_e64 v31, v8, v9, s0
	s_cselect_b32 vcc_lo, -1, 0
	s_cmp_eq_u32 s12, 3
	s_delay_alu instid0(VALU_DEP_1)
	v_cndmask_b32_e32 v31, v31, v10, vcc_lo
	s_cselect_b32 vcc_lo, -1, 0
	s_wait_dscnt 0x3
	v_fmac_f32_e32 v30, v28, v32
	s_cmp_eq_u32 s12, 4
	v_cndmask_b32_e32 v28, v31, v11, vcc_lo
	s_cselect_b32 vcc_lo, -1, 0
	s_cmp_eq_u32 s12, 5
	s_delay_alu instid0(VALU_DEP_1) | instskip(SKIP_2) | instid1(SALU_CYCLE_1)
	v_cndmask_b32_e32 v28, v28, v12, vcc_lo
	s_cselect_b32 vcc_lo, -1, 0
	s_add_co_i32 s12, s2, -5
	s_cmp_eq_u32 s12, 1
	s_delay_alu instid0(VALU_DEP_1)
	v_cndmask_b32_e32 v28, v28, v13, vcc_lo
	s_cselect_b32 s0, -1, 0
	s_cmp_eq_u32 s12, 2
	v_cndmask_b32_e64 v31, v8, v9, s0
	s_cselect_b32 vcc_lo, -1, 0
	s_cmp_eq_u32 s12, 3
	s_delay_alu instid0(VALU_DEP_1) | instskip(SKIP_3) | instid1(VALU_DEP_2)
	v_cndmask_b32_e32 v31, v31, v10, vcc_lo
	s_cselect_b32 vcc_lo, -1, 0
	v_fmac_f32_e32 v30, v28, v33
	s_cmp_eq_u32 s12, 4
	v_cndmask_b32_e32 v28, v31, v11, vcc_lo
	s_cselect_b32 vcc_lo, -1, 0
	s_cmp_eq_u32 s12, 5
	s_delay_alu instid0(VALU_DEP_1) | instskip(SKIP_2) | instid1(SALU_CYCLE_1)
	v_cndmask_b32_e32 v28, v28, v12, vcc_lo
	s_cselect_b32 vcc_lo, -1, 0
	s_add_co_i32 s12, s2, -4
	s_cmp_eq_u32 s12, 1
	s_delay_alu instid0(VALU_DEP_1)
	v_cndmask_b32_e32 v28, v28, v13, vcc_lo
	s_cselect_b32 s0, -1, 0
	s_cmp_eq_u32 s12, 2
	v_cndmask_b32_e64 v31, v8, v9, s0
	s_cselect_b32 vcc_lo, -1, 0
	s_cmp_eq_u32 s12, 3
	s_delay_alu instid0(VALU_DEP_1)
	v_cndmask_b32_e32 v31, v31, v10, vcc_lo
	s_cselect_b32 vcc_lo, -1, 0
	s_wait_dscnt 0x2
	v_fmac_f32_e32 v30, v28, v34
	s_cmp_eq_u32 s12, 4
	v_cndmask_b32_e32 v28, v31, v11, vcc_lo
	s_cselect_b32 vcc_lo, -1, 0
	s_cmp_eq_u32 s12, 5
	s_delay_alu instid0(VALU_DEP_1) | instskip(SKIP_2) | instid1(SALU_CYCLE_1)
	v_cndmask_b32_e32 v28, v28, v12, vcc_lo
	s_cselect_b32 vcc_lo, -1, 0
	s_add_co_i32 s12, s2, -3
	s_cmp_eq_u32 s12, 1
	s_delay_alu instid0(VALU_DEP_1)
	v_cndmask_b32_e32 v28, v28, v13, vcc_lo
	s_cselect_b32 s0, -1, 0
	s_cmp_eq_u32 s12, 2
	v_cndmask_b32_e64 v31, v8, v9, s0
	s_cselect_b32 vcc_lo, -1, 0
	s_cmp_eq_u32 s12, 3
	s_delay_alu instid0(VALU_DEP_1) | instskip(SKIP_2) | instid1(VALU_DEP_1)
	v_dual_fmac_f32 v30, v28, v35 :: v_dual_cndmask_b32 v31, v31, v10
	s_cselect_b32 vcc_lo, -1, 0
	s_cmp_eq_u32 s12, 4
	v_cndmask_b32_e32 v28, v31, v11, vcc_lo
	s_cselect_b32 vcc_lo, -1, 0
	s_cmp_eq_u32 s12, 5
	s_delay_alu instid0(VALU_DEP_1) | instskip(SKIP_2) | instid1(SALU_CYCLE_1)
	v_cndmask_b32_e32 v28, v28, v12, vcc_lo
	s_cselect_b32 vcc_lo, -1, 0
	s_add_co_i32 s12, s2, -2
	s_cmp_eq_u32 s12, 1
	s_delay_alu instid0(VALU_DEP_1)
	v_cndmask_b32_e32 v28, v28, v13, vcc_lo
	s_cselect_b32 s0, -1, 0
	s_cmp_eq_u32 s12, 2
	v_cndmask_b32_e64 v31, v8, v9, s0
	s_cselect_b32 vcc_lo, -1, 0
	s_cmp_eq_u32 s12, 3
	s_delay_alu instid0(VALU_DEP_1)
	v_cndmask_b32_e32 v31, v31, v10, vcc_lo
	s_cselect_b32 vcc_lo, -1, 0
	s_wait_dscnt 0x1
	v_fmac_f32_e32 v30, v28, v36
	s_cmp_eq_u32 s12, 4
	v_cndmask_b32_e32 v28, v31, v11, vcc_lo
	s_cselect_b32 vcc_lo, -1, 0
	s_cmp_eq_u32 s12, 5
	s_delay_alu instid0(VALU_DEP_1) | instskip(SKIP_2) | instid1(SALU_CYCLE_1)
	v_cndmask_b32_e32 v28, v28, v12, vcc_lo
	s_cselect_b32 vcc_lo, -1, 0
	s_add_co_i32 s12, s2, -1
	s_cmp_eq_u32 s12, 1
	s_delay_alu instid0(VALU_DEP_1)
	v_cndmask_b32_e32 v28, v28, v13, vcc_lo
	s_cselect_b32 s0, -1, 0
	s_cmp_eq_u32 s12, 2
	v_cndmask_b32_e64 v31, v8, v9, s0
	s_cselect_b32 vcc_lo, -1, 0
	s_cmp_eq_u32 s12, 3
	s_delay_alu instid0(VALU_DEP_1) | instskip(SKIP_3) | instid1(VALU_DEP_2)
	v_cndmask_b32_e32 v31, v31, v10, vcc_lo
	s_cselect_b32 vcc_lo, -1, 0
	v_fmac_f32_e32 v30, v28, v37
	s_cmp_eq_u32 s12, 4
	v_cndmask_b32_e32 v28, v31, v11, vcc_lo
	s_cselect_b32 vcc_lo, -1, 0
	s_cmp_eq_u32 s12, 5
	s_delay_alu instid0(VALU_DEP_1)
	v_cndmask_b32_e32 v28, v28, v12, vcc_lo
	s_cselect_b32 vcc_lo, -1, 0
	s_cmp_eq_u32 s2, 1
	s_cselect_b32 s0, -1, 0
	s_cmp_eq_u32 s2, 2
	v_cndmask_b32_e64 v31, v8, v9, s0
	s_cselect_b32 s0, -1, 0
	s_cmp_eq_u32 s2, 3
	v_cndmask_b32_e32 v28, v28, v13, vcc_lo
	s_cselect_b32 vcc_lo, -1, 0
	v_cndmask_b32_e64 v31, v31, v10, s0
	s_cmp_eq_u32 s2, 4
	s_wait_dscnt 0x0
	s_delay_alu instid0(VALU_DEP_1)
	v_dual_fmac_f32 v30, v28, v38 :: v_dual_cndmask_b32 v31, v31, v11
	s_cselect_b32 vcc_lo, -1, 0
	s_cmp_eq_u32 s2, 5
	s_add_nc_u64 s[2:3], s[2:3], 8
	s_delay_alu instid0(VALU_DEP_1) | instid1(SALU_CYCLE_1)
	v_dual_cndmask_b32 v31, v31, v12 :: v_dual_add_nc_u32 v32, s2, v26
	s_cselect_b32 vcc_lo, -1, 0
	s_add_co_i32 s0, s2, -7
	s_add_co_i32 s11, s11, 32
	s_delay_alu instid0(VALU_DEP_1) | instskip(SKIP_1) | instid1(VALU_DEP_2)
	v_cndmask_b32_e32 v31, v31, v13, vcc_lo
	v_cmp_eq_u32_e32 vcc_lo, 8, v32
	v_dual_mov_b32 v28, s0 :: v_dual_fmac_f32 v30, v31, v39
	s_or_b32 s9, vcc_lo, s9
	s_delay_alu instid0(SALU_CYCLE_1)
	s_and_not1_b32 exec_lo, exec_lo, s9
	s_cbranch_execnz .LBB5_57
; %bb.58:
	s_or_b32 exec_lo, exec_lo, s9
.LBB5_59:
	s_delay_alu instid0(SALU_CYCLE_1) | instskip(SKIP_3) | instid1(VALU_DEP_1)
	s_or_b32 exec_lo, exec_lo, s1
	v_and_b32_e32 v26, 7, v29
	s_mov_b32 s1, 0
	s_mov_b32 s0, exec_lo
	v_cmpx_ne_u32_e32 0, v26
	s_cbranch_execz .LBB5_63
; %bb.60:
	v_lshl_add_u32 v31, v28, 2, 32
	v_mov_b32_e32 v29, 0
.LBB5_61:                               ; =>This Inner Loop Header: Depth=1
	v_cmp_eq_u32_e32 vcc_lo, 1, v28
	ds_load_b32 v33, v31
	v_dual_add_nc_u32 v26, -1, v26 :: v_dual_add_nc_u32 v31, 4, v31
	v_cndmask_b32_e32 v32, v8, v9, vcc_lo
	v_cmp_eq_u32_e32 vcc_lo, 2, v28
	s_delay_alu instid0(VALU_DEP_2) | instskip(SKIP_1) | instid1(VALU_DEP_2)
	v_cndmask_b32_e32 v32, v32, v10, vcc_lo
	v_cmp_eq_u32_e32 vcc_lo, 3, v28
	v_cndmask_b32_e32 v32, v32, v11, vcc_lo
	v_cmp_eq_u32_e32 vcc_lo, 4, v28
	s_delay_alu instid0(VALU_DEP_2) | instskip(SKIP_2) | instid1(VALU_DEP_3)
	v_cndmask_b32_e32 v32, v32, v12, vcc_lo
	v_cmp_eq_u32_e32 vcc_lo, 5, v28
	v_add_nc_u64_e32 v[28:29], 1, v[28:29]
	v_cndmask_b32_e32 v32, v32, v13, vcc_lo
	v_cmp_eq_u32_e32 vcc_lo, 0, v26
	s_wait_dscnt 0x0
	s_delay_alu instid0(VALU_DEP_2) | instskip(SKIP_1) | instid1(SALU_CYCLE_1)
	v_fmac_f32_e32 v30, v32, v33
	s_or_b32 s1, vcc_lo, s1
	s_and_not1_b32 exec_lo, exec_lo, s1
	s_cbranch_execnz .LBB5_61
; %bb.62:
	s_or_b32 exec_lo, exec_lo, s1
.LBB5_63:
	s_delay_alu instid0(SALU_CYCLE_1)
	s_or_b32 exec_lo, exec_lo, s0
.LBB5_64:
	s_delay_alu instid0(SALU_CYCLE_1)
	s_or_b32 exec_lo, exec_lo, s8
	v_mov_b32_e32 v8, 0
	ds_load_b32 v8, v8
	s_wait_dscnt 0x0
	v_mul_f32_e32 v8, v30, v8
.LBB5_65:
	s_or_b32 exec_lo, exec_lo, s5
	s_delay_alu instid0(SALU_CYCLE_1)
	s_and_b32 vcc_lo, exec_lo, s4
	s_cbranch_vccz .LBB5_107
.LBB5_66:
	v_cmp_eq_u32_e64 s0, 0, v0
	s_wait_loadcnt 0x4
	ds_store_b32 v27, v3
	s_wait_loadcnt_dscnt 0x0
	s_barrier_signal -1
	s_barrier_wait -1
	s_and_saveexec_b32 s1, s0
	s_cbranch_execz .LBB5_72
; %bb.67:
	s_and_b32 vcc_lo, exec_lo, s10
	s_cbranch_vccz .LBB5_69
; %bb.68:
	v_cmp_eq_u32_e32 vcc_lo, 1, v0
	ds_load_b32 v8, v27
	v_cndmask_b32_e32 v3, v2, v3, vcc_lo
	v_cmp_eq_u32_e32 vcc_lo, 2, v0
	s_delay_alu instid0(VALU_DEP_2) | instskip(SKIP_1) | instid1(VALU_DEP_2)
	v_cndmask_b32_e32 v3, v3, v4, vcc_lo
	v_cmp_eq_u32_e32 vcc_lo, 3, v0
	v_cndmask_b32_e32 v3, v3, v5, vcc_lo
	v_cmp_eq_u32_e32 vcc_lo, 4, v0
	s_delay_alu instid0(VALU_DEP_2) | instskip(SKIP_1) | instid1(VALU_DEP_2)
	v_cndmask_b32_e32 v3, v3, v6, vcc_lo
	v_cmp_eq_u32_e32 vcc_lo, 5, v0
	v_cndmask_b32_e32 v3, v3, v7, vcc_lo
	s_wait_dscnt 0x0
	s_delay_alu instid0(VALU_DEP_1)
	v_mul_f32_e32 v3, v3, v8
	s_cbranch_execz .LBB5_70
	s_branch .LBB5_71
.LBB5_69:
                                        ; implicit-def: $vgpr3
.LBB5_70:
	ds_load_b32 v3, v27
.LBB5_71:
	v_mov_b32_e32 v8, 0
	ds_load_b32 v8, v8 offset:4
	s_wait_dscnt 0x0
	v_mul_f32_e32 v3, v3, v8
.LBB5_72:
	s_or_b32 exec_lo, exec_lo, s1
	v_cndmask_b32_e64 v10, 0, 1, s10
	s_mov_b32 s1, exec_lo
	ds_store_b32 v27, v4
	s_wait_dscnt 0x0
	s_barrier_signal -1
	s_barrier_wait -1
	v_cmpx_gt_u32_e32 2, v0
	s_cbranch_execz .LBB5_78
; %bb.73:
	s_and_not1_b32 vcc_lo, exec_lo, s10
	s_cbranch_vccnz .LBB5_75
; %bb.74:
	v_cmp_eq_u32_e32 vcc_lo, 1, v0
	v_cndmask_b32_e32 v8, v2, v3, vcc_lo
	v_cmp_eq_u32_e32 vcc_lo, 2, v0
	s_delay_alu instid0(VALU_DEP_2) | instskip(SKIP_4) | instid1(VALU_DEP_2)
	v_cndmask_b32_e32 v4, v8, v4, vcc_lo
	ds_load_b32 v8, v27
	v_cmp_eq_u32_e32 vcc_lo, 3, v0
	v_cndmask_b32_e32 v4, v4, v5, vcc_lo
	v_cmp_eq_u32_e32 vcc_lo, 4, v0
	v_cndmask_b32_e32 v4, v4, v6, vcc_lo
	v_cmp_eq_u32_e32 vcc_lo, 5, v0
	s_delay_alu instid0(VALU_DEP_2) | instskip(SKIP_1) | instid1(VALU_DEP_1)
	v_cndmask_b32_e32 v4, v4, v7, vcc_lo
	s_wait_dscnt 0x0
	v_mul_f32_e32 v4, v4, v8
	s_cbranch_execz .LBB5_76
	s_branch .LBB5_77
.LBB5_75:
                                        ; implicit-def: $vgpr4
.LBB5_76:
	ds_load_b32 v4, v27
.LBB5_77:
	v_mov_b32_e32 v8, 0
	ds_load_2addr_b32 v[8:9], v8 offset0:2 offset1:9
	s_wait_dscnt 0x0
	v_fma_f32 v9, v3, v9, v4
	s_delay_alu instid0(VALU_DEP_1) | instskip(NEXT) | instid1(VALU_DEP_1)
	v_cndmask_b32_e64 v4, v4, v9, s0
	v_mul_f32_e32 v4, v4, v8
.LBB5_78:
	s_or_b32 exec_lo, exec_lo, s1
	s_delay_alu instid0(SALU_CYCLE_1)
	s_mov_b32 s1, exec_lo
	ds_store_b32 v27, v5
	s_wait_dscnt 0x0
	s_barrier_signal -1
	s_barrier_wait -1
	v_cmpx_gt_u32_e32 3, v0
	s_cbranch_execz .LBB5_86
; %bb.79:
	v_cmp_ne_u32_e32 vcc_lo, 1, v10
	s_cbranch_vccnz .LBB5_81
; %bb.80:
	v_cmp_eq_u32_e32 vcc_lo, 1, v0
	ds_load_b32 v9, v27
	v_cndmask_b32_e32 v8, v2, v3, vcc_lo
	v_cmp_eq_u32_e32 vcc_lo, 2, v0
	s_delay_alu instid0(VALU_DEP_2) | instskip(SKIP_1) | instid1(VALU_DEP_2)
	v_cndmask_b32_e32 v8, v8, v4, vcc_lo
	v_cmp_eq_u32_e32 vcc_lo, 3, v0
	v_cndmask_b32_e32 v8, v8, v5, vcc_lo
	v_cmp_eq_u32_e32 vcc_lo, 4, v0
	s_delay_alu instid0(VALU_DEP_2) | instskip(SKIP_1) | instid1(VALU_DEP_2)
	v_cndmask_b32_e32 v8, v8, v6, vcc_lo
	v_cmp_eq_u32_e32 vcc_lo, 5, v0
	v_cndmask_b32_e32 v8, v8, v7, vcc_lo
	s_wait_dscnt 0x0
	s_delay_alu instid0(VALU_DEP_1)
	v_mul_f32_e32 v8, v8, v9
	s_cbranch_execz .LBB5_82
	s_branch .LBB5_83
.LBB5_81:
                                        ; implicit-def: $vgpr8
.LBB5_82:
	ds_load_b32 v8, v27
.LBB5_83:
	s_mov_b32 s2, exec_lo
	v_cmpx_ne_u32_e32 2, v0
	s_cbranch_execz .LBB5_85
; %bb.84:
	v_add_nc_u32_e32 v9, 1, v0
	ds_load_b32 v12, v27 offset:4
	v_mov_b32_e32 v13, 0
	v_cmp_eq_u32_e32 vcc_lo, 1, v9
	v_cndmask_b32_e32 v11, v2, v3, vcc_lo
	v_cmp_eq_u32_e32 vcc_lo, 2, v9
	s_delay_alu instid0(VALU_DEP_2) | instskip(SKIP_1) | instid1(VALU_DEP_2)
	v_cndmask_b32_e32 v11, v11, v4, vcc_lo
	v_cmp_eq_u32_e32 vcc_lo, 3, v9
	v_cndmask_b32_e32 v5, v11, v5, vcc_lo
	ds_load_b32 v11, v13 offset:40
	v_cmp_eq_u32_e32 vcc_lo, 4, v9
	v_cndmask_b32_e32 v5, v5, v6, vcc_lo
	v_cmp_eq_u32_e32 vcc_lo, 5, v9
	s_delay_alu instid0(VALU_DEP_2) | instskip(SKIP_1) | instid1(VALU_DEP_1)
	v_cndmask_b32_e32 v5, v5, v7, vcc_lo
	s_wait_dscnt 0x1
	v_fmac_f32_e32 v8, v5, v12
	s_wait_dscnt 0x0
	s_delay_alu instid0(VALU_DEP_1) | instskip(NEXT) | instid1(VALU_DEP_1)
	v_fma_f32 v5, v4, v11, v8
	v_cndmask_b32_e64 v8, v8, v5, s0
.LBB5_85:
	s_or_b32 exec_lo, exec_lo, s2
	v_mov_b32_e32 v5, 0
	ds_load_b32 v5, v5 offset:12
	s_wait_dscnt 0x0
	v_mul_f32_e32 v5, v8, v5
.LBB5_86:
	s_or_b32 exec_lo, exec_lo, s1
	v_cmp_gt_u32_e64 s0, 4, v0
	ds_store_b32 v27, v6
	s_wait_dscnt 0x0
	s_barrier_signal -1
	s_barrier_wait -1
	s_and_saveexec_b32 s1, s0
	s_cbranch_execz .LBB5_96
; %bb.87:
	v_cmp_ne_u32_e32 vcc_lo, 1, v10
	s_cbranch_vccnz .LBB5_89
; %bb.88:
	v_cmp_eq_u32_e32 vcc_lo, 1, v0
	ds_load_b32 v9, v27
	v_cndmask_b32_e32 v8, v2, v3, vcc_lo
	v_cmp_eq_u32_e32 vcc_lo, 2, v0
	s_delay_alu instid0(VALU_DEP_2) | instskip(SKIP_1) | instid1(VALU_DEP_2)
	v_cndmask_b32_e32 v8, v8, v4, vcc_lo
	v_cmp_eq_u32_e32 vcc_lo, 3, v0
	v_cndmask_b32_e32 v8, v8, v5, vcc_lo
	v_cmp_eq_u32_e32 vcc_lo, 4, v0
	s_delay_alu instid0(VALU_DEP_2) | instskip(SKIP_1) | instid1(VALU_DEP_2)
	v_cndmask_b32_e32 v8, v8, v6, vcc_lo
	v_cmp_eq_u32_e32 vcc_lo, 5, v0
	v_cndmask_b32_e32 v8, v8, v7, vcc_lo
	s_wait_dscnt 0x0
	s_delay_alu instid0(VALU_DEP_1)
	v_mul_f32_e32 v11, v8, v9
	s_cbranch_execz .LBB5_90
	s_branch .LBB5_91
.LBB5_89:
                                        ; implicit-def: $vgpr11
.LBB5_90:
	ds_load_b32 v11, v27
.LBB5_91:
	s_mov_b32 s2, exec_lo
	v_cmpx_ne_u32_e32 3, v0
	s_cbranch_execz .LBB5_95
; %bb.92:
	v_mov_b64_e32 v[8:9], v[0:1]
	v_lshl_add_u32 v12, v0, 2, 36
	s_mov_b32 s3, 0
.LBB5_93:                               ; =>This Inner Loop Header: Depth=1
	s_delay_alu instid0(VALU_DEP_2)
	v_add_nc_u64_e32 v[8:9], 1, v[8:9]
	ds_load_b32 v26, v12
	v_add_nc_u32_e32 v12, 4, v12
	v_cmp_eq_u32_e32 vcc_lo, 1, v8
	v_cndmask_b32_e32 v13, v2, v3, vcc_lo
	v_cmp_eq_u32_e32 vcc_lo, 2, v8
	s_delay_alu instid0(VALU_DEP_2) | instskip(SKIP_1) | instid1(VALU_DEP_2)
	v_cndmask_b32_e32 v13, v13, v4, vcc_lo
	v_cmp_eq_u32_e32 vcc_lo, 3, v8
	v_cndmask_b32_e32 v13, v13, v5, vcc_lo
	v_cmp_eq_u32_e32 vcc_lo, 4, v8
	s_delay_alu instid0(VALU_DEP_2) | instskip(SKIP_1) | instid1(VALU_DEP_2)
	v_cndmask_b32_e32 v13, v13, v6, vcc_lo
	v_cmp_eq_u32_e32 vcc_lo, 5, v8
	v_cndmask_b32_e32 v13, v13, v7, vcc_lo
	v_cmp_lt_u32_e32 vcc_lo, 2, v8
	s_wait_dscnt 0x0
	s_delay_alu instid0(VALU_DEP_2) | instskip(SKIP_1) | instid1(SALU_CYCLE_1)
	v_fmac_f32_e32 v11, v13, v26
	s_or_b32 s3, vcc_lo, s3
	s_and_not1_b32 exec_lo, exec_lo, s3
	s_cbranch_execnz .LBB5_93
; %bb.94:
	s_or_b32 exec_lo, exec_lo, s3
.LBB5_95:
	s_delay_alu instid0(SALU_CYCLE_1)
	s_or_b32 exec_lo, exec_lo, s2
	v_mov_b32_e32 v6, 0
	ds_load_b32 v6, v6 offset:16
	s_wait_dscnt 0x0
	v_mul_f32_e32 v6, v11, v6
.LBB5_96:
	s_or_b32 exec_lo, exec_lo, s1
	s_delay_alu instid0(SALU_CYCLE_1)
	s_mov_b32 s1, exec_lo
	ds_store_b32 v27, v7
	s_wait_dscnt 0x0
	s_barrier_signal -1
	s_barrier_wait -1
	v_cmpx_ne_u32_e32 5, v0
	s_cbranch_execz .LBB5_106
; %bb.97:
	v_cmp_ne_u32_e32 vcc_lo, 1, v10
	s_cbranch_vccnz .LBB5_99
; %bb.98:
	v_cmp_eq_u32_e32 vcc_lo, 1, v0
	ds_load_b32 v9, v27
	v_cndmask_b32_e32 v8, v2, v3, vcc_lo
	v_cmp_eq_u32_e32 vcc_lo, 2, v0
	s_delay_alu instid0(VALU_DEP_2) | instskip(SKIP_1) | instid1(VALU_DEP_2)
	v_cndmask_b32_e32 v8, v8, v4, vcc_lo
	v_cmp_eq_u32_e32 vcc_lo, 3, v0
	v_cndmask_b32_e32 v8, v8, v5, vcc_lo
	v_cmp_eq_u32_e32 vcc_lo, 4, v0
	s_delay_alu instid0(VALU_DEP_2) | instskip(SKIP_1) | instid1(VALU_DEP_2)
	v_cndmask_b32_e32 v8, v8, v6, vcc_lo
	v_cmp_eq_u32_e32 vcc_lo, 5, v0
	v_cndmask_b32_e32 v8, v8, v7, vcc_lo
	s_wait_dscnt 0x0
	s_delay_alu instid0(VALU_DEP_1)
	v_mul_f32_e32 v8, v8, v9
	s_cbranch_execz .LBB5_100
	s_branch .LBB5_101
.LBB5_99:
                                        ; implicit-def: $vgpr8
.LBB5_100:
	ds_load_b32 v8, v27
.LBB5_101:
	s_and_saveexec_b32 s2, s0
	s_cbranch_execz .LBB5_105
; %bb.102:
	v_lshl_add_u32 v9, v0, 2, 36
	s_mov_b32 s0, 0
.LBB5_103:                              ; =>This Inner Loop Header: Depth=1
	v_add_nc_u64_e32 v[0:1], 1, v[0:1]
	ds_load_b32 v11, v9
	v_add_nc_u32_e32 v9, 4, v9
	v_cmp_eq_u32_e32 vcc_lo, 1, v0
	v_cndmask_b32_e32 v10, v2, v3, vcc_lo
	v_cmp_eq_u32_e32 vcc_lo, 2, v0
	s_delay_alu instid0(VALU_DEP_2) | instskip(SKIP_1) | instid1(VALU_DEP_2)
	v_cndmask_b32_e32 v10, v10, v4, vcc_lo
	v_cmp_eq_u32_e32 vcc_lo, 3, v0
	v_cndmask_b32_e32 v10, v10, v5, vcc_lo
	v_cmp_eq_u32_e32 vcc_lo, 4, v0
	s_delay_alu instid0(VALU_DEP_2) | instskip(SKIP_1) | instid1(VALU_DEP_2)
	v_cndmask_b32_e32 v10, v10, v6, vcc_lo
	v_cmp_eq_u32_e32 vcc_lo, 5, v0
	v_cndmask_b32_e32 v10, v10, v7, vcc_lo
	v_cmp_lt_u32_e32 vcc_lo, 3, v0
	s_wait_dscnt 0x0
	s_delay_alu instid0(VALU_DEP_2) | instskip(SKIP_1) | instid1(SALU_CYCLE_1)
	v_fmac_f32_e32 v8, v10, v11
	s_or_b32 s0, vcc_lo, s0
	s_and_not1_b32 exec_lo, exec_lo, s0
	s_cbranch_execnz .LBB5_103
; %bb.104:
	s_or_b32 exec_lo, exec_lo, s0
.LBB5_105:
	s_delay_alu instid0(SALU_CYCLE_1)
	s_or_b32 exec_lo, exec_lo, s2
	v_mov_b32_e32 v0, 0
	ds_load_b32 v0, v0 offset:20
	s_wait_dscnt 0x0
	v_mul_f32_e32 v7, v8, v0
.LBB5_106:
	s_or_b32 exec_lo, exec_lo, s1
	s_delay_alu instid0(VALU_DEP_1)
	v_mov_b64_e32 v[12:13], v[6:7]
	v_mov_b64_e32 v[10:11], v[4:5]
	;; [unrolled: 1-line block ×3, first 2 shown]
.LBB5_107:
	s_wait_xcnt 0x5
	v_lshl_add_u64 v[0:1], v[14:15], 2, s[6:7]
	s_wait_loadcnt 0x4
	v_lshl_add_u64 v[2:3], v[20:21], 2, s[6:7]
	s_wait_loadcnt 0x2
	;; [unrolled: 2-line block ×3, first 2 shown]
	v_lshl_add_u64 v[6:7], v[24:25], 2, s[6:7]
	s_clause 0x5
	global_store_b32 v[16:17], v8, off
	global_store_b32 v[18:19], v9, off
	;; [unrolled: 1-line block ×6, first 2 shown]
.LBB5_108:
	s_endpgm
	.section	.rodata,"a",@progbits
	.p2align	6, 0x0
	.amdhsa_kernel _ZN9rocsolver6v33100L18trti2_kernel_smallILi6EfPfEEv13rocblas_fill_17rocblas_diagonal_T1_iil
		.amdhsa_group_segment_fixed_size 56
		.amdhsa_private_segment_fixed_size 0
		.amdhsa_kernarg_size 32
		.amdhsa_user_sgpr_count 2
		.amdhsa_user_sgpr_dispatch_ptr 0
		.amdhsa_user_sgpr_queue_ptr 0
		.amdhsa_user_sgpr_kernarg_segment_ptr 1
		.amdhsa_user_sgpr_dispatch_id 0
		.amdhsa_user_sgpr_kernarg_preload_length 0
		.amdhsa_user_sgpr_kernarg_preload_offset 0
		.amdhsa_user_sgpr_private_segment_size 0
		.amdhsa_wavefront_size32 1
		.amdhsa_uses_dynamic_stack 0
		.amdhsa_enable_private_segment 0
		.amdhsa_system_sgpr_workgroup_id_x 1
		.amdhsa_system_sgpr_workgroup_id_y 0
		.amdhsa_system_sgpr_workgroup_id_z 0
		.amdhsa_system_sgpr_workgroup_info 0
		.amdhsa_system_vgpr_workitem_id 0
		.amdhsa_next_free_vgpr 40
		.amdhsa_next_free_sgpr 16
		.amdhsa_named_barrier_count 0
		.amdhsa_reserve_vcc 1
		.amdhsa_float_round_mode_32 0
		.amdhsa_float_round_mode_16_64 0
		.amdhsa_float_denorm_mode_32 3
		.amdhsa_float_denorm_mode_16_64 3
		.amdhsa_fp16_overflow 0
		.amdhsa_memory_ordered 1
		.amdhsa_forward_progress 1
		.amdhsa_inst_pref_size 45
		.amdhsa_round_robin_scheduling 0
		.amdhsa_exception_fp_ieee_invalid_op 0
		.amdhsa_exception_fp_denorm_src 0
		.amdhsa_exception_fp_ieee_div_zero 0
		.amdhsa_exception_fp_ieee_overflow 0
		.amdhsa_exception_fp_ieee_underflow 0
		.amdhsa_exception_fp_ieee_inexact 0
		.amdhsa_exception_int_div_zero 0
	.end_amdhsa_kernel
	.section	.text._ZN9rocsolver6v33100L18trti2_kernel_smallILi6EfPfEEv13rocblas_fill_17rocblas_diagonal_T1_iil,"axG",@progbits,_ZN9rocsolver6v33100L18trti2_kernel_smallILi6EfPfEEv13rocblas_fill_17rocblas_diagonal_T1_iil,comdat
.Lfunc_end5:
	.size	_ZN9rocsolver6v33100L18trti2_kernel_smallILi6EfPfEEv13rocblas_fill_17rocblas_diagonal_T1_iil, .Lfunc_end5-_ZN9rocsolver6v33100L18trti2_kernel_smallILi6EfPfEEv13rocblas_fill_17rocblas_diagonal_T1_iil
                                        ; -- End function
	.set _ZN9rocsolver6v33100L18trti2_kernel_smallILi6EfPfEEv13rocblas_fill_17rocblas_diagonal_T1_iil.num_vgpr, 40
	.set _ZN9rocsolver6v33100L18trti2_kernel_smallILi6EfPfEEv13rocblas_fill_17rocblas_diagonal_T1_iil.num_agpr, 0
	.set _ZN9rocsolver6v33100L18trti2_kernel_smallILi6EfPfEEv13rocblas_fill_17rocblas_diagonal_T1_iil.numbered_sgpr, 16
	.set _ZN9rocsolver6v33100L18trti2_kernel_smallILi6EfPfEEv13rocblas_fill_17rocblas_diagonal_T1_iil.num_named_barrier, 0
	.set _ZN9rocsolver6v33100L18trti2_kernel_smallILi6EfPfEEv13rocblas_fill_17rocblas_diagonal_T1_iil.private_seg_size, 0
	.set _ZN9rocsolver6v33100L18trti2_kernel_smallILi6EfPfEEv13rocblas_fill_17rocblas_diagonal_T1_iil.uses_vcc, 1
	.set _ZN9rocsolver6v33100L18trti2_kernel_smallILi6EfPfEEv13rocblas_fill_17rocblas_diagonal_T1_iil.uses_flat_scratch, 0
	.set _ZN9rocsolver6v33100L18trti2_kernel_smallILi6EfPfEEv13rocblas_fill_17rocblas_diagonal_T1_iil.has_dyn_sized_stack, 0
	.set _ZN9rocsolver6v33100L18trti2_kernel_smallILi6EfPfEEv13rocblas_fill_17rocblas_diagonal_T1_iil.has_recursion, 0
	.set _ZN9rocsolver6v33100L18trti2_kernel_smallILi6EfPfEEv13rocblas_fill_17rocblas_diagonal_T1_iil.has_indirect_call, 0
	.section	.AMDGPU.csdata,"",@progbits
; Kernel info:
; codeLenInByte = 5652
; TotalNumSgprs: 18
; NumVgprs: 40
; ScratchSize: 0
; MemoryBound: 0
; FloatMode: 240
; IeeeMode: 1
; LDSByteSize: 56 bytes/workgroup (compile time only)
; SGPRBlocks: 0
; VGPRBlocks: 2
; NumSGPRsForWavesPerEU: 18
; NumVGPRsForWavesPerEU: 40
; NamedBarCnt: 0
; Occupancy: 16
; WaveLimiterHint : 0
; COMPUTE_PGM_RSRC2:SCRATCH_EN: 0
; COMPUTE_PGM_RSRC2:USER_SGPR: 2
; COMPUTE_PGM_RSRC2:TRAP_HANDLER: 0
; COMPUTE_PGM_RSRC2:TGID_X_EN: 1
; COMPUTE_PGM_RSRC2:TGID_Y_EN: 0
; COMPUTE_PGM_RSRC2:TGID_Z_EN: 0
; COMPUTE_PGM_RSRC2:TIDIG_COMP_CNT: 0
	.section	.text._ZN9rocsolver6v33100L18trti2_kernel_smallILi7EfPfEEv13rocblas_fill_17rocblas_diagonal_T1_iil,"axG",@progbits,_ZN9rocsolver6v33100L18trti2_kernel_smallILi7EfPfEEv13rocblas_fill_17rocblas_diagonal_T1_iil,comdat
	.globl	_ZN9rocsolver6v33100L18trti2_kernel_smallILi7EfPfEEv13rocblas_fill_17rocblas_diagonal_T1_iil ; -- Begin function _ZN9rocsolver6v33100L18trti2_kernel_smallILi7EfPfEEv13rocblas_fill_17rocblas_diagonal_T1_iil
	.p2align	8
	.type	_ZN9rocsolver6v33100L18trti2_kernel_smallILi7EfPfEEv13rocblas_fill_17rocblas_diagonal_T1_iil,@function
_ZN9rocsolver6v33100L18trti2_kernel_smallILi7EfPfEEv13rocblas_fill_17rocblas_diagonal_T1_iil: ; @_ZN9rocsolver6v33100L18trti2_kernel_smallILi7EfPfEEv13rocblas_fill_17rocblas_diagonal_T1_iil
; %bb.0:
	s_mov_b32 s2, exec_lo
	v_cmpx_gt_u32_e32 7, v0
	s_cbranch_execz .LBB6_134
; %bb.1:
	s_load_b256 s[8:15], s[0:1], 0x0
	s_wait_xcnt 0x0
	s_bfe_u32 s1, ttmp6, 0x4000c
	s_and_b32 s0, ttmp6, 15
	s_add_co_i32 s1, s1, 1
	s_getreg_b32 s2, hwreg(HW_REG_IB_STS2, 6, 4)
	s_mul_i32 s1, ttmp9, s1
	v_dual_mov_b32 v1, 0 :: v_dual_lshlrev_b32 v10, 2, v0
	s_add_co_i32 s0, s0, s1
	s_wait_kmcnt 0x0
	s_ashr_i32 s1, s12, 31
	s_cmp_eq_u32 s2, 0
	v_add3_u32 v18, s13, s13, v0
	s_cselect_b32 s2, ttmp9, s0
	s_mov_b32 s0, s12
	s_ashr_i32 s3, s2, 31
	s_delay_alu instid0(VALU_DEP_1) | instskip(SKIP_3) | instid1(SALU_CYCLE_1)
	v_dual_mov_b32 v11, v1 :: v_dual_add_nc_u32 v20, s13, v18
	s_mul_u64 s[2:3], s[14:15], s[2:3]
	s_lshl_b64 s[0:1], s[0:1], 2
	s_lshl_b64 s[2:3], s[2:3], 2
	s_add_nc_u64 s[2:3], s[10:11], s[2:3]
	v_add_nc_u32_e32 v26, s13, v20
	s_add_nc_u64 s[10:11], s[2:3], s[0:1]
	s_mov_b32 s0, s13
	v_add_nc_u64_e32 v[22:23], s[10:11], v[10:11]
	s_ashr_i32 s1, s13, 31
	v_dual_mov_b32 v11, -1.0 :: v_dual_add_nc_u32 v28, s13, v26
	s_cmp_lg_u32 s9, 0x84
	s_cselect_b32 s7, -1, 0
	s_delay_alu instid0(VALU_DEP_2) | instskip(NEXT) | instid1(VALU_DEP_2)
	v_lshl_add_u64 v[24:25], s[0:1], 2, v[22:23]
	v_add_nc_u32_e32 v30, s13, v28
	v_cmp_eq_u32_e64 s0, 0, v0
	s_clause 0x6
	global_load_b32 v2, v0, s[10:11] scale_offset
	global_load_b32 v3, v[24:25], off
	global_load_b32 v4, v18, s[10:11] scale_offset
	global_load_b32 v5, v20, s[10:11] scale_offset
	;; [unrolled: 1-line block ×5, first 2 shown]
	s_cmp_eq_u32 s9, 0x84
	s_cbranch_scc1 .LBB6_3
; %bb.2:
	v_cmp_eq_u32_e64 s1, 1, v0
	v_cmp_eq_u32_e64 s2, 2, v0
	;; [unrolled: 1-line block ×5, first 2 shown]
	s_wait_loadcnt 0x5
	v_cndmask_b32_e64 v9, v2, v3, s1
	v_cmp_eq_u32_e64 s6, 6, v0
	s_wait_loadcnt 0x4
	s_delay_alu instid0(VALU_DEP_2) | instskip(SKIP_1) | instid1(VALU_DEP_1)
	v_cndmask_b32_e64 v9, v9, v4, s2
	s_wait_loadcnt 0x3
	v_cndmask_b32_e64 v9, v9, v5, s3
	s_wait_loadcnt 0x2
	s_delay_alu instid0(VALU_DEP_1) | instskip(SKIP_1) | instid1(VALU_DEP_1)
	v_cndmask_b32_e64 v9, v9, v6, s4
	s_wait_loadcnt 0x1
	v_cndmask_b32_e64 v9, v9, v7, s5
	s_wait_loadcnt 0x0
	s_delay_alu instid0(VALU_DEP_1) | instskip(NEXT) | instid1(VALU_DEP_1)
	v_cndmask_b32_e64 v9, v9, v8, s6
	v_div_scale_f32 v11, null, v9, v9, 1.0
	v_div_scale_f32 v14, vcc_lo, 1.0, v9, 1.0
	s_delay_alu instid0(VALU_DEP_2) | instskip(SKIP_1) | instid1(TRANS32_DEP_1)
	v_rcp_f32_e32 v12, v11
	v_nop
	v_fma_f32 v13, -v11, v12, 1.0
	s_delay_alu instid0(VALU_DEP_1) | instskip(NEXT) | instid1(VALU_DEP_1)
	v_fmac_f32_e32 v12, v13, v12
	v_mul_f32_e32 v13, v14, v12
	s_delay_alu instid0(VALU_DEP_1) | instskip(NEXT) | instid1(VALU_DEP_1)
	v_fma_f32 v15, -v11, v13, v14
	v_fmac_f32_e32 v13, v15, v12
	s_delay_alu instid0(VALU_DEP_1) | instskip(NEXT) | instid1(VALU_DEP_1)
	v_fma_f32 v11, -v11, v13, v14
	v_div_fmas_f32 v11, v11, v12, v13
	s_delay_alu instid0(VALU_DEP_1) | instskip(NEXT) | instid1(VALU_DEP_1)
	v_div_fixup_f32 v9, v11, v9, 1.0
	v_dual_cndmask_b32 v8, v8, v9, s6 :: v_dual_cndmask_b32 v7, v7, v9, s5
	v_dual_cndmask_b32 v6, v6, v9, s4 :: v_dual_cndmask_b32 v5, v5, v9, s3
	;; [unrolled: 1-line block ×3, first 2 shown]
	v_cndmask_b32_e64 v2, v2, v9, s0
	v_xor_b32_e32 v11, 0x80000000, v9
.LBB6_3:
	v_dual_ashrrev_i32 v19, 31, v18 :: v_dual_ashrrev_i32 v21, 31, v20
	v_dual_ashrrev_i32 v27, 31, v26 :: v_dual_ashrrev_i32 v29, 31, v28
	v_ashrrev_i32_e32 v31, 31, v30
	v_add_nc_u32_e32 v9, 32, v10
	s_cmp_eq_u32 s8, 0x79
	ds_store_b32 v10, v11
	s_cbranch_scc1 .LBB6_7
; %bb.4:
	s_wait_loadcnt 0x0
	v_dual_mov_b32 v16, v8 :: v_dual_mov_b32 v15, v7
	v_cmp_eq_u32_e64 s1, 6, v0
	v_dual_mov_b32 v14, v6 :: v_dual_mov_b32 v13, v5
	v_dual_mov_b32 v12, v4 :: v_dual_mov_b32 v11, v3
	v_mov_b32_e32 v10, v2
	ds_store_b32 v9, v7
	s_wait_dscnt 0x0
	s_barrier_signal -1
	s_barrier_wait -1
	s_and_saveexec_b32 s0, s1
	s_cbranch_execz .LBB6_11
; %bb.5:
	s_and_b32 vcc_lo, exec_lo, s7
	s_cbranch_vccz .LBB6_8
; %bb.6:
	v_cmp_eq_u32_e32 vcc_lo, 1, v0
	ds_load_b32 v11, v9
	v_cndmask_b32_e32 v10, v2, v3, vcc_lo
	v_cmp_eq_u32_e32 vcc_lo, 2, v0
	s_delay_alu instid0(VALU_DEP_2) | instskip(SKIP_1) | instid1(VALU_DEP_2)
	v_cndmask_b32_e32 v10, v10, v4, vcc_lo
	v_cmp_eq_u32_e32 vcc_lo, 3, v0
	v_cndmask_b32_e32 v10, v10, v5, vcc_lo
	v_cmp_eq_u32_e32 vcc_lo, 4, v0
	s_delay_alu instid0(VALU_DEP_2) | instskip(SKIP_1) | instid1(VALU_DEP_2)
	v_cndmask_b32_e32 v10, v10, v6, vcc_lo
	v_cmp_eq_u32_e32 vcc_lo, 5, v0
	v_cndmask_b32_e32 v10, v10, v7, vcc_lo
	v_cmp_eq_u32_e32 vcc_lo, 6, v0
	s_delay_alu instid0(VALU_DEP_2) | instskip(SKIP_1) | instid1(VALU_DEP_1)
	v_cndmask_b32_e32 v10, v10, v8, vcc_lo
	s_wait_dscnt 0x0
	v_mul_f32_e32 v10, v10, v11
	s_cbranch_execz .LBB6_9
	s_branch .LBB6_10
.LBB6_7:
                                        ; implicit-def: $vgpr10_vgpr11_vgpr12_vgpr13_vgpr14_vgpr15_vgpr16
	s_cbranch_execnz .LBB6_82
	s_branch .LBB6_133
.LBB6_8:
                                        ; implicit-def: $vgpr10
.LBB6_9:
	ds_load_b32 v10, v9
.LBB6_10:
	v_mov_b32_e32 v11, 0
	ds_load_b32 v11, v11 offset:20
	s_wait_dscnt 0x0
	v_dual_mul_f32 v17, v10, v11 :: v_dual_mov_b32 v16, v8
	v_dual_mov_b32 v15, v7 :: v_dual_mov_b32 v14, v6
	v_dual_mov_b32 v13, v5 :: v_dual_mov_b32 v12, v4
	;; [unrolled: 1-line block ×3, first 2 shown]
	s_delay_alu instid0(VALU_DEP_4)
	v_mov_b32_e32 v15, v17
.LBB6_11:
	s_or_b32 exec_lo, exec_lo, s0
	v_cmp_lt_u32_e64 s0, 4, v0
	ds_store_b32 v9, v14
	s_wait_dscnt 0x0
	s_barrier_signal -1
	s_barrier_wait -1
	s_and_saveexec_b32 s2, s0
	s_cbranch_execz .LBB6_17
; %bb.12:
	s_and_not1_b32 vcc_lo, exec_lo, s7
	s_cbranch_vccnz .LBB6_14
; %bb.13:
	v_cmp_eq_u32_e32 vcc_lo, 1, v0
	ds_load_b32 v32, v9
	v_cndmask_b32_e32 v17, v10, v11, vcc_lo
	v_cmp_eq_u32_e32 vcc_lo, 2, v0
	s_delay_alu instid0(VALU_DEP_2) | instskip(SKIP_1) | instid1(VALU_DEP_2)
	v_cndmask_b32_e32 v17, v17, v12, vcc_lo
	v_cmp_eq_u32_e32 vcc_lo, 3, v0
	v_cndmask_b32_e32 v17, v17, v13, vcc_lo
	v_cmp_eq_u32_e32 vcc_lo, 4, v0
	s_delay_alu instid0(VALU_DEP_2) | instskip(SKIP_1) | instid1(VALU_DEP_2)
	v_cndmask_b32_e32 v14, v17, v14, vcc_lo
	v_cmp_eq_u32_e32 vcc_lo, 5, v0
	v_cndmask_b32_e32 v14, v14, v15, vcc_lo
	v_cmp_eq_u32_e32 vcc_lo, 6, v0
	s_delay_alu instid0(VALU_DEP_2) | instskip(SKIP_1) | instid1(VALU_DEP_1)
	v_cndmask_b32_e32 v14, v14, v16, vcc_lo
	s_wait_dscnt 0x0
	v_mul_f32_e32 v14, v14, v32
	s_cbranch_execz .LBB6_15
	s_branch .LBB6_16
.LBB6_14:
                                        ; implicit-def: $vgpr14
.LBB6_15:
	ds_load_b32 v14, v9
.LBB6_16:
	v_mov_b32_e32 v17, 0
	ds_load_2addr_b32 v[32:33], v17 offset0:4 offset1:13
	s_wait_dscnt 0x0
	v_fma_f32 v17, v15, v33, v14
	s_delay_alu instid0(VALU_DEP_1) | instskip(NEXT) | instid1(VALU_DEP_1)
	v_cndmask_b32_e64 v14, v14, v17, s1
	v_mul_f32_e32 v14, v14, v32
.LBB6_17:
	s_or_b32 exec_lo, exec_lo, s2
	v_cmp_lt_u32_e64 s1, 3, v0
	ds_store_b32 v9, v13
	s_wait_dscnt 0x0
	s_barrier_signal -1
	s_barrier_wait -1
	s_and_saveexec_b32 s4, s1
	s_cbranch_execz .LBB6_33
; %bb.18:
	s_and_not1_b32 vcc_lo, exec_lo, s7
	s_cbranch_vccnz .LBB6_20
; %bb.19:
	v_cmp_eq_u32_e32 vcc_lo, 1, v0
	ds_load_b32 v32, v9
	v_cndmask_b32_e32 v17, v10, v11, vcc_lo
	v_cmp_eq_u32_e32 vcc_lo, 2, v0
	s_delay_alu instid0(VALU_DEP_2) | instskip(SKIP_1) | instid1(VALU_DEP_2)
	v_cndmask_b32_e32 v17, v17, v12, vcc_lo
	v_cmp_eq_u32_e32 vcc_lo, 3, v0
	v_cndmask_b32_e32 v17, v17, v13, vcc_lo
	v_cmp_eq_u32_e32 vcc_lo, 4, v0
	s_delay_alu instid0(VALU_DEP_2) | instskip(SKIP_1) | instid1(VALU_DEP_2)
	v_cndmask_b32_e32 v17, v17, v14, vcc_lo
	v_cmp_eq_u32_e32 vcc_lo, 5, v0
	v_cndmask_b32_e32 v17, v17, v15, vcc_lo
	v_cmp_eq_u32_e32 vcc_lo, 6, v0
	s_delay_alu instid0(VALU_DEP_2) | instskip(SKIP_1) | instid1(VALU_DEP_1)
	v_cndmask_b32_e32 v17, v17, v16, vcc_lo
	s_wait_dscnt 0x0
	v_mul_f32_e32 v17, v17, v32
	s_cbranch_execz .LBB6_21
	s_branch .LBB6_22
.LBB6_20:
                                        ; implicit-def: $vgpr17
.LBB6_21:
	ds_load_b32 v17, v9
.LBB6_22:
	s_and_saveexec_b32 s5, s0
	s_cbranch_execz .LBB6_32
; %bb.23:
	v_dual_add_nc_u32 v32, -5, v0 :: v_dual_add_nc_u32 v33, -4, v0
	v_mov_b32_e32 v34, 4
	s_mov_b32 s6, exec_lo
	s_delay_alu instid0(VALU_DEP_2)
	v_cmpx_lt_u32_e32 6, v32
	s_cbranch_execz .LBB6_27
; %bb.24:
	v_and_b32_e32 v32, -8, v33
	s_mov_b32 s8, 0
	s_mov_b64 s[2:3], 5
	s_mov_b32 s9, 48
	s_delay_alu instid0(VALU_DEP_1)
	v_sub_nc_u32_e32 v32, 0, v32
.LBB6_25:                               ; =>This Inner Loop Header: Depth=1
	s_add_co_i32 s0, s2, -1
	s_delay_alu instid0(SALU_CYCLE_1) | instskip(SKIP_1) | instid1(SALU_CYCLE_1)
	s_cmp_eq_u32 s0, 1
	s_cselect_b32 vcc_lo, -1, 0
	v_dual_mov_b32 v38, s9 :: v_dual_cndmask_b32 v42, v10, v11, vcc_lo
	s_cmp_eq_u32 s0, 2
	ds_load_b128 v[34:37], v38
	ds_load_b128 v[38:41], v38 offset:16
	s_cselect_b32 vcc_lo, -1, 0
	s_cmp_eq_u32 s0, 3
	v_cndmask_b32_e32 v42, v42, v12, vcc_lo
	s_cselect_b32 vcc_lo, -1, 0
	s_cmp_eq_u32 s0, 4
	s_delay_alu instid0(VALU_DEP_1) | instskip(SKIP_2) | instid1(VALU_DEP_1)
	v_cndmask_b32_e32 v42, v42, v13, vcc_lo
	s_cselect_b32 vcc_lo, -1, 0
	s_cmp_eq_u32 s0, 5
	v_cndmask_b32_e32 v42, v42, v14, vcc_lo
	s_cselect_b32 vcc_lo, -1, 0
	s_cmp_eq_u32 s0, 6
	s_delay_alu instid0(VALU_DEP_1)
	v_cndmask_b32_e32 v42, v42, v15, vcc_lo
	s_cselect_b32 vcc_lo, -1, 0
	s_cmp_eq_u32 s2, 1
	s_cselect_b32 s0, -1, 0
	s_cmp_eq_u32 s2, 2
	v_cndmask_b32_e64 v43, v10, v11, s0
	s_cselect_b32 s0, -1, 0
	v_cndmask_b32_e32 v42, v42, v16, vcc_lo
	s_cmp_eq_u32 s2, 3
	s_delay_alu instid0(VALU_DEP_2)
	v_cndmask_b32_e64 v43, v43, v12, s0
	s_cselect_b32 vcc_lo, -1, 0
	s_wait_dscnt 0x1
	v_fmac_f32_e32 v17, v42, v34
	s_cmp_eq_u32 s2, 4
	v_cndmask_b32_e32 v34, v43, v13, vcc_lo
	s_cselect_b32 vcc_lo, -1, 0
	s_cmp_eq_u32 s2, 5
	s_delay_alu instid0(VALU_DEP_1) | instskip(SKIP_2) | instid1(VALU_DEP_1)
	v_cndmask_b32_e32 v34, v34, v14, vcc_lo
	s_cselect_b32 vcc_lo, -1, 0
	s_cmp_eq_u32 s2, 6
	v_cndmask_b32_e32 v34, v34, v15, vcc_lo
	s_cselect_b32 vcc_lo, -1, 0
	s_add_co_i32 s12, s2, 1
	s_delay_alu instid0(SALU_CYCLE_1) | instskip(NEXT) | instid1(VALU_DEP_1)
	s_cmp_eq_u32 s12, 1
	v_cndmask_b32_e32 v34, v34, v16, vcc_lo
	s_cselect_b32 s0, -1, 0
	s_cmp_eq_u32 s12, 2
	v_cndmask_b32_e64 v42, v10, v11, s0
	s_cselect_b32 vcc_lo, -1, 0
	s_cmp_eq_u32 s12, 3
	s_delay_alu instid0(VALU_DEP_1) | instskip(SKIP_3) | instid1(VALU_DEP_2)
	v_cndmask_b32_e32 v42, v42, v12, vcc_lo
	s_cselect_b32 vcc_lo, -1, 0
	v_fmac_f32_e32 v17, v34, v35
	s_cmp_eq_u32 s12, 4
	v_cndmask_b32_e32 v34, v42, v13, vcc_lo
	s_cselect_b32 vcc_lo, -1, 0
	s_cmp_eq_u32 s12, 5
	s_delay_alu instid0(VALU_DEP_1) | instskip(SKIP_2) | instid1(VALU_DEP_1)
	v_cndmask_b32_e32 v34, v34, v14, vcc_lo
	s_cselect_b32 vcc_lo, -1, 0
	s_cmp_eq_u32 s12, 6
	v_cndmask_b32_e32 v34, v34, v15, vcc_lo
	s_cselect_b32 vcc_lo, -1, 0
	s_add_co_i32 s12, s2, 2
	s_delay_alu instid0(SALU_CYCLE_1) | instskip(NEXT) | instid1(VALU_DEP_1)
	s_cmp_eq_u32 s12, 1
	v_cndmask_b32_e32 v34, v34, v16, vcc_lo
	s_cselect_b32 s0, -1, 0
	s_cmp_eq_u32 s12, 2
	v_cndmask_b32_e64 v35, v10, v11, s0
	s_cselect_b32 vcc_lo, -1, 0
	s_cmp_eq_u32 s12, 3
	v_fmac_f32_e32 v17, v34, v36
	s_delay_alu instid0(VALU_DEP_2) | instskip(SKIP_2) | instid1(VALU_DEP_1)
	v_cndmask_b32_e32 v35, v35, v12, vcc_lo
	s_cselect_b32 vcc_lo, -1, 0
	s_cmp_eq_u32 s12, 4
	v_cndmask_b32_e32 v34, v35, v13, vcc_lo
	s_cselect_b32 vcc_lo, -1, 0
	s_cmp_eq_u32 s12, 5
	s_delay_alu instid0(VALU_DEP_1) | instskip(SKIP_2) | instid1(VALU_DEP_1)
	v_cndmask_b32_e32 v34, v34, v14, vcc_lo
	s_cselect_b32 vcc_lo, -1, 0
	s_cmp_eq_u32 s12, 6
	v_cndmask_b32_e32 v34, v34, v15, vcc_lo
	s_cselect_b32 vcc_lo, -1, 0
	s_add_co_i32 s12, s2, 3
	s_delay_alu instid0(SALU_CYCLE_1) | instskip(NEXT) | instid1(VALU_DEP_1)
	s_cmp_eq_u32 s12, 1
	v_cndmask_b32_e32 v34, v34, v16, vcc_lo
	s_cselect_b32 s0, -1, 0
	s_cmp_eq_u32 s12, 2
	v_cndmask_b32_e64 v35, v10, v11, s0
	s_cselect_b32 vcc_lo, -1, 0
	s_cmp_eq_u32 s12, 3
	s_delay_alu instid0(VALU_DEP_1) | instskip(SKIP_2) | instid1(VALU_DEP_1)
	v_dual_fmac_f32 v17, v34, v37 :: v_dual_cndmask_b32 v35, v35, v12, vcc_lo
	s_cselect_b32 vcc_lo, -1, 0
	s_cmp_eq_u32 s12, 4
	v_cndmask_b32_e32 v34, v35, v13, vcc_lo
	s_cselect_b32 vcc_lo, -1, 0
	s_cmp_eq_u32 s12, 5
	s_delay_alu instid0(VALU_DEP_1) | instskip(SKIP_2) | instid1(VALU_DEP_1)
	v_cndmask_b32_e32 v34, v34, v14, vcc_lo
	s_cselect_b32 vcc_lo, -1, 0
	s_cmp_eq_u32 s12, 6
	v_cndmask_b32_e32 v34, v34, v15, vcc_lo
	s_cselect_b32 vcc_lo, -1, 0
	s_add_co_i32 s12, s2, 4
	s_delay_alu instid0(SALU_CYCLE_1) | instskip(NEXT) | instid1(VALU_DEP_1)
	s_cmp_eq_u32 s12, 1
	v_cndmask_b32_e32 v34, v34, v16, vcc_lo
	s_cselect_b32 s0, -1, 0
	s_cmp_eq_u32 s12, 2
	v_cndmask_b32_e64 v35, v10, v11, s0
	s_cselect_b32 vcc_lo, -1, 0
	s_cmp_eq_u32 s12, 3
	s_delay_alu instid0(VALU_DEP_1)
	v_cndmask_b32_e32 v35, v35, v12, vcc_lo
	s_cselect_b32 vcc_lo, -1, 0
	s_wait_dscnt 0x0
	v_fmac_f32_e32 v17, v34, v38
	s_cmp_eq_u32 s12, 4
	v_cndmask_b32_e32 v34, v35, v13, vcc_lo
	s_cselect_b32 vcc_lo, -1, 0
	s_cmp_eq_u32 s12, 5
	s_delay_alu instid0(VALU_DEP_1) | instskip(SKIP_2) | instid1(VALU_DEP_1)
	v_cndmask_b32_e32 v34, v34, v14, vcc_lo
	s_cselect_b32 vcc_lo, -1, 0
	s_cmp_eq_u32 s12, 6
	v_cndmask_b32_e32 v34, v34, v15, vcc_lo
	s_cselect_b32 vcc_lo, -1, 0
	s_add_co_i32 s12, s2, 5
	s_delay_alu instid0(SALU_CYCLE_1) | instskip(NEXT) | instid1(VALU_DEP_1)
	s_cmp_eq_u32 s12, 1
	v_cndmask_b32_e32 v34, v34, v16, vcc_lo
	s_cselect_b32 s0, -1, 0
	s_cmp_eq_u32 s12, 2
	v_cndmask_b32_e64 v35, v10, v11, s0
	s_cselect_b32 vcc_lo, -1, 0
	s_cmp_eq_u32 s12, 3
	s_delay_alu instid0(VALU_DEP_1) | instskip(SKIP_2) | instid1(VALU_DEP_1)
	v_dual_fmac_f32 v17, v34, v39 :: v_dual_cndmask_b32 v35, v35, v12, vcc_lo
	s_cselect_b32 vcc_lo, -1, 0
	s_cmp_eq_u32 s12, 4
	v_cndmask_b32_e32 v35, v35, v13, vcc_lo
	s_cselect_b32 vcc_lo, -1, 0
	s_cmp_eq_u32 s12, 5
	s_delay_alu instid0(VALU_DEP_1) | instskip(SKIP_2) | instid1(VALU_DEP_1)
	v_cndmask_b32_e32 v35, v35, v14, vcc_lo
	s_cselect_b32 vcc_lo, -1, 0
	s_cmp_eq_u32 s12, 6
	v_cndmask_b32_e32 v35, v35, v15, vcc_lo
	s_cselect_b32 vcc_lo, -1, 0
	s_add_co_i32 s12, s2, 6
	s_add_nc_u64 s[2:3], s[2:3], 8
	s_cmp_eq_u32 s12, 1
	v_cndmask_b32_e32 v35, v35, v16, vcc_lo
	s_cselect_b32 s0, -1, 0
	s_cmp_eq_u32 s12, 2
	v_cndmask_b32_e64 v36, v10, v11, s0
	s_cselect_b32 s0, -1, 0
	s_cmp_eq_u32 s12, 3
	s_delay_alu instid0(VALU_DEP_1) | instskip(SKIP_2) | instid1(VALU_DEP_1)
	v_cndmask_b32_e64 v34, v36, v12, s0
	s_cselect_b32 s0, -1, 0
	s_cmp_eq_u32 s12, 4
	v_dual_add_nc_u32 v36, s2, v32 :: v_dual_cndmask_b32 v34, v34, v13, s0
	s_cselect_b32 s0, -1, 0
	s_cmp_eq_u32 s12, 5
	v_fmac_f32_e32 v17, v35, v40
	s_cselect_b32 vcc_lo, -1, 0
	v_cndmask_b32_e64 v34, v34, v14, s0
	s_cmp_eq_u32 s12, 6
	s_delay_alu instid0(VALU_DEP_1) | instskip(SKIP_3) | instid1(VALU_DEP_1)
	v_cndmask_b32_e32 v34, v34, v15, vcc_lo
	s_cselect_b32 vcc_lo, -1, 0
	s_add_co_i32 s0, s2, -1
	s_add_co_i32 s9, s9, 32
	v_cndmask_b32_e32 v35, v34, v16, vcc_lo
	v_cmp_eq_u32_e32 vcc_lo, 5, v36
	s_delay_alu instid0(VALU_DEP_2) | instskip(SKIP_1) | instid1(SALU_CYCLE_1)
	v_dual_mov_b32 v34, s0 :: v_dual_fmac_f32 v17, v35, v41
	s_or_b32 s8, vcc_lo, s8
	s_and_not1_b32 exec_lo, exec_lo, s8
	s_cbranch_execnz .LBB6_25
; %bb.26:
	s_or_b32 exec_lo, exec_lo, s8
.LBB6_27:
	s_delay_alu instid0(SALU_CYCLE_1) | instskip(SKIP_3) | instid1(VALU_DEP_1)
	s_or_b32 exec_lo, exec_lo, s6
	v_and_b32_e32 v32, 7, v33
	s_mov_b32 s2, 0
	s_mov_b32 s0, exec_lo
	v_cmpx_ne_u32_e32 0, v32
	s_cbranch_execz .LBB6_31
; %bb.28:
	v_lshl_add_u32 v33, v34, 2, 32
	v_mov_b32_e32 v35, 0
.LBB6_29:                               ; =>This Inner Loop Header: Depth=1
	v_cmp_eq_u32_e32 vcc_lo, 1, v34
	ds_load_b32 v37, v33
	v_dual_add_nc_u32 v32, -1, v32 :: v_dual_add_nc_u32 v33, 4, v33
	v_cndmask_b32_e32 v36, v10, v11, vcc_lo
	v_cmp_eq_u32_e32 vcc_lo, 2, v34
	s_delay_alu instid0(VALU_DEP_2) | instskip(SKIP_1) | instid1(VALU_DEP_2)
	v_cndmask_b32_e32 v36, v36, v12, vcc_lo
	v_cmp_eq_u32_e32 vcc_lo, 3, v34
	v_cndmask_b32_e32 v36, v36, v13, vcc_lo
	v_cmp_eq_u32_e32 vcc_lo, 4, v34
	s_delay_alu instid0(VALU_DEP_2) | instskip(SKIP_1) | instid1(VALU_DEP_2)
	v_cndmask_b32_e32 v36, v36, v14, vcc_lo
	v_cmp_eq_u32_e32 vcc_lo, 5, v34
	v_cndmask_b32_e32 v36, v36, v15, vcc_lo
	v_cmp_eq_u32_e32 vcc_lo, 6, v34
	v_add_nc_u64_e32 v[34:35], 1, v[34:35]
	s_delay_alu instid0(VALU_DEP_3) | instskip(SKIP_2) | instid1(VALU_DEP_2)
	v_cndmask_b32_e32 v36, v36, v16, vcc_lo
	v_cmp_eq_u32_e32 vcc_lo, 0, v32
	s_wait_dscnt 0x0
	v_fmac_f32_e32 v17, v36, v37
	s_or_b32 s2, vcc_lo, s2
	s_delay_alu instid0(SALU_CYCLE_1)
	s_and_not1_b32 exec_lo, exec_lo, s2
	s_cbranch_execnz .LBB6_29
; %bb.30:
	s_or_b32 exec_lo, exec_lo, s2
.LBB6_31:
	s_delay_alu instid0(SALU_CYCLE_1)
	s_or_b32 exec_lo, exec_lo, s0
.LBB6_32:
	s_delay_alu instid0(SALU_CYCLE_1)
	s_or_b32 exec_lo, exec_lo, s5
	v_mov_b32_e32 v13, 0
	ds_load_b32 v13, v13 offset:12
	s_wait_dscnt 0x0
	v_mul_f32_e32 v13, v17, v13
.LBB6_33:
	s_or_b32 exec_lo, exec_lo, s4
	v_cmp_lt_u32_e64 s0, 2, v0
	ds_store_b32 v9, v12
	s_wait_dscnt 0x0
	s_barrier_signal -1
	s_barrier_wait -1
	s_and_saveexec_b32 s4, s0
	s_cbranch_execz .LBB6_49
; %bb.34:
	s_and_not1_b32 vcc_lo, exec_lo, s7
	s_cbranch_vccnz .LBB6_36
; %bb.35:
	v_cmp_eq_u32_e32 vcc_lo, 1, v0
	ds_load_b32 v32, v9
	v_cndmask_b32_e32 v17, v10, v11, vcc_lo
	v_cmp_eq_u32_e32 vcc_lo, 2, v0
	s_delay_alu instid0(VALU_DEP_2) | instskip(SKIP_1) | instid1(VALU_DEP_2)
	v_cndmask_b32_e32 v17, v17, v12, vcc_lo
	v_cmp_eq_u32_e32 vcc_lo, 3, v0
	v_cndmask_b32_e32 v17, v17, v13, vcc_lo
	v_cmp_eq_u32_e32 vcc_lo, 4, v0
	s_delay_alu instid0(VALU_DEP_2) | instskip(SKIP_1) | instid1(VALU_DEP_2)
	v_cndmask_b32_e32 v17, v17, v14, vcc_lo
	v_cmp_eq_u32_e32 vcc_lo, 5, v0
	v_cndmask_b32_e32 v17, v17, v15, vcc_lo
	v_cmp_eq_u32_e32 vcc_lo, 6, v0
	s_delay_alu instid0(VALU_DEP_2) | instskip(SKIP_1) | instid1(VALU_DEP_1)
	v_cndmask_b32_e32 v17, v17, v16, vcc_lo
	s_wait_dscnt 0x0
	v_mul_f32_e32 v17, v17, v32
	s_cbranch_execz .LBB6_37
	s_branch .LBB6_38
.LBB6_36:
                                        ; implicit-def: $vgpr17
.LBB6_37:
	ds_load_b32 v17, v9
.LBB6_38:
	s_and_saveexec_b32 s5, s1
	s_cbranch_execz .LBB6_48
; %bb.39:
	v_dual_add_nc_u32 v32, -4, v0 :: v_dual_add_nc_u32 v33, -3, v0
	v_mov_b32_e32 v34, 3
	s_mov_b32 s6, exec_lo
	s_delay_alu instid0(VALU_DEP_2)
	v_cmpx_lt_u32_e32 6, v32
	s_cbranch_execz .LBB6_43
; %bb.40:
	v_and_b32_e32 v32, -8, v33
	s_mov_b32 s8, 0
	s_mov_b64 s[2:3], 10
	s_mov_b32 s9, 44
	s_delay_alu instid0(VALU_DEP_1)
	v_sub_nc_u32_e32 v32, 0, v32
.LBB6_41:                               ; =>This Inner Loop Header: Depth=1
	s_add_co_i32 s1, s2, -7
	s_delay_alu instid0(SALU_CYCLE_1) | instskip(SKIP_1) | instid1(SALU_CYCLE_1)
	s_cmp_eq_u32 s1, 1
	s_cselect_b32 vcc_lo, -1, 0
	v_dual_mov_b32 v40, s9 :: v_dual_cndmask_b32 v42, v10, v11, vcc_lo
	s_cmp_eq_u32 s1, 2
	ds_load_2addr_b32 v[34:35], v40 offset1:1
	ds_load_2addr_b32 v[36:37], v40 offset0:2 offset1:3
	ds_load_2addr_b32 v[38:39], v40 offset0:4 offset1:5
	;; [unrolled: 1-line block ×3, first 2 shown]
	s_cselect_b32 vcc_lo, -1, 0
	s_cmp_eq_u32 s1, 3
	v_cndmask_b32_e32 v42, v42, v12, vcc_lo
	s_cselect_b32 vcc_lo, -1, 0
	s_cmp_eq_u32 s1, 4
	s_delay_alu instid0(VALU_DEP_1) | instskip(SKIP_2) | instid1(VALU_DEP_1)
	v_cndmask_b32_e32 v42, v42, v13, vcc_lo
	s_cselect_b32 vcc_lo, -1, 0
	s_cmp_eq_u32 s1, 5
	v_cndmask_b32_e32 v42, v42, v14, vcc_lo
	s_cselect_b32 vcc_lo, -1, 0
	s_cmp_eq_u32 s1, 6
	s_delay_alu instid0(VALU_DEP_1) | instskip(SKIP_2) | instid1(SALU_CYCLE_1)
	v_cndmask_b32_e32 v42, v42, v15, vcc_lo
	s_cselect_b32 vcc_lo, -1, 0
	s_add_co_i32 s12, s2, -6
	s_cmp_eq_u32 s12, 1
	s_delay_alu instid0(VALU_DEP_1)
	v_cndmask_b32_e32 v42, v42, v16, vcc_lo
	s_cselect_b32 s1, -1, 0
	s_cmp_eq_u32 s12, 2
	v_cndmask_b32_e64 v43, v10, v11, s1
	s_cselect_b32 vcc_lo, -1, 0
	s_cmp_eq_u32 s12, 3
	s_wait_dscnt 0x3
	s_delay_alu instid0(VALU_DEP_1) | instskip(SKIP_2) | instid1(VALU_DEP_1)
	v_dual_fmac_f32 v17, v42, v34 :: v_dual_cndmask_b32 v43, v43, v12, vcc_lo
	s_cselect_b32 vcc_lo, -1, 0
	s_cmp_eq_u32 s12, 4
	v_cndmask_b32_e32 v34, v43, v13, vcc_lo
	s_cselect_b32 vcc_lo, -1, 0
	s_cmp_eq_u32 s12, 5
	s_delay_alu instid0(VALU_DEP_1) | instskip(SKIP_2) | instid1(VALU_DEP_1)
	v_cndmask_b32_e32 v34, v34, v14, vcc_lo
	s_cselect_b32 vcc_lo, -1, 0
	s_cmp_eq_u32 s12, 6
	v_cndmask_b32_e32 v34, v34, v15, vcc_lo
	s_cselect_b32 vcc_lo, -1, 0
	s_add_co_i32 s12, s2, -5
	s_delay_alu instid0(SALU_CYCLE_1) | instskip(NEXT) | instid1(VALU_DEP_1)
	s_cmp_eq_u32 s12, 1
	v_cndmask_b32_e32 v34, v34, v16, vcc_lo
	s_cselect_b32 s1, -1, 0
	s_cmp_eq_u32 s12, 2
	v_cndmask_b32_e64 v42, v10, v11, s1
	s_cselect_b32 vcc_lo, -1, 0
	s_cmp_eq_u32 s12, 3
	s_delay_alu instid0(VALU_DEP_1) | instskip(SKIP_3) | instid1(VALU_DEP_2)
	v_cndmask_b32_e32 v42, v42, v12, vcc_lo
	s_cselect_b32 vcc_lo, -1, 0
	v_fmac_f32_e32 v17, v34, v35
	s_cmp_eq_u32 s12, 4
	v_cndmask_b32_e32 v34, v42, v13, vcc_lo
	s_cselect_b32 vcc_lo, -1, 0
	s_cmp_eq_u32 s12, 5
	s_delay_alu instid0(VALU_DEP_1) | instskip(SKIP_2) | instid1(VALU_DEP_1)
	v_cndmask_b32_e32 v34, v34, v14, vcc_lo
	s_cselect_b32 vcc_lo, -1, 0
	s_cmp_eq_u32 s12, 6
	v_cndmask_b32_e32 v34, v34, v15, vcc_lo
	s_cselect_b32 vcc_lo, -1, 0
	s_add_co_i32 s12, s2, -4
	s_delay_alu instid0(SALU_CYCLE_1) | instskip(NEXT) | instid1(VALU_DEP_1)
	s_cmp_eq_u32 s12, 1
	v_cndmask_b32_e32 v34, v34, v16, vcc_lo
	s_cselect_b32 s1, -1, 0
	s_cmp_eq_u32 s12, 2
	v_cndmask_b32_e64 v35, v10, v11, s1
	s_cselect_b32 vcc_lo, -1, 0
	s_cmp_eq_u32 s12, 3
	s_wait_dscnt 0x2
	v_fmac_f32_e32 v17, v34, v36
	v_cndmask_b32_e32 v35, v35, v12, vcc_lo
	s_cselect_b32 vcc_lo, -1, 0
	s_cmp_eq_u32 s12, 4
	s_delay_alu instid0(VALU_DEP_1) | instskip(SKIP_2) | instid1(VALU_DEP_1)
	v_cndmask_b32_e32 v34, v35, v13, vcc_lo
	s_cselect_b32 vcc_lo, -1, 0
	s_cmp_eq_u32 s12, 5
	v_cndmask_b32_e32 v34, v34, v14, vcc_lo
	s_cselect_b32 vcc_lo, -1, 0
	s_cmp_eq_u32 s12, 6
	s_delay_alu instid0(VALU_DEP_1) | instskip(SKIP_2) | instid1(SALU_CYCLE_1)
	v_cndmask_b32_e32 v34, v34, v15, vcc_lo
	s_cselect_b32 vcc_lo, -1, 0
	s_add_co_i32 s12, s2, -3
	s_cmp_eq_u32 s12, 1
	s_delay_alu instid0(VALU_DEP_1)
	v_cndmask_b32_e32 v34, v34, v16, vcc_lo
	s_cselect_b32 s1, -1, 0
	s_cmp_eq_u32 s12, 2
	v_cndmask_b32_e64 v35, v10, v11, s1
	s_cselect_b32 vcc_lo, -1, 0
	s_cmp_eq_u32 s12, 3
	s_delay_alu instid0(VALU_DEP_1) | instskip(SKIP_2) | instid1(VALU_DEP_1)
	v_dual_fmac_f32 v17, v34, v37 :: v_dual_cndmask_b32 v35, v35, v12, vcc_lo
	s_cselect_b32 vcc_lo, -1, 0
	s_cmp_eq_u32 s12, 4
	v_cndmask_b32_e32 v34, v35, v13, vcc_lo
	s_cselect_b32 vcc_lo, -1, 0
	s_cmp_eq_u32 s12, 5
	s_delay_alu instid0(VALU_DEP_1) | instskip(SKIP_2) | instid1(VALU_DEP_1)
	v_cndmask_b32_e32 v34, v34, v14, vcc_lo
	s_cselect_b32 vcc_lo, -1, 0
	s_cmp_eq_u32 s12, 6
	v_cndmask_b32_e32 v34, v34, v15, vcc_lo
	s_cselect_b32 vcc_lo, -1, 0
	s_add_co_i32 s12, s2, -2
	s_delay_alu instid0(SALU_CYCLE_1) | instskip(NEXT) | instid1(VALU_DEP_1)
	s_cmp_eq_u32 s12, 1
	v_cndmask_b32_e32 v34, v34, v16, vcc_lo
	s_cselect_b32 s1, -1, 0
	s_cmp_eq_u32 s12, 2
	v_cndmask_b32_e64 v35, v10, v11, s1
	s_cselect_b32 vcc_lo, -1, 0
	s_cmp_eq_u32 s12, 3
	s_delay_alu instid0(VALU_DEP_1)
	v_cndmask_b32_e32 v35, v35, v12, vcc_lo
	s_cselect_b32 vcc_lo, -1, 0
	s_wait_dscnt 0x1
	v_fmac_f32_e32 v17, v34, v38
	s_cmp_eq_u32 s12, 4
	v_cndmask_b32_e32 v34, v35, v13, vcc_lo
	s_cselect_b32 vcc_lo, -1, 0
	s_cmp_eq_u32 s12, 5
	s_delay_alu instid0(VALU_DEP_1) | instskip(SKIP_2) | instid1(VALU_DEP_1)
	v_cndmask_b32_e32 v34, v34, v14, vcc_lo
	s_cselect_b32 vcc_lo, -1, 0
	s_cmp_eq_u32 s12, 6
	v_cndmask_b32_e32 v34, v34, v15, vcc_lo
	s_cselect_b32 vcc_lo, -1, 0
	s_add_co_i32 s12, s2, -1
	s_delay_alu instid0(SALU_CYCLE_1) | instskip(NEXT) | instid1(VALU_DEP_1)
	s_cmp_eq_u32 s12, 1
	v_cndmask_b32_e32 v34, v34, v16, vcc_lo
	s_cselect_b32 s1, -1, 0
	s_cmp_eq_u32 s12, 2
	v_cndmask_b32_e64 v35, v10, v11, s1
	s_cselect_b32 vcc_lo, -1, 0
	s_cmp_eq_u32 s12, 3
	s_delay_alu instid0(VALU_DEP_1) | instskip(SKIP_3) | instid1(VALU_DEP_2)
	v_cndmask_b32_e32 v35, v35, v12, vcc_lo
	s_cselect_b32 vcc_lo, -1, 0
	v_fmac_f32_e32 v17, v34, v39
	s_cmp_eq_u32 s12, 4
	v_cndmask_b32_e32 v34, v35, v13, vcc_lo
	s_cselect_b32 vcc_lo, -1, 0
	s_cmp_eq_u32 s12, 5
	s_delay_alu instid0(VALU_DEP_1) | instskip(SKIP_2) | instid1(VALU_DEP_1)
	v_cndmask_b32_e32 v34, v34, v14, vcc_lo
	s_cselect_b32 vcc_lo, -1, 0
	s_cmp_eq_u32 s12, 6
	v_cndmask_b32_e32 v34, v34, v15, vcc_lo
	s_cselect_b32 vcc_lo, -1, 0
	s_cmp_eq_u32 s2, 1
	s_cselect_b32 s1, -1, 0
	s_cmp_eq_u32 s2, 2
	v_cndmask_b32_e64 v35, v10, v11, s1
	s_cselect_b32 s1, -1, 0
	s_cmp_eq_u32 s2, 3
	v_cndmask_b32_e32 v34, v34, v16, vcc_lo
	s_cselect_b32 vcc_lo, -1, 0
	v_cndmask_b32_e64 v35, v35, v12, s1
	s_cmp_eq_u32 s2, 4
	s_wait_dscnt 0x0
	s_delay_alu instid0(VALU_DEP_1) | instskip(SKIP_2) | instid1(VALU_DEP_1)
	v_dual_fmac_f32 v17, v34, v40 :: v_dual_cndmask_b32 v35, v35, v13, vcc_lo
	s_cselect_b32 vcc_lo, -1, 0
	s_cmp_eq_u32 s2, 5
	v_cndmask_b32_e32 v35, v35, v14, vcc_lo
	s_cselect_b32 vcc_lo, -1, 0
	s_cmp_eq_u32 s2, 6
	s_add_nc_u64 s[2:3], s[2:3], 8
	s_delay_alu instid0(VALU_DEP_1) | instid1(SALU_CYCLE_1)
	v_dual_cndmask_b32 v35, v35, v15 :: v_dual_add_nc_u32 v36, s2, v32
	s_cselect_b32 vcc_lo, -1, 0
	s_add_co_i32 s1, s2, -7
	s_add_co_i32 s9, s9, 32
	s_delay_alu instid0(VALU_DEP_1) | instskip(SKIP_1) | instid1(VALU_DEP_2)
	v_cndmask_b32_e32 v35, v35, v16, vcc_lo
	v_cmp_eq_u32_e32 vcc_lo, 10, v36
	v_dual_mov_b32 v34, s1 :: v_dual_fmac_f32 v17, v35, v41
	s_or_b32 s8, vcc_lo, s8
	s_delay_alu instid0(SALU_CYCLE_1)
	s_and_not1_b32 exec_lo, exec_lo, s8
	s_cbranch_execnz .LBB6_41
; %bb.42:
	s_or_b32 exec_lo, exec_lo, s8
.LBB6_43:
	s_delay_alu instid0(SALU_CYCLE_1) | instskip(SKIP_3) | instid1(VALU_DEP_1)
	s_or_b32 exec_lo, exec_lo, s6
	v_and_b32_e32 v32, 7, v33
	s_mov_b32 s2, 0
	s_mov_b32 s1, exec_lo
	v_cmpx_ne_u32_e32 0, v32
	s_cbranch_execz .LBB6_47
; %bb.44:
	v_lshl_add_u32 v33, v34, 2, 32
	v_mov_b32_e32 v35, 0
.LBB6_45:                               ; =>This Inner Loop Header: Depth=1
	v_cmp_eq_u32_e32 vcc_lo, 1, v34
	ds_load_b32 v37, v33
	v_dual_add_nc_u32 v32, -1, v32 :: v_dual_add_nc_u32 v33, 4, v33
	v_cndmask_b32_e32 v36, v10, v11, vcc_lo
	v_cmp_eq_u32_e32 vcc_lo, 2, v34
	s_delay_alu instid0(VALU_DEP_2) | instskip(SKIP_1) | instid1(VALU_DEP_2)
	v_cndmask_b32_e32 v36, v36, v12, vcc_lo
	v_cmp_eq_u32_e32 vcc_lo, 3, v34
	v_cndmask_b32_e32 v36, v36, v13, vcc_lo
	v_cmp_eq_u32_e32 vcc_lo, 4, v34
	s_delay_alu instid0(VALU_DEP_2) | instskip(SKIP_1) | instid1(VALU_DEP_2)
	v_cndmask_b32_e32 v36, v36, v14, vcc_lo
	v_cmp_eq_u32_e32 vcc_lo, 5, v34
	v_cndmask_b32_e32 v36, v36, v15, vcc_lo
	v_cmp_eq_u32_e32 vcc_lo, 6, v34
	v_add_nc_u64_e32 v[34:35], 1, v[34:35]
	s_delay_alu instid0(VALU_DEP_3) | instskip(SKIP_2) | instid1(VALU_DEP_2)
	v_cndmask_b32_e32 v36, v36, v16, vcc_lo
	v_cmp_eq_u32_e32 vcc_lo, 0, v32
	s_wait_dscnt 0x0
	v_fmac_f32_e32 v17, v36, v37
	s_or_b32 s2, vcc_lo, s2
	s_delay_alu instid0(SALU_CYCLE_1)
	s_and_not1_b32 exec_lo, exec_lo, s2
	s_cbranch_execnz .LBB6_45
; %bb.46:
	s_or_b32 exec_lo, exec_lo, s2
.LBB6_47:
	s_delay_alu instid0(SALU_CYCLE_1)
	s_or_b32 exec_lo, exec_lo, s1
.LBB6_48:
	s_delay_alu instid0(SALU_CYCLE_1)
	s_or_b32 exec_lo, exec_lo, s5
	v_mov_b32_e32 v12, 0
	ds_load_b32 v12, v12 offset:8
	s_wait_dscnt 0x0
	v_mul_f32_e32 v12, v17, v12
.LBB6_49:
	s_or_b32 exec_lo, exec_lo, s4
	v_cmp_lt_u32_e64 s1, 1, v0
	ds_store_b32 v9, v11
	s_wait_dscnt 0x0
	s_barrier_signal -1
	s_barrier_wait -1
	s_and_saveexec_b32 s4, s1
	s_cbranch_execz .LBB6_65
; %bb.50:
	s_and_not1_b32 vcc_lo, exec_lo, s7
	s_cbranch_vccnz .LBB6_52
; %bb.51:
	v_cmp_eq_u32_e32 vcc_lo, 1, v0
	ds_load_b32 v32, v9
	v_cndmask_b32_e32 v17, v10, v11, vcc_lo
	v_cmp_eq_u32_e32 vcc_lo, 2, v0
	s_delay_alu instid0(VALU_DEP_2) | instskip(SKIP_1) | instid1(VALU_DEP_2)
	v_cndmask_b32_e32 v17, v17, v12, vcc_lo
	v_cmp_eq_u32_e32 vcc_lo, 3, v0
	v_cndmask_b32_e32 v17, v17, v13, vcc_lo
	v_cmp_eq_u32_e32 vcc_lo, 4, v0
	s_delay_alu instid0(VALU_DEP_2) | instskip(SKIP_1) | instid1(VALU_DEP_2)
	v_cndmask_b32_e32 v17, v17, v14, vcc_lo
	v_cmp_eq_u32_e32 vcc_lo, 5, v0
	v_cndmask_b32_e32 v17, v17, v15, vcc_lo
	v_cmp_eq_u32_e32 vcc_lo, 6, v0
	s_delay_alu instid0(VALU_DEP_2) | instskip(SKIP_1) | instid1(VALU_DEP_1)
	v_cndmask_b32_e32 v17, v17, v16, vcc_lo
	s_wait_dscnt 0x0
	v_mul_f32_e32 v17, v17, v32
	s_cbranch_execz .LBB6_53
	s_branch .LBB6_54
.LBB6_52:
                                        ; implicit-def: $vgpr17
.LBB6_53:
	ds_load_b32 v17, v9
.LBB6_54:
	s_and_saveexec_b32 s5, s0
	s_cbranch_execz .LBB6_64
; %bb.55:
	v_dual_add_nc_u32 v32, -3, v0 :: v_dual_add_nc_u32 v33, -2, v0
	v_mov_b32_e32 v34, 2
	s_mov_b32 s6, exec_lo
	s_delay_alu instid0(VALU_DEP_2)
	v_cmpx_lt_u32_e32 6, v32
	s_cbranch_execz .LBB6_59
; %bb.56:
	v_and_b32_e32 v32, -8, v33
	s_mov_b32 s8, 0
	s_mov_b64 s[2:3], 9
	s_mov_b32 s9, 40
	s_delay_alu instid0(VALU_DEP_1)
	v_sub_nc_u32_e32 v32, 0, v32
.LBB6_57:                               ; =>This Inner Loop Header: Depth=1
	s_add_co_i32 s0, s2, -7
	s_delay_alu instid0(SALU_CYCLE_1) | instskip(SKIP_1) | instid1(SALU_CYCLE_1)
	s_cmp_eq_u32 s0, 1
	s_cselect_b32 vcc_lo, -1, 0
	v_dual_mov_b32 v38, s9 :: v_dual_cndmask_b32 v42, v10, v11, vcc_lo
	s_cmp_eq_u32 s0, 2
	ds_load_2addr_b64 v[34:37], v38 offset1:1
	ds_load_2addr_b64 v[38:41], v38 offset0:2 offset1:3
	s_cselect_b32 vcc_lo, -1, 0
	s_cmp_eq_u32 s0, 3
	v_cndmask_b32_e32 v42, v42, v12, vcc_lo
	s_cselect_b32 vcc_lo, -1, 0
	s_cmp_eq_u32 s0, 4
	s_delay_alu instid0(VALU_DEP_1) | instskip(SKIP_2) | instid1(VALU_DEP_1)
	v_cndmask_b32_e32 v42, v42, v13, vcc_lo
	s_cselect_b32 vcc_lo, -1, 0
	s_cmp_eq_u32 s0, 5
	v_cndmask_b32_e32 v42, v42, v14, vcc_lo
	s_cselect_b32 vcc_lo, -1, 0
	s_cmp_eq_u32 s0, 6
	s_delay_alu instid0(VALU_DEP_1) | instskip(SKIP_2) | instid1(SALU_CYCLE_1)
	v_cndmask_b32_e32 v42, v42, v15, vcc_lo
	s_cselect_b32 vcc_lo, -1, 0
	s_add_co_i32 s12, s2, -6
	s_cmp_eq_u32 s12, 1
	s_delay_alu instid0(VALU_DEP_1)
	v_cndmask_b32_e32 v42, v42, v16, vcc_lo
	s_cselect_b32 s0, -1, 0
	s_cmp_eq_u32 s12, 2
	v_cndmask_b32_e64 v43, v10, v11, s0
	s_cselect_b32 vcc_lo, -1, 0
	s_cmp_eq_u32 s12, 3
	s_wait_dscnt 0x1
	s_delay_alu instid0(VALU_DEP_1) | instskip(SKIP_2) | instid1(VALU_DEP_1)
	v_dual_fmac_f32 v17, v42, v34 :: v_dual_cndmask_b32 v43, v43, v12, vcc_lo
	s_cselect_b32 vcc_lo, -1, 0
	s_cmp_eq_u32 s12, 4
	v_cndmask_b32_e32 v34, v43, v13, vcc_lo
	s_cselect_b32 vcc_lo, -1, 0
	s_cmp_eq_u32 s12, 5
	s_delay_alu instid0(VALU_DEP_1) | instskip(SKIP_2) | instid1(VALU_DEP_1)
	v_cndmask_b32_e32 v34, v34, v14, vcc_lo
	s_cselect_b32 vcc_lo, -1, 0
	s_cmp_eq_u32 s12, 6
	v_cndmask_b32_e32 v34, v34, v15, vcc_lo
	s_cselect_b32 vcc_lo, -1, 0
	s_add_co_i32 s12, s2, -5
	s_delay_alu instid0(SALU_CYCLE_1) | instskip(NEXT) | instid1(VALU_DEP_1)
	s_cmp_eq_u32 s12, 1
	v_cndmask_b32_e32 v34, v34, v16, vcc_lo
	s_cselect_b32 s0, -1, 0
	s_cmp_eq_u32 s12, 2
	v_cndmask_b32_e64 v42, v10, v11, s0
	s_cselect_b32 vcc_lo, -1, 0
	s_cmp_eq_u32 s12, 3
	s_delay_alu instid0(VALU_DEP_1) | instskip(SKIP_3) | instid1(VALU_DEP_2)
	v_cndmask_b32_e32 v42, v42, v12, vcc_lo
	s_cselect_b32 vcc_lo, -1, 0
	v_fmac_f32_e32 v17, v34, v35
	s_cmp_eq_u32 s12, 4
	v_cndmask_b32_e32 v34, v42, v13, vcc_lo
	s_cselect_b32 vcc_lo, -1, 0
	s_cmp_eq_u32 s12, 5
	s_delay_alu instid0(VALU_DEP_1) | instskip(SKIP_2) | instid1(VALU_DEP_1)
	v_cndmask_b32_e32 v34, v34, v14, vcc_lo
	s_cselect_b32 vcc_lo, -1, 0
	s_cmp_eq_u32 s12, 6
	v_cndmask_b32_e32 v34, v34, v15, vcc_lo
	s_cselect_b32 vcc_lo, -1, 0
	s_add_co_i32 s12, s2, -4
	s_delay_alu instid0(SALU_CYCLE_1) | instskip(NEXT) | instid1(VALU_DEP_1)
	s_cmp_eq_u32 s12, 1
	v_cndmask_b32_e32 v34, v34, v16, vcc_lo
	s_cselect_b32 s0, -1, 0
	s_cmp_eq_u32 s12, 2
	v_cndmask_b32_e64 v35, v10, v11, s0
	s_cselect_b32 vcc_lo, -1, 0
	s_cmp_eq_u32 s12, 3
	v_fmac_f32_e32 v17, v34, v36
	s_delay_alu instid0(VALU_DEP_2) | instskip(SKIP_2) | instid1(VALU_DEP_1)
	v_cndmask_b32_e32 v35, v35, v12, vcc_lo
	s_cselect_b32 vcc_lo, -1, 0
	s_cmp_eq_u32 s12, 4
	v_cndmask_b32_e32 v34, v35, v13, vcc_lo
	s_cselect_b32 vcc_lo, -1, 0
	s_cmp_eq_u32 s12, 5
	s_delay_alu instid0(VALU_DEP_1) | instskip(SKIP_2) | instid1(VALU_DEP_1)
	v_cndmask_b32_e32 v34, v34, v14, vcc_lo
	s_cselect_b32 vcc_lo, -1, 0
	s_cmp_eq_u32 s12, 6
	v_cndmask_b32_e32 v34, v34, v15, vcc_lo
	s_cselect_b32 vcc_lo, -1, 0
	s_add_co_i32 s12, s2, -3
	s_delay_alu instid0(SALU_CYCLE_1) | instskip(NEXT) | instid1(VALU_DEP_1)
	s_cmp_eq_u32 s12, 1
	v_cndmask_b32_e32 v34, v34, v16, vcc_lo
	s_cselect_b32 s0, -1, 0
	s_cmp_eq_u32 s12, 2
	v_cndmask_b32_e64 v35, v10, v11, s0
	s_cselect_b32 vcc_lo, -1, 0
	s_cmp_eq_u32 s12, 3
	s_delay_alu instid0(VALU_DEP_1) | instskip(SKIP_2) | instid1(VALU_DEP_1)
	v_dual_fmac_f32 v17, v34, v37 :: v_dual_cndmask_b32 v35, v35, v12, vcc_lo
	s_cselect_b32 vcc_lo, -1, 0
	s_cmp_eq_u32 s12, 4
	v_cndmask_b32_e32 v34, v35, v13, vcc_lo
	s_cselect_b32 vcc_lo, -1, 0
	s_cmp_eq_u32 s12, 5
	s_delay_alu instid0(VALU_DEP_1) | instskip(SKIP_2) | instid1(VALU_DEP_1)
	v_cndmask_b32_e32 v34, v34, v14, vcc_lo
	s_cselect_b32 vcc_lo, -1, 0
	s_cmp_eq_u32 s12, 6
	v_cndmask_b32_e32 v34, v34, v15, vcc_lo
	s_cselect_b32 vcc_lo, -1, 0
	s_add_co_i32 s12, s2, -2
	s_delay_alu instid0(SALU_CYCLE_1) | instskip(NEXT) | instid1(VALU_DEP_1)
	s_cmp_eq_u32 s12, 1
	v_cndmask_b32_e32 v34, v34, v16, vcc_lo
	s_cselect_b32 s0, -1, 0
	s_cmp_eq_u32 s12, 2
	v_cndmask_b32_e64 v35, v10, v11, s0
	s_cselect_b32 vcc_lo, -1, 0
	s_cmp_eq_u32 s12, 3
	s_delay_alu instid0(VALU_DEP_1)
	v_cndmask_b32_e32 v35, v35, v12, vcc_lo
	s_cselect_b32 vcc_lo, -1, 0
	s_wait_dscnt 0x0
	v_fmac_f32_e32 v17, v34, v38
	s_cmp_eq_u32 s12, 4
	v_cndmask_b32_e32 v34, v35, v13, vcc_lo
	s_cselect_b32 vcc_lo, -1, 0
	s_cmp_eq_u32 s12, 5
	s_delay_alu instid0(VALU_DEP_1) | instskip(SKIP_2) | instid1(VALU_DEP_1)
	v_cndmask_b32_e32 v34, v34, v14, vcc_lo
	s_cselect_b32 vcc_lo, -1, 0
	s_cmp_eq_u32 s12, 6
	v_cndmask_b32_e32 v34, v34, v15, vcc_lo
	s_cselect_b32 vcc_lo, -1, 0
	s_add_co_i32 s12, s2, -1
	s_delay_alu instid0(SALU_CYCLE_1) | instskip(NEXT) | instid1(VALU_DEP_1)
	s_cmp_eq_u32 s12, 1
	v_cndmask_b32_e32 v34, v34, v16, vcc_lo
	s_cselect_b32 s0, -1, 0
	s_cmp_eq_u32 s12, 2
	v_cndmask_b32_e64 v35, v10, v11, s0
	s_cselect_b32 vcc_lo, -1, 0
	s_cmp_eq_u32 s12, 3
	s_delay_alu instid0(VALU_DEP_1) | instskip(SKIP_3) | instid1(VALU_DEP_2)
	v_cndmask_b32_e32 v35, v35, v12, vcc_lo
	s_cselect_b32 vcc_lo, -1, 0
	v_fmac_f32_e32 v17, v34, v39
	s_cmp_eq_u32 s12, 4
	v_cndmask_b32_e32 v34, v35, v13, vcc_lo
	s_cselect_b32 vcc_lo, -1, 0
	s_cmp_eq_u32 s12, 5
	s_delay_alu instid0(VALU_DEP_1) | instskip(SKIP_2) | instid1(VALU_DEP_1)
	v_cndmask_b32_e32 v34, v34, v14, vcc_lo
	s_cselect_b32 vcc_lo, -1, 0
	s_cmp_eq_u32 s12, 6
	v_cndmask_b32_e32 v34, v34, v15, vcc_lo
	s_cselect_b32 vcc_lo, -1, 0
	s_cmp_eq_u32 s2, 1
	s_cselect_b32 s0, -1, 0
	s_cmp_eq_u32 s2, 2
	v_cndmask_b32_e64 v35, v10, v11, s0
	s_cselect_b32 s0, -1, 0
	s_cmp_eq_u32 s2, 3
	v_cndmask_b32_e32 v34, v34, v16, vcc_lo
	s_cselect_b32 vcc_lo, -1, 0
	v_cndmask_b32_e64 v35, v35, v12, s0
	s_cmp_eq_u32 s2, 4
	s_delay_alu instid0(VALU_DEP_1) | instskip(SKIP_2) | instid1(VALU_DEP_1)
	v_dual_fmac_f32 v17, v34, v40 :: v_dual_cndmask_b32 v35, v35, v13, vcc_lo
	s_cselect_b32 vcc_lo, -1, 0
	s_cmp_eq_u32 s2, 5
	v_cndmask_b32_e32 v35, v35, v14, vcc_lo
	s_cselect_b32 vcc_lo, -1, 0
	s_cmp_eq_u32 s2, 6
	s_add_nc_u64 s[2:3], s[2:3], 8
	s_delay_alu instid0(VALU_DEP_1) | instid1(SALU_CYCLE_1)
	v_dual_cndmask_b32 v35, v35, v15 :: v_dual_add_nc_u32 v36, s2, v32
	s_cselect_b32 vcc_lo, -1, 0
	s_add_co_i32 s0, s2, -7
	s_add_co_i32 s9, s9, 32
	s_delay_alu instid0(VALU_DEP_1) | instskip(SKIP_1) | instid1(VALU_DEP_2)
	v_cndmask_b32_e32 v35, v35, v16, vcc_lo
	v_cmp_eq_u32_e32 vcc_lo, 9, v36
	v_dual_mov_b32 v34, s0 :: v_dual_fmac_f32 v17, v35, v41
	s_or_b32 s8, vcc_lo, s8
	s_delay_alu instid0(SALU_CYCLE_1)
	s_and_not1_b32 exec_lo, exec_lo, s8
	s_cbranch_execnz .LBB6_57
; %bb.58:
	s_or_b32 exec_lo, exec_lo, s8
.LBB6_59:
	s_delay_alu instid0(SALU_CYCLE_1) | instskip(SKIP_3) | instid1(VALU_DEP_1)
	s_or_b32 exec_lo, exec_lo, s6
	v_and_b32_e32 v32, 7, v33
	s_mov_b32 s2, 0
	s_mov_b32 s0, exec_lo
	v_cmpx_ne_u32_e32 0, v32
	s_cbranch_execz .LBB6_63
; %bb.60:
	v_lshl_add_u32 v33, v34, 2, 32
	v_mov_b32_e32 v35, 0
.LBB6_61:                               ; =>This Inner Loop Header: Depth=1
	v_cmp_eq_u32_e32 vcc_lo, 1, v34
	ds_load_b32 v37, v33
	v_dual_add_nc_u32 v32, -1, v32 :: v_dual_add_nc_u32 v33, 4, v33
	v_cndmask_b32_e32 v36, v10, v11, vcc_lo
	v_cmp_eq_u32_e32 vcc_lo, 2, v34
	s_delay_alu instid0(VALU_DEP_2) | instskip(SKIP_1) | instid1(VALU_DEP_2)
	v_cndmask_b32_e32 v36, v36, v12, vcc_lo
	v_cmp_eq_u32_e32 vcc_lo, 3, v34
	v_cndmask_b32_e32 v36, v36, v13, vcc_lo
	v_cmp_eq_u32_e32 vcc_lo, 4, v34
	s_delay_alu instid0(VALU_DEP_2) | instskip(SKIP_1) | instid1(VALU_DEP_2)
	v_cndmask_b32_e32 v36, v36, v14, vcc_lo
	v_cmp_eq_u32_e32 vcc_lo, 5, v34
	v_cndmask_b32_e32 v36, v36, v15, vcc_lo
	v_cmp_eq_u32_e32 vcc_lo, 6, v34
	v_add_nc_u64_e32 v[34:35], 1, v[34:35]
	s_delay_alu instid0(VALU_DEP_3) | instskip(SKIP_2) | instid1(VALU_DEP_2)
	v_cndmask_b32_e32 v36, v36, v16, vcc_lo
	v_cmp_eq_u32_e32 vcc_lo, 0, v32
	s_wait_dscnt 0x0
	v_fmac_f32_e32 v17, v36, v37
	s_or_b32 s2, vcc_lo, s2
	s_delay_alu instid0(SALU_CYCLE_1)
	s_and_not1_b32 exec_lo, exec_lo, s2
	s_cbranch_execnz .LBB6_61
; %bb.62:
	s_or_b32 exec_lo, exec_lo, s2
.LBB6_63:
	s_delay_alu instid0(SALU_CYCLE_1)
	s_or_b32 exec_lo, exec_lo, s0
.LBB6_64:
	s_delay_alu instid0(SALU_CYCLE_1)
	s_or_b32 exec_lo, exec_lo, s5
	v_mov_b32_e32 v11, 0
	ds_load_b32 v11, v11 offset:4
	s_wait_dscnt 0x0
	v_mul_f32_e32 v11, v17, v11
.LBB6_65:
	s_or_b32 exec_lo, exec_lo, s4
	s_mov_b32 s4, 0
	s_mov_b32 s5, exec_lo
	ds_store_b32 v9, v10
	s_wait_dscnt 0x0
	s_barrier_signal -1
	s_barrier_wait -1
	v_cmpx_ne_u32_e32 0, v0
	s_cbranch_execz .LBB6_81
; %bb.66:
	s_and_not1_b32 vcc_lo, exec_lo, s7
	s_cbranch_vccnz .LBB6_68
; %bb.67:
	v_cmp_eq_u32_e32 vcc_lo, 1, v0
	ds_load_b32 v32, v9
	v_cndmask_b32_e32 v17, v10, v11, vcc_lo
	v_cmp_eq_u32_e32 vcc_lo, 2, v0
	s_delay_alu instid0(VALU_DEP_2) | instskip(SKIP_1) | instid1(VALU_DEP_2)
	v_cndmask_b32_e32 v17, v17, v12, vcc_lo
	v_cmp_eq_u32_e32 vcc_lo, 3, v0
	v_cndmask_b32_e32 v17, v17, v13, vcc_lo
	v_cmp_eq_u32_e32 vcc_lo, 4, v0
	s_delay_alu instid0(VALU_DEP_2) | instskip(SKIP_1) | instid1(VALU_DEP_2)
	v_cndmask_b32_e32 v17, v17, v14, vcc_lo
	v_cmp_eq_u32_e32 vcc_lo, 5, v0
	v_cndmask_b32_e32 v17, v17, v15, vcc_lo
	v_cmp_eq_u32_e32 vcc_lo, 6, v0
	s_delay_alu instid0(VALU_DEP_2) | instskip(SKIP_1) | instid1(VALU_DEP_1)
	v_cndmask_b32_e32 v17, v17, v16, vcc_lo
	s_wait_dscnt 0x0
	v_mul_f32_e32 v17, v17, v32
	s_cbranch_execz .LBB6_69
	s_branch .LBB6_70
.LBB6_68:
                                        ; implicit-def: $vgpr17
.LBB6_69:
	ds_load_b32 v17, v9
.LBB6_70:
	s_and_saveexec_b32 s6, s1
	s_cbranch_execz .LBB6_80
; %bb.71:
	v_dual_add_nc_u32 v32, -2, v0 :: v_dual_add_nc_u32 v33, -1, v0
	v_mov_b32_e32 v34, 1
	s_mov_b32 s1, exec_lo
	s_delay_alu instid0(VALU_DEP_2)
	v_cmpx_lt_u32_e32 6, v32
	s_cbranch_execz .LBB6_75
; %bb.72:
	v_and_b32_e32 v32, -8, v33
	s_mov_b32 s8, 0
	s_mov_b64 s[2:3], 8
	s_mov_b32 s9, 36
	s_delay_alu instid0(VALU_DEP_1)
	v_sub_nc_u32_e32 v32, 0, v32
.LBB6_73:                               ; =>This Inner Loop Header: Depth=1
	s_add_co_i32 s0, s2, -7
	s_delay_alu instid0(SALU_CYCLE_1) | instskip(SKIP_1) | instid1(SALU_CYCLE_1)
	s_cmp_eq_u32 s0, 1
	s_cselect_b32 vcc_lo, -1, 0
	v_dual_mov_b32 v40, s9 :: v_dual_cndmask_b32 v42, v10, v11, vcc_lo
	s_cmp_eq_u32 s0, 2
	ds_load_2addr_b32 v[34:35], v40 offset1:1
	ds_load_2addr_b32 v[36:37], v40 offset0:2 offset1:3
	ds_load_2addr_b32 v[38:39], v40 offset0:4 offset1:5
	;; [unrolled: 1-line block ×3, first 2 shown]
	s_cselect_b32 vcc_lo, -1, 0
	s_cmp_eq_u32 s0, 3
	v_cndmask_b32_e32 v42, v42, v12, vcc_lo
	s_cselect_b32 vcc_lo, -1, 0
	s_cmp_eq_u32 s0, 4
	s_delay_alu instid0(VALU_DEP_1) | instskip(SKIP_2) | instid1(VALU_DEP_1)
	v_cndmask_b32_e32 v42, v42, v13, vcc_lo
	s_cselect_b32 vcc_lo, -1, 0
	s_cmp_eq_u32 s0, 5
	v_cndmask_b32_e32 v42, v42, v14, vcc_lo
	s_cselect_b32 vcc_lo, -1, 0
	s_cmp_eq_u32 s0, 6
	s_delay_alu instid0(VALU_DEP_1) | instskip(SKIP_2) | instid1(SALU_CYCLE_1)
	v_cndmask_b32_e32 v42, v42, v15, vcc_lo
	s_cselect_b32 vcc_lo, -1, 0
	s_add_co_i32 s12, s2, -6
	s_cmp_eq_u32 s12, 1
	s_delay_alu instid0(VALU_DEP_1)
	v_cndmask_b32_e32 v42, v42, v16, vcc_lo
	s_cselect_b32 s0, -1, 0
	s_cmp_eq_u32 s12, 2
	v_cndmask_b32_e64 v43, v10, v11, s0
	s_cselect_b32 vcc_lo, -1, 0
	s_cmp_eq_u32 s12, 3
	s_wait_dscnt 0x3
	s_delay_alu instid0(VALU_DEP_1) | instskip(SKIP_2) | instid1(VALU_DEP_1)
	v_dual_fmac_f32 v17, v42, v34 :: v_dual_cndmask_b32 v43, v43, v12, vcc_lo
	s_cselect_b32 vcc_lo, -1, 0
	s_cmp_eq_u32 s12, 4
	v_cndmask_b32_e32 v34, v43, v13, vcc_lo
	s_cselect_b32 vcc_lo, -1, 0
	s_cmp_eq_u32 s12, 5
	s_delay_alu instid0(VALU_DEP_1) | instskip(SKIP_2) | instid1(VALU_DEP_1)
	v_cndmask_b32_e32 v34, v34, v14, vcc_lo
	s_cselect_b32 vcc_lo, -1, 0
	s_cmp_eq_u32 s12, 6
	v_cndmask_b32_e32 v34, v34, v15, vcc_lo
	s_cselect_b32 vcc_lo, -1, 0
	s_add_co_i32 s12, s2, -5
	s_delay_alu instid0(SALU_CYCLE_1) | instskip(NEXT) | instid1(VALU_DEP_1)
	s_cmp_eq_u32 s12, 1
	v_cndmask_b32_e32 v34, v34, v16, vcc_lo
	s_cselect_b32 s0, -1, 0
	s_cmp_eq_u32 s12, 2
	v_cndmask_b32_e64 v42, v10, v11, s0
	s_cselect_b32 vcc_lo, -1, 0
	s_cmp_eq_u32 s12, 3
	s_delay_alu instid0(VALU_DEP_1) | instskip(SKIP_3) | instid1(VALU_DEP_2)
	v_cndmask_b32_e32 v42, v42, v12, vcc_lo
	s_cselect_b32 vcc_lo, -1, 0
	v_fmac_f32_e32 v17, v34, v35
	s_cmp_eq_u32 s12, 4
	v_cndmask_b32_e32 v34, v42, v13, vcc_lo
	s_cselect_b32 vcc_lo, -1, 0
	s_cmp_eq_u32 s12, 5
	s_delay_alu instid0(VALU_DEP_1) | instskip(SKIP_2) | instid1(VALU_DEP_1)
	v_cndmask_b32_e32 v34, v34, v14, vcc_lo
	s_cselect_b32 vcc_lo, -1, 0
	s_cmp_eq_u32 s12, 6
	v_cndmask_b32_e32 v34, v34, v15, vcc_lo
	s_cselect_b32 vcc_lo, -1, 0
	s_add_co_i32 s12, s2, -4
	s_delay_alu instid0(SALU_CYCLE_1) | instskip(NEXT) | instid1(VALU_DEP_1)
	s_cmp_eq_u32 s12, 1
	v_cndmask_b32_e32 v34, v34, v16, vcc_lo
	s_cselect_b32 s0, -1, 0
	s_cmp_eq_u32 s12, 2
	v_cndmask_b32_e64 v35, v10, v11, s0
	s_cselect_b32 vcc_lo, -1, 0
	s_cmp_eq_u32 s12, 3
	s_wait_dscnt 0x2
	v_fmac_f32_e32 v17, v34, v36
	v_cndmask_b32_e32 v35, v35, v12, vcc_lo
	s_cselect_b32 vcc_lo, -1, 0
	s_cmp_eq_u32 s12, 4
	s_delay_alu instid0(VALU_DEP_1) | instskip(SKIP_2) | instid1(VALU_DEP_1)
	v_cndmask_b32_e32 v34, v35, v13, vcc_lo
	s_cselect_b32 vcc_lo, -1, 0
	s_cmp_eq_u32 s12, 5
	v_cndmask_b32_e32 v34, v34, v14, vcc_lo
	s_cselect_b32 vcc_lo, -1, 0
	s_cmp_eq_u32 s12, 6
	s_delay_alu instid0(VALU_DEP_1) | instskip(SKIP_2) | instid1(SALU_CYCLE_1)
	v_cndmask_b32_e32 v34, v34, v15, vcc_lo
	s_cselect_b32 vcc_lo, -1, 0
	s_add_co_i32 s12, s2, -3
	s_cmp_eq_u32 s12, 1
	s_delay_alu instid0(VALU_DEP_1)
	v_cndmask_b32_e32 v34, v34, v16, vcc_lo
	s_cselect_b32 s0, -1, 0
	s_cmp_eq_u32 s12, 2
	v_cndmask_b32_e64 v35, v10, v11, s0
	s_cselect_b32 vcc_lo, -1, 0
	s_cmp_eq_u32 s12, 3
	s_delay_alu instid0(VALU_DEP_1) | instskip(SKIP_2) | instid1(VALU_DEP_1)
	v_dual_fmac_f32 v17, v34, v37 :: v_dual_cndmask_b32 v35, v35, v12, vcc_lo
	s_cselect_b32 vcc_lo, -1, 0
	s_cmp_eq_u32 s12, 4
	v_cndmask_b32_e32 v34, v35, v13, vcc_lo
	s_cselect_b32 vcc_lo, -1, 0
	s_cmp_eq_u32 s12, 5
	s_delay_alu instid0(VALU_DEP_1) | instskip(SKIP_2) | instid1(VALU_DEP_1)
	v_cndmask_b32_e32 v34, v34, v14, vcc_lo
	s_cselect_b32 vcc_lo, -1, 0
	s_cmp_eq_u32 s12, 6
	v_cndmask_b32_e32 v34, v34, v15, vcc_lo
	s_cselect_b32 vcc_lo, -1, 0
	s_add_co_i32 s12, s2, -2
	s_delay_alu instid0(SALU_CYCLE_1) | instskip(NEXT) | instid1(VALU_DEP_1)
	s_cmp_eq_u32 s12, 1
	v_cndmask_b32_e32 v34, v34, v16, vcc_lo
	s_cselect_b32 s0, -1, 0
	s_cmp_eq_u32 s12, 2
	v_cndmask_b32_e64 v35, v10, v11, s0
	s_cselect_b32 vcc_lo, -1, 0
	s_cmp_eq_u32 s12, 3
	s_delay_alu instid0(VALU_DEP_1)
	v_cndmask_b32_e32 v35, v35, v12, vcc_lo
	s_cselect_b32 vcc_lo, -1, 0
	s_wait_dscnt 0x1
	v_fmac_f32_e32 v17, v34, v38
	s_cmp_eq_u32 s12, 4
	v_cndmask_b32_e32 v34, v35, v13, vcc_lo
	s_cselect_b32 vcc_lo, -1, 0
	s_cmp_eq_u32 s12, 5
	s_delay_alu instid0(VALU_DEP_1) | instskip(SKIP_2) | instid1(VALU_DEP_1)
	v_cndmask_b32_e32 v34, v34, v14, vcc_lo
	s_cselect_b32 vcc_lo, -1, 0
	s_cmp_eq_u32 s12, 6
	v_cndmask_b32_e32 v34, v34, v15, vcc_lo
	s_cselect_b32 vcc_lo, -1, 0
	s_add_co_i32 s12, s2, -1
	s_delay_alu instid0(SALU_CYCLE_1) | instskip(NEXT) | instid1(VALU_DEP_1)
	s_cmp_eq_u32 s12, 1
	v_cndmask_b32_e32 v34, v34, v16, vcc_lo
	s_cselect_b32 s0, -1, 0
	s_cmp_eq_u32 s12, 2
	v_cndmask_b32_e64 v35, v10, v11, s0
	s_cselect_b32 vcc_lo, -1, 0
	s_cmp_eq_u32 s12, 3
	s_delay_alu instid0(VALU_DEP_1) | instskip(SKIP_3) | instid1(VALU_DEP_2)
	v_cndmask_b32_e32 v35, v35, v12, vcc_lo
	s_cselect_b32 vcc_lo, -1, 0
	v_fmac_f32_e32 v17, v34, v39
	s_cmp_eq_u32 s12, 4
	v_cndmask_b32_e32 v34, v35, v13, vcc_lo
	s_cselect_b32 vcc_lo, -1, 0
	s_cmp_eq_u32 s12, 5
	s_delay_alu instid0(VALU_DEP_1) | instskip(SKIP_2) | instid1(VALU_DEP_1)
	v_cndmask_b32_e32 v34, v34, v14, vcc_lo
	s_cselect_b32 vcc_lo, -1, 0
	s_cmp_eq_u32 s12, 6
	v_cndmask_b32_e32 v34, v34, v15, vcc_lo
	s_cselect_b32 vcc_lo, -1, 0
	s_cmp_eq_u32 s2, 1
	s_cselect_b32 s0, -1, 0
	s_cmp_eq_u32 s2, 2
	v_cndmask_b32_e64 v35, v10, v11, s0
	s_cselect_b32 s0, -1, 0
	s_cmp_eq_u32 s2, 3
	v_cndmask_b32_e32 v34, v34, v16, vcc_lo
	s_cselect_b32 vcc_lo, -1, 0
	v_cndmask_b32_e64 v35, v35, v12, s0
	s_cmp_eq_u32 s2, 4
	s_wait_dscnt 0x0
	s_delay_alu instid0(VALU_DEP_1) | instskip(SKIP_2) | instid1(VALU_DEP_1)
	v_dual_fmac_f32 v17, v34, v40 :: v_dual_cndmask_b32 v35, v35, v13, vcc_lo
	s_cselect_b32 vcc_lo, -1, 0
	s_cmp_eq_u32 s2, 5
	v_cndmask_b32_e32 v35, v35, v14, vcc_lo
	s_cselect_b32 vcc_lo, -1, 0
	s_cmp_eq_u32 s2, 6
	s_add_nc_u64 s[2:3], s[2:3], 8
	s_delay_alu instid0(VALU_DEP_1) | instid1(SALU_CYCLE_1)
	v_dual_cndmask_b32 v35, v35, v15 :: v_dual_add_nc_u32 v36, s2, v32
	s_cselect_b32 vcc_lo, -1, 0
	s_add_co_i32 s0, s2, -7
	s_add_co_i32 s9, s9, 32
	s_delay_alu instid0(VALU_DEP_1) | instskip(SKIP_1) | instid1(VALU_DEP_2)
	v_cndmask_b32_e32 v35, v35, v16, vcc_lo
	v_cmp_eq_u32_e32 vcc_lo, 8, v36
	v_dual_mov_b32 v34, s0 :: v_dual_fmac_f32 v17, v35, v41
	s_or_b32 s8, vcc_lo, s8
	s_delay_alu instid0(SALU_CYCLE_1)
	s_and_not1_b32 exec_lo, exec_lo, s8
	s_cbranch_execnz .LBB6_73
; %bb.74:
	s_or_b32 exec_lo, exec_lo, s8
.LBB6_75:
	s_delay_alu instid0(SALU_CYCLE_1) | instskip(SKIP_3) | instid1(VALU_DEP_1)
	s_or_b32 exec_lo, exec_lo, s1
	v_and_b32_e32 v32, 7, v33
	s_mov_b32 s1, 0
	s_mov_b32 s0, exec_lo
	v_cmpx_ne_u32_e32 0, v32
	s_cbranch_execz .LBB6_79
; %bb.76:
	v_lshl_add_u32 v33, v34, 2, 32
	v_mov_b32_e32 v35, 0
.LBB6_77:                               ; =>This Inner Loop Header: Depth=1
	v_cmp_eq_u32_e32 vcc_lo, 1, v34
	ds_load_b32 v37, v33
	v_dual_add_nc_u32 v32, -1, v32 :: v_dual_add_nc_u32 v33, 4, v33
	v_cndmask_b32_e32 v36, v10, v11, vcc_lo
	v_cmp_eq_u32_e32 vcc_lo, 2, v34
	s_delay_alu instid0(VALU_DEP_2) | instskip(SKIP_1) | instid1(VALU_DEP_2)
	v_cndmask_b32_e32 v36, v36, v12, vcc_lo
	v_cmp_eq_u32_e32 vcc_lo, 3, v34
	v_cndmask_b32_e32 v36, v36, v13, vcc_lo
	v_cmp_eq_u32_e32 vcc_lo, 4, v34
	s_delay_alu instid0(VALU_DEP_2) | instskip(SKIP_1) | instid1(VALU_DEP_2)
	v_cndmask_b32_e32 v36, v36, v14, vcc_lo
	v_cmp_eq_u32_e32 vcc_lo, 5, v34
	v_cndmask_b32_e32 v36, v36, v15, vcc_lo
	v_cmp_eq_u32_e32 vcc_lo, 6, v34
	v_add_nc_u64_e32 v[34:35], 1, v[34:35]
	s_delay_alu instid0(VALU_DEP_3) | instskip(SKIP_2) | instid1(VALU_DEP_2)
	v_cndmask_b32_e32 v36, v36, v16, vcc_lo
	v_cmp_eq_u32_e32 vcc_lo, 0, v32
	s_wait_dscnt 0x0
	v_fmac_f32_e32 v17, v36, v37
	s_or_b32 s1, vcc_lo, s1
	s_delay_alu instid0(SALU_CYCLE_1)
	s_and_not1_b32 exec_lo, exec_lo, s1
	s_cbranch_execnz .LBB6_77
; %bb.78:
	s_or_b32 exec_lo, exec_lo, s1
.LBB6_79:
	s_delay_alu instid0(SALU_CYCLE_1)
	s_or_b32 exec_lo, exec_lo, s0
.LBB6_80:
	s_delay_alu instid0(SALU_CYCLE_1)
	s_or_b32 exec_lo, exec_lo, s6
	v_mov_b32_e32 v10, 0
	ds_load_b32 v10, v10
	s_wait_dscnt 0x0
	v_mul_f32_e32 v10, v17, v10
.LBB6_81:
	s_or_b32 exec_lo, exec_lo, s5
	s_delay_alu instid0(SALU_CYCLE_1)
	s_and_b32 vcc_lo, exec_lo, s4
	s_cbranch_vccz .LBB6_133
.LBB6_82:
	v_cmp_eq_u32_e64 s0, 0, v0
	s_wait_loadcnt 0x5
	ds_store_b32 v9, v3
	s_wait_loadcnt_dscnt 0x0
	s_barrier_signal -1
	s_barrier_wait -1
	s_and_saveexec_b32 s1, s0
	s_cbranch_execz .LBB6_88
; %bb.83:
	s_and_b32 vcc_lo, exec_lo, s7
	s_cbranch_vccz .LBB6_85
; %bb.84:
	v_cmp_eq_u32_e32 vcc_lo, 1, v0
	ds_load_b32 v10, v9
	v_cndmask_b32_e32 v3, v2, v3, vcc_lo
	v_cmp_eq_u32_e32 vcc_lo, 2, v0
	s_delay_alu instid0(VALU_DEP_2) | instskip(SKIP_1) | instid1(VALU_DEP_2)
	v_cndmask_b32_e32 v3, v3, v4, vcc_lo
	v_cmp_eq_u32_e32 vcc_lo, 3, v0
	v_cndmask_b32_e32 v3, v3, v5, vcc_lo
	v_cmp_eq_u32_e32 vcc_lo, 4, v0
	s_delay_alu instid0(VALU_DEP_2) | instskip(SKIP_1) | instid1(VALU_DEP_2)
	v_cndmask_b32_e32 v3, v3, v6, vcc_lo
	v_cmp_eq_u32_e32 vcc_lo, 5, v0
	v_cndmask_b32_e32 v3, v3, v7, vcc_lo
	v_cmp_eq_u32_e32 vcc_lo, 6, v0
	s_delay_alu instid0(VALU_DEP_2) | instskip(SKIP_1) | instid1(VALU_DEP_1)
	v_cndmask_b32_e32 v3, v3, v8, vcc_lo
	s_wait_dscnt 0x0
	v_mul_f32_e32 v3, v3, v10
	s_cbranch_execz .LBB6_86
	s_branch .LBB6_87
.LBB6_85:
                                        ; implicit-def: $vgpr3
.LBB6_86:
	ds_load_b32 v3, v9
.LBB6_87:
	v_mov_b32_e32 v10, 0
	ds_load_b32 v10, v10 offset:4
	s_wait_dscnt 0x0
	v_mul_f32_e32 v3, v3, v10
.LBB6_88:
	s_or_b32 exec_lo, exec_lo, s1
	v_cndmask_b32_e64 v12, 0, 1, s7
	s_mov_b32 s1, exec_lo
	ds_store_b32 v9, v4
	s_wait_dscnt 0x0
	s_barrier_signal -1
	s_barrier_wait -1
	v_cmpx_gt_u32_e32 2, v0
	s_cbranch_execz .LBB6_94
; %bb.89:
	s_and_not1_b32 vcc_lo, exec_lo, s7
	s_cbranch_vccnz .LBB6_91
; %bb.90:
	v_cmp_eq_u32_e32 vcc_lo, 1, v0
	v_cndmask_b32_e32 v10, v2, v3, vcc_lo
	v_cmp_eq_u32_e32 vcc_lo, 2, v0
	s_delay_alu instid0(VALU_DEP_2) | instskip(SKIP_4) | instid1(VALU_DEP_2)
	v_cndmask_b32_e32 v4, v10, v4, vcc_lo
	v_cmp_eq_u32_e32 vcc_lo, 3, v0
	ds_load_b32 v10, v9
	v_cndmask_b32_e32 v4, v4, v5, vcc_lo
	v_cmp_eq_u32_e32 vcc_lo, 4, v0
	v_cndmask_b32_e32 v4, v4, v6, vcc_lo
	v_cmp_eq_u32_e32 vcc_lo, 5, v0
	s_delay_alu instid0(VALU_DEP_2) | instskip(SKIP_1) | instid1(VALU_DEP_2)
	v_cndmask_b32_e32 v4, v4, v7, vcc_lo
	v_cmp_eq_u32_e32 vcc_lo, 6, v0
	v_cndmask_b32_e32 v4, v4, v8, vcc_lo
	s_wait_dscnt 0x0
	s_delay_alu instid0(VALU_DEP_1)
	v_mul_f32_e32 v4, v4, v10
	s_cbranch_execz .LBB6_92
	s_branch .LBB6_93
.LBB6_91:
                                        ; implicit-def: $vgpr4
.LBB6_92:
	ds_load_b32 v4, v9
.LBB6_93:
	v_mov_b32_e32 v10, 0
	ds_load_2addr_b32 v[10:11], v10 offset0:2 offset1:9
	s_wait_dscnt 0x0
	v_fma_f32 v11, v3, v11, v4
	s_delay_alu instid0(VALU_DEP_1) | instskip(NEXT) | instid1(VALU_DEP_1)
	v_cndmask_b32_e64 v4, v4, v11, s0
	v_mul_f32_e32 v4, v4, v10
.LBB6_94:
	s_or_b32 exec_lo, exec_lo, s1
	s_delay_alu instid0(SALU_CYCLE_1)
	s_mov_b32 s1, exec_lo
	ds_store_b32 v9, v5
	s_wait_dscnt 0x0
	s_barrier_signal -1
	s_barrier_wait -1
	v_cmpx_gt_u32_e32 3, v0
	s_cbranch_execz .LBB6_102
; %bb.95:
	v_cmp_ne_u32_e32 vcc_lo, 1, v12
	s_cbranch_vccnz .LBB6_97
; %bb.96:
	v_cmp_eq_u32_e32 vcc_lo, 1, v0
	ds_load_b32 v11, v9
	v_cndmask_b32_e32 v10, v2, v3, vcc_lo
	v_cmp_eq_u32_e32 vcc_lo, 2, v0
	s_delay_alu instid0(VALU_DEP_2) | instskip(SKIP_1) | instid1(VALU_DEP_2)
	v_cndmask_b32_e32 v10, v10, v4, vcc_lo
	v_cmp_eq_u32_e32 vcc_lo, 3, v0
	v_cndmask_b32_e32 v10, v10, v5, vcc_lo
	v_cmp_eq_u32_e32 vcc_lo, 4, v0
	s_delay_alu instid0(VALU_DEP_2) | instskip(SKIP_1) | instid1(VALU_DEP_2)
	v_cndmask_b32_e32 v10, v10, v6, vcc_lo
	v_cmp_eq_u32_e32 vcc_lo, 5, v0
	v_cndmask_b32_e32 v10, v10, v7, vcc_lo
	v_cmp_eq_u32_e32 vcc_lo, 6, v0
	s_delay_alu instid0(VALU_DEP_2) | instskip(SKIP_1) | instid1(VALU_DEP_1)
	v_cndmask_b32_e32 v10, v10, v8, vcc_lo
	s_wait_dscnt 0x0
	v_mul_f32_e32 v10, v10, v11
	s_cbranch_execz .LBB6_98
	s_branch .LBB6_99
.LBB6_97:
                                        ; implicit-def: $vgpr10
.LBB6_98:
	ds_load_b32 v10, v9
.LBB6_99:
	s_mov_b32 s2, exec_lo
	v_cmpx_ne_u32_e32 2, v0
	s_cbranch_execz .LBB6_101
; %bb.100:
	v_add_nc_u32_e32 v11, 1, v0
	ds_load_b32 v14, v9 offset:4
	v_cmp_eq_u32_e32 vcc_lo, 1, v11
	v_cndmask_b32_e32 v13, v2, v3, vcc_lo
	v_cmp_eq_u32_e32 vcc_lo, 2, v11
	s_delay_alu instid0(VALU_DEP_2) | instskip(SKIP_1) | instid1(VALU_DEP_2)
	v_cndmask_b32_e32 v13, v13, v4, vcc_lo
	v_cmp_eq_u32_e32 vcc_lo, 3, v11
	v_dual_cndmask_b32 v5, v13, v5, vcc_lo :: v_dual_mov_b32 v13, 0
	v_cmp_eq_u32_e32 vcc_lo, 4, v11
	ds_load_b32 v13, v13 offset:40
	v_cndmask_b32_e32 v5, v5, v6, vcc_lo
	v_cmp_eq_u32_e32 vcc_lo, 5, v11
	s_delay_alu instid0(VALU_DEP_2) | instskip(SKIP_1) | instid1(VALU_DEP_2)
	v_cndmask_b32_e32 v5, v5, v7, vcc_lo
	v_cmp_eq_u32_e32 vcc_lo, 6, v11
	v_cndmask_b32_e32 v5, v5, v8, vcc_lo
	s_wait_dscnt 0x1
	s_delay_alu instid0(VALU_DEP_1) | instskip(SKIP_1) | instid1(VALU_DEP_1)
	v_fmac_f32_e32 v10, v5, v14
	s_wait_dscnt 0x0
	v_fma_f32 v5, v4, v13, v10
	s_delay_alu instid0(VALU_DEP_1)
	v_cndmask_b32_e64 v10, v10, v5, s0
.LBB6_101:
	s_or_b32 exec_lo, exec_lo, s2
	v_mov_b32_e32 v5, 0
	ds_load_b32 v5, v5 offset:12
	s_wait_dscnt 0x0
	v_mul_f32_e32 v5, v10, v5
.LBB6_102:
	s_or_b32 exec_lo, exec_lo, s1
	s_delay_alu instid0(SALU_CYCLE_1)
	s_mov_b32 s0, exec_lo
	ds_store_b32 v9, v6
	s_wait_dscnt 0x0
	s_barrier_signal -1
	s_barrier_wait -1
	v_cmpx_gt_u32_e32 4, v0
	s_cbranch_execz .LBB6_112
; %bb.103:
	v_cmp_ne_u32_e32 vcc_lo, 1, v12
	s_cbranch_vccnz .LBB6_105
; %bb.104:
	v_cmp_eq_u32_e32 vcc_lo, 1, v0
	ds_load_b32 v11, v9
	v_cndmask_b32_e32 v10, v2, v3, vcc_lo
	v_cmp_eq_u32_e32 vcc_lo, 2, v0
	s_delay_alu instid0(VALU_DEP_2) | instskip(SKIP_1) | instid1(VALU_DEP_2)
	v_cndmask_b32_e32 v10, v10, v4, vcc_lo
	v_cmp_eq_u32_e32 vcc_lo, 3, v0
	v_cndmask_b32_e32 v10, v10, v5, vcc_lo
	v_cmp_eq_u32_e32 vcc_lo, 4, v0
	s_delay_alu instid0(VALU_DEP_2) | instskip(SKIP_1) | instid1(VALU_DEP_2)
	v_cndmask_b32_e32 v10, v10, v6, vcc_lo
	v_cmp_eq_u32_e32 vcc_lo, 5, v0
	v_cndmask_b32_e32 v10, v10, v7, vcc_lo
	v_cmp_eq_u32_e32 vcc_lo, 6, v0
	s_delay_alu instid0(VALU_DEP_2) | instskip(SKIP_1) | instid1(VALU_DEP_1)
	v_cndmask_b32_e32 v10, v10, v8, vcc_lo
	s_wait_dscnt 0x0
	v_mul_f32_e32 v13, v10, v11
	s_cbranch_execz .LBB6_106
	s_branch .LBB6_107
.LBB6_105:
                                        ; implicit-def: $vgpr13
.LBB6_106:
	ds_load_b32 v13, v9
.LBB6_107:
	s_mov_b32 s1, exec_lo
	v_cmpx_ne_u32_e32 3, v0
	s_cbranch_execz .LBB6_111
; %bb.108:
	v_mov_b64_e32 v[10:11], v[0:1]
	v_lshl_add_u32 v14, v0, 2, 36
	s_mov_b32 s2, 0
.LBB6_109:                              ; =>This Inner Loop Header: Depth=1
	s_delay_alu instid0(VALU_DEP_2)
	v_add_nc_u64_e32 v[10:11], 1, v[10:11]
	ds_load_b32 v16, v14
	v_add_nc_u32_e32 v14, 4, v14
	v_cmp_eq_u32_e32 vcc_lo, 1, v10
	v_cndmask_b32_e32 v15, v2, v3, vcc_lo
	v_cmp_eq_u32_e32 vcc_lo, 2, v10
	s_delay_alu instid0(VALU_DEP_2) | instskip(SKIP_1) | instid1(VALU_DEP_2)
	v_cndmask_b32_e32 v15, v15, v4, vcc_lo
	v_cmp_eq_u32_e32 vcc_lo, 3, v10
	v_cndmask_b32_e32 v15, v15, v5, vcc_lo
	v_cmp_eq_u32_e32 vcc_lo, 4, v10
	s_delay_alu instid0(VALU_DEP_2) | instskip(SKIP_1) | instid1(VALU_DEP_2)
	v_cndmask_b32_e32 v15, v15, v6, vcc_lo
	v_cmp_eq_u32_e32 vcc_lo, 5, v10
	v_cndmask_b32_e32 v15, v15, v7, vcc_lo
	v_cmp_eq_u32_e32 vcc_lo, 6, v10
	s_delay_alu instid0(VALU_DEP_2) | instskip(SKIP_2) | instid1(VALU_DEP_2)
	v_cndmask_b32_e32 v15, v15, v8, vcc_lo
	v_cmp_lt_u32_e32 vcc_lo, 2, v10
	s_wait_dscnt 0x0
	v_fmac_f32_e32 v13, v15, v16
	s_or_b32 s2, vcc_lo, s2
	s_delay_alu instid0(SALU_CYCLE_1)
	s_and_not1_b32 exec_lo, exec_lo, s2
	s_cbranch_execnz .LBB6_109
; %bb.110:
	s_or_b32 exec_lo, exec_lo, s2
.LBB6_111:
	s_delay_alu instid0(SALU_CYCLE_1)
	s_or_b32 exec_lo, exec_lo, s1
	v_mov_b32_e32 v6, 0
	ds_load_b32 v6, v6 offset:16
	s_wait_dscnt 0x0
	v_mul_f32_e32 v6, v13, v6
.LBB6_112:
	s_or_b32 exec_lo, exec_lo, s0
	v_cmp_gt_u32_e64 s0, 5, v0
	ds_store_b32 v9, v7
	s_wait_dscnt 0x0
	s_barrier_signal -1
	s_barrier_wait -1
	s_and_saveexec_b32 s1, s0
	s_cbranch_execz .LBB6_122
; %bb.113:
	v_cmp_ne_u32_e32 vcc_lo, 1, v12
	s_cbranch_vccnz .LBB6_115
; %bb.114:
	v_cmp_eq_u32_e32 vcc_lo, 1, v0
	ds_load_b32 v11, v9
	v_cndmask_b32_e32 v10, v2, v3, vcc_lo
	v_cmp_eq_u32_e32 vcc_lo, 2, v0
	s_delay_alu instid0(VALU_DEP_2) | instskip(SKIP_1) | instid1(VALU_DEP_2)
	v_cndmask_b32_e32 v10, v10, v4, vcc_lo
	v_cmp_eq_u32_e32 vcc_lo, 3, v0
	v_cndmask_b32_e32 v10, v10, v5, vcc_lo
	v_cmp_eq_u32_e32 vcc_lo, 4, v0
	s_delay_alu instid0(VALU_DEP_2) | instskip(SKIP_1) | instid1(VALU_DEP_2)
	v_cndmask_b32_e32 v10, v10, v6, vcc_lo
	v_cmp_eq_u32_e32 vcc_lo, 5, v0
	v_cndmask_b32_e32 v10, v10, v7, vcc_lo
	v_cmp_eq_u32_e32 vcc_lo, 6, v0
	s_delay_alu instid0(VALU_DEP_2) | instskip(SKIP_1) | instid1(VALU_DEP_1)
	v_cndmask_b32_e32 v10, v10, v8, vcc_lo
	s_wait_dscnt 0x0
	v_mul_f32_e32 v13, v10, v11
	s_cbranch_execz .LBB6_116
	s_branch .LBB6_117
.LBB6_115:
                                        ; implicit-def: $vgpr13
.LBB6_116:
	ds_load_b32 v13, v9
.LBB6_117:
	s_mov_b32 s2, exec_lo
	v_cmpx_ne_u32_e32 4, v0
	s_cbranch_execz .LBB6_121
; %bb.118:
	v_mov_b64_e32 v[10:11], v[0:1]
	v_lshl_add_u32 v14, v0, 2, 36
	s_mov_b32 s3, 0
.LBB6_119:                              ; =>This Inner Loop Header: Depth=1
	s_delay_alu instid0(VALU_DEP_2)
	v_add_nc_u64_e32 v[10:11], 1, v[10:11]
	ds_load_b32 v16, v14
	v_add_nc_u32_e32 v14, 4, v14
	v_cmp_eq_u32_e32 vcc_lo, 1, v10
	v_cndmask_b32_e32 v15, v2, v3, vcc_lo
	v_cmp_eq_u32_e32 vcc_lo, 2, v10
	s_delay_alu instid0(VALU_DEP_2) | instskip(SKIP_1) | instid1(VALU_DEP_2)
	v_cndmask_b32_e32 v15, v15, v4, vcc_lo
	v_cmp_eq_u32_e32 vcc_lo, 3, v10
	v_cndmask_b32_e32 v15, v15, v5, vcc_lo
	v_cmp_eq_u32_e32 vcc_lo, 4, v10
	s_delay_alu instid0(VALU_DEP_2) | instskip(SKIP_1) | instid1(VALU_DEP_2)
	v_cndmask_b32_e32 v15, v15, v6, vcc_lo
	v_cmp_eq_u32_e32 vcc_lo, 5, v10
	v_cndmask_b32_e32 v15, v15, v7, vcc_lo
	v_cmp_eq_u32_e32 vcc_lo, 6, v10
	s_delay_alu instid0(VALU_DEP_2) | instskip(SKIP_2) | instid1(VALU_DEP_2)
	v_cndmask_b32_e32 v15, v15, v8, vcc_lo
	v_cmp_lt_u32_e32 vcc_lo, 3, v10
	s_wait_dscnt 0x0
	v_fmac_f32_e32 v13, v15, v16
	s_or_b32 s3, vcc_lo, s3
	s_delay_alu instid0(SALU_CYCLE_1)
	s_and_not1_b32 exec_lo, exec_lo, s3
	s_cbranch_execnz .LBB6_119
; %bb.120:
	s_or_b32 exec_lo, exec_lo, s3
.LBB6_121:
	s_delay_alu instid0(SALU_CYCLE_1)
	s_or_b32 exec_lo, exec_lo, s2
	v_mov_b32_e32 v7, 0
	ds_load_b32 v7, v7 offset:20
	s_wait_dscnt 0x0
	v_mul_f32_e32 v7, v13, v7
.LBB6_122:
	s_or_b32 exec_lo, exec_lo, s1
	s_delay_alu instid0(SALU_CYCLE_1)
	s_mov_b32 s1, exec_lo
	ds_store_b32 v9, v8
	s_wait_dscnt 0x0
	s_barrier_signal -1
	s_barrier_wait -1
	v_cmpx_ne_u32_e32 6, v0
	s_cbranch_execz .LBB6_132
; %bb.123:
	v_cmp_ne_u32_e32 vcc_lo, 1, v12
	s_cbranch_vccnz .LBB6_125
; %bb.124:
	v_cmp_eq_u32_e32 vcc_lo, 1, v0
	ds_load_b32 v11, v9
	v_cndmask_b32_e32 v10, v2, v3, vcc_lo
	v_cmp_eq_u32_e32 vcc_lo, 2, v0
	s_delay_alu instid0(VALU_DEP_2) | instskip(SKIP_1) | instid1(VALU_DEP_2)
	v_cndmask_b32_e32 v10, v10, v4, vcc_lo
	v_cmp_eq_u32_e32 vcc_lo, 3, v0
	v_cndmask_b32_e32 v10, v10, v5, vcc_lo
	v_cmp_eq_u32_e32 vcc_lo, 4, v0
	s_delay_alu instid0(VALU_DEP_2) | instskip(SKIP_1) | instid1(VALU_DEP_2)
	v_cndmask_b32_e32 v10, v10, v6, vcc_lo
	v_cmp_eq_u32_e32 vcc_lo, 5, v0
	v_cndmask_b32_e32 v10, v10, v7, vcc_lo
	v_cmp_eq_u32_e32 vcc_lo, 6, v0
	s_delay_alu instid0(VALU_DEP_2) | instskip(SKIP_1) | instid1(VALU_DEP_1)
	v_cndmask_b32_e32 v10, v10, v8, vcc_lo
	s_wait_dscnt 0x0
	v_mul_f32_e32 v10, v10, v11
	s_cbranch_execz .LBB6_126
	s_branch .LBB6_127
.LBB6_125:
                                        ; implicit-def: $vgpr10
.LBB6_126:
	ds_load_b32 v10, v9
.LBB6_127:
	s_and_saveexec_b32 s2, s0
	s_cbranch_execz .LBB6_131
; %bb.128:
	v_lshl_add_u32 v9, v0, 2, 36
	s_mov_b32 s0, 0
.LBB6_129:                              ; =>This Inner Loop Header: Depth=1
	v_add_nc_u64_e32 v[0:1], 1, v[0:1]
	ds_load_b32 v12, v9
	v_add_nc_u32_e32 v9, 4, v9
	v_cmp_eq_u32_e32 vcc_lo, 1, v0
	v_cndmask_b32_e32 v11, v2, v3, vcc_lo
	v_cmp_eq_u32_e32 vcc_lo, 2, v0
	s_delay_alu instid0(VALU_DEP_2) | instskip(SKIP_1) | instid1(VALU_DEP_2)
	v_cndmask_b32_e32 v11, v11, v4, vcc_lo
	v_cmp_eq_u32_e32 vcc_lo, 3, v0
	v_cndmask_b32_e32 v11, v11, v5, vcc_lo
	v_cmp_eq_u32_e32 vcc_lo, 4, v0
	s_delay_alu instid0(VALU_DEP_2) | instskip(SKIP_1) | instid1(VALU_DEP_2)
	v_cndmask_b32_e32 v11, v11, v6, vcc_lo
	v_cmp_eq_u32_e32 vcc_lo, 5, v0
	v_cndmask_b32_e32 v11, v11, v7, vcc_lo
	v_cmp_eq_u32_e32 vcc_lo, 6, v0
	s_delay_alu instid0(VALU_DEP_2) | instskip(SKIP_2) | instid1(VALU_DEP_2)
	v_cndmask_b32_e32 v11, v11, v8, vcc_lo
	v_cmp_lt_u32_e32 vcc_lo, 4, v0
	s_wait_dscnt 0x0
	v_fmac_f32_e32 v10, v11, v12
	s_or_b32 s0, vcc_lo, s0
	s_delay_alu instid0(SALU_CYCLE_1)
	s_and_not1_b32 exec_lo, exec_lo, s0
	s_cbranch_execnz .LBB6_129
; %bb.130:
	s_or_b32 exec_lo, exec_lo, s0
.LBB6_131:
	s_delay_alu instid0(SALU_CYCLE_1)
	s_or_b32 exec_lo, exec_lo, s2
	v_mov_b32_e32 v0, 0
	ds_load_b32 v0, v0 offset:24
	s_wait_dscnt 0x0
	v_mul_f32_e32 v8, v10, v0
.LBB6_132:
	s_or_b32 exec_lo, exec_lo, s1
	s_delay_alu instid0(VALU_DEP_1)
	v_dual_mov_b32 v16, v8 :: v_dual_mov_b32 v15, v7
	v_dual_mov_b32 v14, v6 :: v_dual_mov_b32 v13, v5
	;; [unrolled: 1-line block ×3, first 2 shown]
	v_mov_b32_e32 v10, v2
.LBB6_133:
	s_wait_xcnt 0x6
	v_lshl_add_u64 v[0:1], v[18:19], 2, s[10:11]
	s_wait_loadcnt 0x5
	v_lshl_add_u64 v[2:3], v[20:21], 2, s[10:11]
	s_wait_loadcnt 0x3
	;; [unrolled: 2-line block ×4, first 2 shown]
	v_lshl_add_u64 v[8:9], v[30:31], 2, s[10:11]
	s_clause 0x6
	global_store_b32 v[22:23], v10, off
	global_store_b32 v[24:25], v11, off
	;; [unrolled: 1-line block ×7, first 2 shown]
.LBB6_134:
	s_endpgm
	.section	.rodata,"a",@progbits
	.p2align	6, 0x0
	.amdhsa_kernel _ZN9rocsolver6v33100L18trti2_kernel_smallILi7EfPfEEv13rocblas_fill_17rocblas_diagonal_T1_iil
		.amdhsa_group_segment_fixed_size 60
		.amdhsa_private_segment_fixed_size 0
		.amdhsa_kernarg_size 32
		.amdhsa_user_sgpr_count 2
		.amdhsa_user_sgpr_dispatch_ptr 0
		.amdhsa_user_sgpr_queue_ptr 0
		.amdhsa_user_sgpr_kernarg_segment_ptr 1
		.amdhsa_user_sgpr_dispatch_id 0
		.amdhsa_user_sgpr_kernarg_preload_length 0
		.amdhsa_user_sgpr_kernarg_preload_offset 0
		.amdhsa_user_sgpr_private_segment_size 0
		.amdhsa_wavefront_size32 1
		.amdhsa_uses_dynamic_stack 0
		.amdhsa_enable_private_segment 0
		.amdhsa_system_sgpr_workgroup_id_x 1
		.amdhsa_system_sgpr_workgroup_id_y 0
		.amdhsa_system_sgpr_workgroup_id_z 0
		.amdhsa_system_sgpr_workgroup_info 0
		.amdhsa_system_vgpr_workitem_id 0
		.amdhsa_next_free_vgpr 44
		.amdhsa_next_free_sgpr 16
		.amdhsa_named_barrier_count 0
		.amdhsa_reserve_vcc 1
		.amdhsa_float_round_mode_32 0
		.amdhsa_float_round_mode_16_64 0
		.amdhsa_float_denorm_mode_32 3
		.amdhsa_float_denorm_mode_16_64 3
		.amdhsa_fp16_overflow 0
		.amdhsa_memory_ordered 1
		.amdhsa_forward_progress 1
		.amdhsa_inst_pref_size 62
		.amdhsa_round_robin_scheduling 0
		.amdhsa_exception_fp_ieee_invalid_op 0
		.amdhsa_exception_fp_denorm_src 0
		.amdhsa_exception_fp_ieee_div_zero 0
		.amdhsa_exception_fp_ieee_overflow 0
		.amdhsa_exception_fp_ieee_underflow 0
		.amdhsa_exception_fp_ieee_inexact 0
		.amdhsa_exception_int_div_zero 0
	.end_amdhsa_kernel
	.section	.text._ZN9rocsolver6v33100L18trti2_kernel_smallILi7EfPfEEv13rocblas_fill_17rocblas_diagonal_T1_iil,"axG",@progbits,_ZN9rocsolver6v33100L18trti2_kernel_smallILi7EfPfEEv13rocblas_fill_17rocblas_diagonal_T1_iil,comdat
.Lfunc_end6:
	.size	_ZN9rocsolver6v33100L18trti2_kernel_smallILi7EfPfEEv13rocblas_fill_17rocblas_diagonal_T1_iil, .Lfunc_end6-_ZN9rocsolver6v33100L18trti2_kernel_smallILi7EfPfEEv13rocblas_fill_17rocblas_diagonal_T1_iil
                                        ; -- End function
	.set _ZN9rocsolver6v33100L18trti2_kernel_smallILi7EfPfEEv13rocblas_fill_17rocblas_diagonal_T1_iil.num_vgpr, 44
	.set _ZN9rocsolver6v33100L18trti2_kernel_smallILi7EfPfEEv13rocblas_fill_17rocblas_diagonal_T1_iil.num_agpr, 0
	.set _ZN9rocsolver6v33100L18trti2_kernel_smallILi7EfPfEEv13rocblas_fill_17rocblas_diagonal_T1_iil.numbered_sgpr, 16
	.set _ZN9rocsolver6v33100L18trti2_kernel_smallILi7EfPfEEv13rocblas_fill_17rocblas_diagonal_T1_iil.num_named_barrier, 0
	.set _ZN9rocsolver6v33100L18trti2_kernel_smallILi7EfPfEEv13rocblas_fill_17rocblas_diagonal_T1_iil.private_seg_size, 0
	.set _ZN9rocsolver6v33100L18trti2_kernel_smallILi7EfPfEEv13rocblas_fill_17rocblas_diagonal_T1_iil.uses_vcc, 1
	.set _ZN9rocsolver6v33100L18trti2_kernel_smallILi7EfPfEEv13rocblas_fill_17rocblas_diagonal_T1_iil.uses_flat_scratch, 0
	.set _ZN9rocsolver6v33100L18trti2_kernel_smallILi7EfPfEEv13rocblas_fill_17rocblas_diagonal_T1_iil.has_dyn_sized_stack, 0
	.set _ZN9rocsolver6v33100L18trti2_kernel_smallILi7EfPfEEv13rocblas_fill_17rocblas_diagonal_T1_iil.has_recursion, 0
	.set _ZN9rocsolver6v33100L18trti2_kernel_smallILi7EfPfEEv13rocblas_fill_17rocblas_diagonal_T1_iil.has_indirect_call, 0
	.section	.AMDGPU.csdata,"",@progbits
; Kernel info:
; codeLenInByte = 7824
; TotalNumSgprs: 18
; NumVgprs: 44
; ScratchSize: 0
; MemoryBound: 0
; FloatMode: 240
; IeeeMode: 1
; LDSByteSize: 60 bytes/workgroup (compile time only)
; SGPRBlocks: 0
; VGPRBlocks: 2
; NumSGPRsForWavesPerEU: 18
; NumVGPRsForWavesPerEU: 44
; NamedBarCnt: 0
; Occupancy: 16
; WaveLimiterHint : 0
; COMPUTE_PGM_RSRC2:SCRATCH_EN: 0
; COMPUTE_PGM_RSRC2:USER_SGPR: 2
; COMPUTE_PGM_RSRC2:TRAP_HANDLER: 0
; COMPUTE_PGM_RSRC2:TGID_X_EN: 1
; COMPUTE_PGM_RSRC2:TGID_Y_EN: 0
; COMPUTE_PGM_RSRC2:TGID_Z_EN: 0
; COMPUTE_PGM_RSRC2:TIDIG_COMP_CNT: 0
	.section	.text._ZN9rocsolver6v33100L18trti2_kernel_smallILi8EfPfEEv13rocblas_fill_17rocblas_diagonal_T1_iil,"axG",@progbits,_ZN9rocsolver6v33100L18trti2_kernel_smallILi8EfPfEEv13rocblas_fill_17rocblas_diagonal_T1_iil,comdat
	.globl	_ZN9rocsolver6v33100L18trti2_kernel_smallILi8EfPfEEv13rocblas_fill_17rocblas_diagonal_T1_iil ; -- Begin function _ZN9rocsolver6v33100L18trti2_kernel_smallILi8EfPfEEv13rocblas_fill_17rocblas_diagonal_T1_iil
	.p2align	8
	.type	_ZN9rocsolver6v33100L18trti2_kernel_smallILi8EfPfEEv13rocblas_fill_17rocblas_diagonal_T1_iil,@function
_ZN9rocsolver6v33100L18trti2_kernel_smallILi8EfPfEEv13rocblas_fill_17rocblas_diagonal_T1_iil: ; @_ZN9rocsolver6v33100L18trti2_kernel_smallILi8EfPfEEv13rocblas_fill_17rocblas_diagonal_T1_iil
; %bb.0:
	s_mov_b32 s2, exec_lo
	v_cmpx_gt_u32_e32 8, v0
	s_cbranch_execz .LBB7_160
; %bb.1:
	s_load_b256 s[8:15], s[0:1], 0x0
	s_wait_xcnt 0x0
	s_bfe_u32 s0, ttmp6, 0x4000c
	s_and_b32 s1, ttmp6, 15
	s_add_co_i32 s0, s0, 1
	s_getreg_b32 s2, hwreg(HW_REG_IB_STS2, 6, 4)
	s_mul_i32 s0, ttmp9, s0
	v_dual_mov_b32 v1, 0 :: v_dual_lshlrev_b32 v10, 2, v0
	s_add_co_i32 s0, s1, s0
	s_wait_kmcnt 0x0
	s_ashr_i32 s1, s12, 31
	v_add3_u32 v18, s13, s13, v0
	s_cmp_eq_u32 s2, 0
	v_mov_b32_e32 v11, v1
	s_cselect_b32 s2, ttmp9, s0
	s_mov_b32 s0, s12
	s_ashr_i32 s3, s2, 31
	v_add_nc_u32_e32 v20, s13, v18
	s_mul_u64 s[2:3], s[14:15], s[2:3]
	s_lshl_b64 s[0:1], s[0:1], 2
	s_lshl_b64 s[2:3], s[2:3], 2
	s_delay_alu instid0(VALU_DEP_1) | instskip(SKIP_1) | instid1(SALU_CYCLE_1)
	v_add_nc_u32_e32 v24, s13, v20
	s_add_nc_u64 s[2:3], s[10:11], s[2:3]
	s_add_nc_u64 s[10:11], s[2:3], s[0:1]
	s_mov_b32 s0, s13
	v_add_nc_u64_e32 v[22:23], s[10:11], v[10:11]
	v_dual_mov_b32 v11, -1.0 :: v_dual_add_nc_u32 v28, s13, v24
	s_ashr_i32 s1, s13, 31
	s_cmp_lg_u32 s9, 0x84
	s_delay_alu instid0(VALU_DEP_1) | instskip(NEXT) | instid1(VALU_DEP_3)
	v_add_nc_u32_e32 v30, s13, v28
	v_lshl_add_u64 v[26:27], s[0:1], 2, v[22:23]
	v_cmp_eq_u32_e64 s0, 0, v0
	s_cselect_b32 s12, -1, 0
	s_cmp_eq_u32 s9, 0x84
	v_add_nc_u32_e32 v32, s13, v30
	s_clause 0x7
	global_load_b32 v2, v0, s[10:11] scale_offset
	global_load_b32 v3, v[26:27], off
	global_load_b32 v4, v18, s[10:11] scale_offset
	global_load_b32 v5, v20, s[10:11] scale_offset
	;; [unrolled: 1-line block ×6, first 2 shown]
	s_cbranch_scc1 .LBB7_3
; %bb.2:
	v_cmp_eq_u32_e64 s1, 1, v0
	v_cmp_eq_u32_e64 s2, 2, v0
	;; [unrolled: 1-line block ×5, first 2 shown]
	s_wait_loadcnt 0x6
	v_cndmask_b32_e64 v11, v2, v3, s1
	v_cmp_eq_u32_e64 s6, 6, v0
	v_cmp_eq_u32_e64 s7, 7, v0
	s_wait_loadcnt 0x5
	s_delay_alu instid0(VALU_DEP_3) | instskip(SKIP_1) | instid1(VALU_DEP_1)
	v_cndmask_b32_e64 v11, v11, v4, s2
	s_wait_loadcnt 0x4
	v_cndmask_b32_e64 v11, v11, v5, s3
	s_wait_loadcnt 0x3
	s_delay_alu instid0(VALU_DEP_1) | instskip(SKIP_1) | instid1(VALU_DEP_1)
	v_cndmask_b32_e64 v11, v11, v6, s4
	s_wait_loadcnt 0x2
	v_cndmask_b32_e64 v11, v11, v7, s5
	s_wait_loadcnt 0x1
	s_delay_alu instid0(VALU_DEP_1) | instskip(SKIP_1) | instid1(VALU_DEP_1)
	v_cndmask_b32_e64 v11, v11, v8, s6
	s_wait_loadcnt 0x0
	v_cndmask_b32_e64 v11, v11, v9, s7
	s_delay_alu instid0(VALU_DEP_1) | instskip(SKIP_1) | instid1(VALU_DEP_2)
	v_div_scale_f32 v12, null, v11, v11, 1.0
	v_div_scale_f32 v15, vcc_lo, 1.0, v11, 1.0
	v_rcp_f32_e32 v13, v12
	v_nop
	s_delay_alu instid0(TRANS32_DEP_1) | instskip(NEXT) | instid1(VALU_DEP_1)
	v_fma_f32 v14, -v12, v13, 1.0
	v_fmac_f32_e32 v13, v14, v13
	s_delay_alu instid0(VALU_DEP_1) | instskip(NEXT) | instid1(VALU_DEP_1)
	v_mul_f32_e32 v14, v15, v13
	v_fma_f32 v16, -v12, v14, v15
	s_delay_alu instid0(VALU_DEP_1) | instskip(NEXT) | instid1(VALU_DEP_1)
	v_fmac_f32_e32 v14, v16, v13
	v_fma_f32 v12, -v12, v14, v15
	s_delay_alu instid0(VALU_DEP_1) | instskip(NEXT) | instid1(VALU_DEP_1)
	v_div_fmas_f32 v12, v12, v13, v14
	v_div_fixup_f32 v11, v12, v11, 1.0
	s_delay_alu instid0(VALU_DEP_1)
	v_dual_cndmask_b32 v9, v9, v11, s7 :: v_dual_cndmask_b32 v8, v8, v11, s6
	v_dual_cndmask_b32 v7, v7, v11, s5 :: v_dual_cndmask_b32 v6, v6, v11, s4
	;; [unrolled: 1-line block ×4, first 2 shown]
	v_xor_b32_e32 v11, 0x80000000, v11
.LBB7_3:
	v_dual_ashrrev_i32 v19, 31, v18 :: v_dual_ashrrev_i32 v21, 31, v20
	v_dual_ashrrev_i32 v25, 31, v24 :: v_dual_ashrrev_i32 v31, 31, v30
	v_dual_ashrrev_i32 v29, 31, v28 :: v_dual_add_nc_u32 v37, 32, v10
	v_ashrrev_i32_e32 v33, 31, v32
	s_cmp_eq_u32 s8, 0x79
	ds_store_b32 v10, v11
	s_cbranch_scc1 .LBB7_7
; %bb.4:
	s_wait_loadcnt 0x0
	v_mov_b64_e32 v[16:17], v[8:9]
	v_mov_b64_e32 v[14:15], v[6:7]
	;; [unrolled: 1-line block ×4, first 2 shown]
	v_cmp_eq_u32_e64 s0, 7, v0
	ds_store_b32 v37, v8
	s_wait_dscnt 0x0
	s_barrier_signal -1
	s_barrier_wait -1
	s_and_saveexec_b32 s1, s0
	s_cbranch_execz .LBB7_11
; %bb.5:
	s_and_b32 vcc_lo, exec_lo, s12
	s_cbranch_vccz .LBB7_8
; %bb.6:
	v_cmp_eq_u32_e32 vcc_lo, 1, v0
	ds_load_b32 v11, v37
	v_cndmask_b32_e32 v10, v2, v3, vcc_lo
	v_cmp_eq_u32_e32 vcc_lo, 2, v0
	s_delay_alu instid0(VALU_DEP_2) | instskip(SKIP_1) | instid1(VALU_DEP_2)
	v_cndmask_b32_e32 v10, v10, v4, vcc_lo
	v_cmp_eq_u32_e32 vcc_lo, 3, v0
	v_cndmask_b32_e32 v10, v10, v5, vcc_lo
	v_cmp_eq_u32_e32 vcc_lo, 4, v0
	s_delay_alu instid0(VALU_DEP_2) | instskip(SKIP_1) | instid1(VALU_DEP_2)
	v_cndmask_b32_e32 v10, v10, v6, vcc_lo
	v_cmp_eq_u32_e32 vcc_lo, 5, v0
	;; [unrolled: 5-line block ×3, first 2 shown]
	v_cndmask_b32_e32 v10, v10, v9, vcc_lo
	s_wait_dscnt 0x0
	s_delay_alu instid0(VALU_DEP_1)
	v_mul_f32_e32 v10, v10, v11
	s_cbranch_execz .LBB7_9
	s_branch .LBB7_10
.LBB7_7:
                                        ; implicit-def: $vgpr10_vgpr11_vgpr12_vgpr13_vgpr14_vgpr15_vgpr16_vgpr17
	s_cbranch_execnz .LBB7_98
	s_branch .LBB7_159
.LBB7_8:
                                        ; implicit-def: $vgpr10
.LBB7_9:
	ds_load_b32 v10, v37
.LBB7_10:
	v_mov_b32_e32 v11, 0
	ds_load_b32 v11, v11 offset:24
	s_wait_dscnt 0x0
	v_mul_f32_e32 v34, v10, v11
	v_mov_b64_e32 v[16:17], v[8:9]
	v_mov_b64_e32 v[14:15], v[6:7]
	;; [unrolled: 1-line block ×4, first 2 shown]
	v_mov_b32_e32 v16, v34
.LBB7_11:
	s_or_b32 exec_lo, exec_lo, s1
	v_cmp_lt_u32_e64 s1, 5, v0
	ds_store_b32 v37, v15
	s_wait_dscnt 0x0
	s_barrier_signal -1
	s_barrier_wait -1
	s_and_saveexec_b32 s2, s1
	s_cbranch_execz .LBB7_17
; %bb.12:
	s_and_not1_b32 vcc_lo, exec_lo, s12
	s_cbranch_vccnz .LBB7_14
; %bb.13:
	v_cmp_eq_u32_e32 vcc_lo, 1, v0
	ds_load_b32 v35, v37
	v_cndmask_b32_e32 v34, v10, v11, vcc_lo
	v_cmp_eq_u32_e32 vcc_lo, 2, v0
	s_delay_alu instid0(VALU_DEP_2) | instskip(SKIP_1) | instid1(VALU_DEP_2)
	v_cndmask_b32_e32 v34, v34, v12, vcc_lo
	v_cmp_eq_u32_e32 vcc_lo, 3, v0
	v_cndmask_b32_e32 v34, v34, v13, vcc_lo
	v_cmp_eq_u32_e32 vcc_lo, 4, v0
	s_delay_alu instid0(VALU_DEP_2) | instskip(SKIP_1) | instid1(VALU_DEP_2)
	v_cndmask_b32_e32 v34, v34, v14, vcc_lo
	v_cmp_eq_u32_e32 vcc_lo, 5, v0
	;; [unrolled: 5-line block ×3, first 2 shown]
	v_cndmask_b32_e32 v15, v15, v17, vcc_lo
	s_wait_dscnt 0x0
	s_delay_alu instid0(VALU_DEP_1)
	v_mul_f32_e32 v15, v15, v35
	s_cbranch_execz .LBB7_15
	s_branch .LBB7_16
.LBB7_14:
                                        ; implicit-def: $vgpr15
.LBB7_15:
	ds_load_b32 v15, v37
.LBB7_16:
	v_mov_b32_e32 v34, 0
	ds_load_2addr_b32 v[34:35], v34 offset0:5 offset1:14
	s_wait_dscnt 0x0
	v_fma_f32 v35, v16, v35, v15
	s_delay_alu instid0(VALU_DEP_1) | instskip(NEXT) | instid1(VALU_DEP_1)
	v_cndmask_b32_e64 v15, v15, v35, s0
	v_mul_f32_e32 v15, v15, v34
.LBB7_17:
	s_or_b32 exec_lo, exec_lo, s2
	v_cmp_lt_u32_e64 s0, 4, v0
	ds_store_b32 v37, v14
	s_wait_dscnt 0x0
	s_barrier_signal -1
	s_barrier_wait -1
	s_and_saveexec_b32 s4, s0
	s_cbranch_execz .LBB7_33
; %bb.18:
	s_and_not1_b32 vcc_lo, exec_lo, s12
	s_cbranch_vccnz .LBB7_20
; %bb.19:
	v_cmp_eq_u32_e32 vcc_lo, 1, v0
	ds_load_b32 v35, v37
	v_cndmask_b32_e32 v34, v10, v11, vcc_lo
	v_cmp_eq_u32_e32 vcc_lo, 2, v0
	s_delay_alu instid0(VALU_DEP_2) | instskip(SKIP_1) | instid1(VALU_DEP_2)
	v_cndmask_b32_e32 v34, v34, v12, vcc_lo
	v_cmp_eq_u32_e32 vcc_lo, 3, v0
	v_cndmask_b32_e32 v34, v34, v13, vcc_lo
	v_cmp_eq_u32_e32 vcc_lo, 4, v0
	s_delay_alu instid0(VALU_DEP_2) | instskip(SKIP_1) | instid1(VALU_DEP_2)
	v_cndmask_b32_e32 v34, v34, v14, vcc_lo
	v_cmp_eq_u32_e32 vcc_lo, 5, v0
	;; [unrolled: 5-line block ×3, first 2 shown]
	v_cndmask_b32_e32 v34, v34, v17, vcc_lo
	s_wait_dscnt 0x0
	s_delay_alu instid0(VALU_DEP_1)
	v_mul_f32_e32 v38, v34, v35
	s_cbranch_execz .LBB7_21
	s_branch .LBB7_22
.LBB7_20:
                                        ; implicit-def: $vgpr38
.LBB7_21:
	ds_load_b32 v38, v37
.LBB7_22:
	s_and_saveexec_b32 s5, s1
	s_cbranch_execz .LBB7_32
; %bb.23:
	v_dual_add_nc_u32 v34, -6, v0 :: v_dual_add_nc_u32 v35, -5, v0
	s_delay_alu instid0(VALU_DEP_1)
	v_cmp_lt_u32_e32 vcc_lo, 6, v34
	v_mov_b32_e32 v34, 5
	s_and_saveexec_b32 s1, vcc_lo
	s_cbranch_execz .LBB7_27
; %bb.24:
	v_and_b32_e32 v34, -8, v35
	s_mov_b32 s6, 0
	s_mov_b64 s[2:3], 12
	s_mov_b32 s7, 52
	s_delay_alu instid0(VALU_DEP_1)
	v_sub_nc_u32_e32 v36, 0, v34
.LBB7_25:                               ; =>This Inner Loop Header: Depth=1
	s_add_co_i32 m0, s2, -7
	v_movrels_b32_e32 v39, v10
	v_mov_b32_e32 v34, s7
	s_add_co_i32 m0, s2, -6
	s_add_co_i32 s7, s7, 32
	v_movrels_b32_e32 v48, v10
	ds_load_2addr_b32 v[40:41], v34 offset1:1
	ds_load_2addr_b32 v[42:43], v34 offset0:2 offset1:3
	s_add_co_i32 m0, s2, -5
	s_wait_dscnt 0x1
	v_fmac_f32_e32 v38, v39, v40
	ds_load_2addr_b32 v[44:45], v34 offset0:4 offset1:5
	ds_load_2addr_b32 v[46:47], v34 offset0:6 offset1:7
	v_movrels_b32_e32 v34, v10
	s_add_co_i32 m0, s2, -4
	v_fmac_f32_e32 v38, v48, v41
	v_movrels_b32_e32 v39, v10
	s_add_co_i32 m0, s2, -3
	s_wait_dscnt 0x2
	s_delay_alu instid0(VALU_DEP_2) | instskip(SKIP_2) | instid1(VALU_DEP_2)
	v_fmac_f32_e32 v38, v34, v42
	v_movrels_b32_e32 v34, v10
	s_add_co_i32 m0, s2, -2
	v_fmac_f32_e32 v38, v39, v43
	v_movrels_b32_e32 v39, v10
	s_add_co_i32 m0, s2, -1
	s_wait_dscnt 0x1
	s_delay_alu instid0(VALU_DEP_2)
	v_fmac_f32_e32 v38, v34, v44
	v_movrels_b32_e32 v34, v10
	s_mov_b32 m0, s2
	s_add_nc_u64 s[2:3], s[2:3], 8
	v_movrels_b32_e32 v40, v10
	v_dual_fmac_f32 v38, v39, v45 :: v_dual_add_nc_u32 v39, s2, v36
	s_add_co_i32 s8, s2, -7
	s_wait_dscnt 0x0
	s_delay_alu instid0(VALU_DEP_1) | instskip(NEXT) | instid1(VALU_DEP_2)
	v_fmac_f32_e32 v38, v34, v46
	v_cmp_eq_u32_e32 vcc_lo, 12, v39
	s_delay_alu instid0(VALU_DEP_2) | instskip(SKIP_1) | instid1(SALU_CYCLE_1)
	v_dual_mov_b32 v34, s8 :: v_dual_fmac_f32 v38, v40, v47
	s_or_b32 s6, vcc_lo, s6
	s_and_not1_b32 exec_lo, exec_lo, s6
	s_cbranch_execnz .LBB7_25
; %bb.26:
	s_or_b32 exec_lo, exec_lo, s6
.LBB7_27:
	s_delay_alu instid0(SALU_CYCLE_1) | instskip(SKIP_3) | instid1(VALU_DEP_1)
	s_or_b32 exec_lo, exec_lo, s1
	v_and_b32_e32 v36, 7, v35
	s_mov_b32 s2, 0
	s_mov_b32 s1, exec_lo
	v_cmpx_ne_u32_e32 0, v36
	s_cbranch_execz .LBB7_31
; %bb.28:
	v_lshl_add_u32 v39, v34, 2, 32
	v_mov_b32_e32 v35, 0
.LBB7_29:                               ; =>This Inner Loop Header: Depth=1
	v_cmp_eq_u32_e32 vcc_lo, 1, v34
	ds_load_b32 v41, v39
	v_dual_add_nc_u32 v36, -1, v36 :: v_dual_add_nc_u32 v39, 4, v39
	v_cndmask_b32_e32 v40, v10, v11, vcc_lo
	v_cmp_eq_u32_e32 vcc_lo, 2, v34
	s_delay_alu instid0(VALU_DEP_2) | instskip(SKIP_1) | instid1(VALU_DEP_2)
	v_cndmask_b32_e32 v40, v40, v12, vcc_lo
	v_cmp_eq_u32_e32 vcc_lo, 3, v34
	v_cndmask_b32_e32 v40, v40, v13, vcc_lo
	v_cmp_eq_u32_e32 vcc_lo, 4, v34
	s_delay_alu instid0(VALU_DEP_2) | instskip(SKIP_1) | instid1(VALU_DEP_2)
	v_cndmask_b32_e32 v40, v40, v14, vcc_lo
	v_cmp_eq_u32_e32 vcc_lo, 5, v34
	v_cndmask_b32_e32 v40, v40, v15, vcc_lo
	v_cmp_eq_u32_e32 vcc_lo, 6, v34
	s_delay_alu instid0(VALU_DEP_2) | instskip(SKIP_2) | instid1(VALU_DEP_3)
	v_cndmask_b32_e32 v40, v40, v16, vcc_lo
	v_cmp_eq_u32_e32 vcc_lo, 7, v34
	v_add_nc_u64_e32 v[34:35], 1, v[34:35]
	v_cndmask_b32_e32 v40, v40, v17, vcc_lo
	v_cmp_eq_u32_e32 vcc_lo, 0, v36
	s_wait_dscnt 0x0
	s_delay_alu instid0(VALU_DEP_2) | instskip(SKIP_1) | instid1(SALU_CYCLE_1)
	v_fmac_f32_e32 v38, v40, v41
	s_or_b32 s2, vcc_lo, s2
	s_and_not1_b32 exec_lo, exec_lo, s2
	s_cbranch_execnz .LBB7_29
; %bb.30:
	s_or_b32 exec_lo, exec_lo, s2
.LBB7_31:
	s_delay_alu instid0(SALU_CYCLE_1)
	s_or_b32 exec_lo, exec_lo, s1
.LBB7_32:
	s_delay_alu instid0(SALU_CYCLE_1)
	s_or_b32 exec_lo, exec_lo, s5
	v_mov_b32_e32 v14, 0
	ds_load_b32 v14, v14 offset:16
	s_wait_dscnt 0x0
	v_mul_f32_e32 v14, v38, v14
.LBB7_33:
	s_or_b32 exec_lo, exec_lo, s4
	v_cmp_lt_u32_e64 s1, 3, v0
	ds_store_b32 v37, v13
	s_wait_dscnt 0x0
	s_barrier_signal -1
	s_barrier_wait -1
	s_and_saveexec_b32 s4, s1
	s_cbranch_execz .LBB7_49
; %bb.34:
	s_and_not1_b32 vcc_lo, exec_lo, s12
	s_cbranch_vccnz .LBB7_36
; %bb.35:
	v_cmp_eq_u32_e32 vcc_lo, 1, v0
	ds_load_b32 v35, v37
	v_cndmask_b32_e32 v34, v10, v11, vcc_lo
	v_cmp_eq_u32_e32 vcc_lo, 2, v0
	s_delay_alu instid0(VALU_DEP_2) | instskip(SKIP_1) | instid1(VALU_DEP_2)
	v_cndmask_b32_e32 v34, v34, v12, vcc_lo
	v_cmp_eq_u32_e32 vcc_lo, 3, v0
	v_cndmask_b32_e32 v34, v34, v13, vcc_lo
	v_cmp_eq_u32_e32 vcc_lo, 4, v0
	s_delay_alu instid0(VALU_DEP_2) | instskip(SKIP_1) | instid1(VALU_DEP_2)
	v_cndmask_b32_e32 v34, v34, v14, vcc_lo
	v_cmp_eq_u32_e32 vcc_lo, 5, v0
	;; [unrolled: 5-line block ×3, first 2 shown]
	v_cndmask_b32_e32 v34, v34, v17, vcc_lo
	s_wait_dscnt 0x0
	s_delay_alu instid0(VALU_DEP_1)
	v_mul_f32_e32 v38, v34, v35
	s_cbranch_execz .LBB7_37
	s_branch .LBB7_38
.LBB7_36:
                                        ; implicit-def: $vgpr38
.LBB7_37:
	ds_load_b32 v38, v37
.LBB7_38:
	s_and_saveexec_b32 s5, s0
	s_cbranch_execz .LBB7_48
; %bb.39:
	v_dual_add_nc_u32 v34, -5, v0 :: v_dual_add_nc_u32 v35, -4, v0
	s_delay_alu instid0(VALU_DEP_1)
	v_cmp_lt_u32_e32 vcc_lo, 6, v34
	v_mov_b32_e32 v34, 4
	s_and_saveexec_b32 s0, vcc_lo
	s_cbranch_execz .LBB7_43
; %bb.40:
	v_and_b32_e32 v34, -8, v35
	s_mov_b32 s6, 0
	s_mov_b64 s[2:3], 5
	s_mov_b32 s7, 48
	s_delay_alu instid0(VALU_DEP_1)
	v_sub_nc_u32_e32 v36, 0, v34
.LBB7_41:                               ; =>This Inner Loop Header: Depth=1
	s_add_co_i32 m0, s2, -1
	v_movrels_b32_e32 v39, v10
	v_mov_b32_e32 v34, s7
	s_mov_b32 m0, s2
	s_add_co_i32 s7, s7, 32
	v_movrels_b32_e32 v48, v10
	s_add_co_i32 m0, s2, 1
	ds_load_b128 v[40:43], v34
	ds_load_b128 v[44:47], v34 offset:16
	v_movrels_b32_e32 v34, v10
	s_add_co_i32 m0, s2, 2
	s_wait_dscnt 0x1
	v_fmac_f32_e32 v38, v39, v40
	v_movrels_b32_e32 v39, v10
	s_add_co_i32 m0, s2, 3
	s_delay_alu instid0(VALU_DEP_2) | instskip(NEXT) | instid1(VALU_DEP_1)
	v_fmac_f32_e32 v38, v48, v41
	v_fmac_f32_e32 v38, v34, v42
	v_movrels_b32_e32 v34, v10
	s_add_co_i32 m0, s2, 4
	s_delay_alu instid0(VALU_DEP_2) | instskip(SKIP_3) | instid1(VALU_DEP_2)
	v_fmac_f32_e32 v38, v39, v43
	v_movrels_b32_e32 v39, v10
	s_add_co_i32 m0, s2, 5
	s_wait_dscnt 0x0
	v_fmac_f32_e32 v38, v34, v44
	v_movrels_b32_e32 v34, v10
	s_add_co_i32 m0, s2, 6
	s_add_nc_u64 s[2:3], s[2:3], 8
	v_movrels_b32_e32 v40, v10
	v_dual_fmac_f32 v38, v39, v45 :: v_dual_add_nc_u32 v39, s2, v36
	s_add_co_i32 s8, s2, -1
	s_delay_alu instid0(VALU_DEP_1) | instskip(NEXT) | instid1(VALU_DEP_2)
	v_fmac_f32_e32 v38, v34, v46
	v_cmp_eq_u32_e32 vcc_lo, 5, v39
	s_delay_alu instid0(VALU_DEP_2) | instskip(SKIP_1) | instid1(SALU_CYCLE_1)
	v_dual_mov_b32 v34, s8 :: v_dual_fmac_f32 v38, v40, v47
	s_or_b32 s6, vcc_lo, s6
	s_and_not1_b32 exec_lo, exec_lo, s6
	s_cbranch_execnz .LBB7_41
; %bb.42:
	s_or_b32 exec_lo, exec_lo, s6
.LBB7_43:
	s_delay_alu instid0(SALU_CYCLE_1) | instskip(SKIP_3) | instid1(VALU_DEP_1)
	s_or_b32 exec_lo, exec_lo, s0
	v_and_b32_e32 v36, 7, v35
	s_mov_b32 s2, 0
	s_mov_b32 s0, exec_lo
	v_cmpx_ne_u32_e32 0, v36
	s_cbranch_execz .LBB7_47
; %bb.44:
	v_lshl_add_u32 v39, v34, 2, 32
	v_mov_b32_e32 v35, 0
.LBB7_45:                               ; =>This Inner Loop Header: Depth=1
	v_cmp_eq_u32_e32 vcc_lo, 1, v34
	ds_load_b32 v41, v39
	v_dual_add_nc_u32 v36, -1, v36 :: v_dual_add_nc_u32 v39, 4, v39
	v_cndmask_b32_e32 v40, v10, v11, vcc_lo
	v_cmp_eq_u32_e32 vcc_lo, 2, v34
	s_delay_alu instid0(VALU_DEP_2) | instskip(SKIP_1) | instid1(VALU_DEP_2)
	v_cndmask_b32_e32 v40, v40, v12, vcc_lo
	v_cmp_eq_u32_e32 vcc_lo, 3, v34
	v_cndmask_b32_e32 v40, v40, v13, vcc_lo
	v_cmp_eq_u32_e32 vcc_lo, 4, v34
	s_delay_alu instid0(VALU_DEP_2) | instskip(SKIP_1) | instid1(VALU_DEP_2)
	v_cndmask_b32_e32 v40, v40, v14, vcc_lo
	v_cmp_eq_u32_e32 vcc_lo, 5, v34
	v_cndmask_b32_e32 v40, v40, v15, vcc_lo
	v_cmp_eq_u32_e32 vcc_lo, 6, v34
	s_delay_alu instid0(VALU_DEP_2) | instskip(SKIP_2) | instid1(VALU_DEP_3)
	v_cndmask_b32_e32 v40, v40, v16, vcc_lo
	v_cmp_eq_u32_e32 vcc_lo, 7, v34
	v_add_nc_u64_e32 v[34:35], 1, v[34:35]
	v_cndmask_b32_e32 v40, v40, v17, vcc_lo
	v_cmp_eq_u32_e32 vcc_lo, 0, v36
	s_wait_dscnt 0x0
	s_delay_alu instid0(VALU_DEP_2) | instskip(SKIP_1) | instid1(SALU_CYCLE_1)
	v_fmac_f32_e32 v38, v40, v41
	s_or_b32 s2, vcc_lo, s2
	s_and_not1_b32 exec_lo, exec_lo, s2
	s_cbranch_execnz .LBB7_45
; %bb.46:
	s_or_b32 exec_lo, exec_lo, s2
.LBB7_47:
	s_delay_alu instid0(SALU_CYCLE_1)
	s_or_b32 exec_lo, exec_lo, s0
.LBB7_48:
	s_delay_alu instid0(SALU_CYCLE_1)
	s_or_b32 exec_lo, exec_lo, s5
	v_mov_b32_e32 v13, 0
	ds_load_b32 v13, v13 offset:12
	s_wait_dscnt 0x0
	v_mul_f32_e32 v13, v38, v13
.LBB7_49:
	s_or_b32 exec_lo, exec_lo, s4
	v_cmp_lt_u32_e64 s0, 2, v0
	ds_store_b32 v37, v12
	s_wait_dscnt 0x0
	s_barrier_signal -1
	s_barrier_wait -1
	s_and_saveexec_b32 s4, s0
	s_cbranch_execz .LBB7_65
; %bb.50:
	s_and_not1_b32 vcc_lo, exec_lo, s12
	s_cbranch_vccnz .LBB7_52
; %bb.51:
	v_cmp_eq_u32_e32 vcc_lo, 1, v0
	ds_load_b32 v35, v37
	v_cndmask_b32_e32 v34, v10, v11, vcc_lo
	v_cmp_eq_u32_e32 vcc_lo, 2, v0
	s_delay_alu instid0(VALU_DEP_2) | instskip(SKIP_1) | instid1(VALU_DEP_2)
	v_cndmask_b32_e32 v34, v34, v12, vcc_lo
	v_cmp_eq_u32_e32 vcc_lo, 3, v0
	v_cndmask_b32_e32 v34, v34, v13, vcc_lo
	v_cmp_eq_u32_e32 vcc_lo, 4, v0
	s_delay_alu instid0(VALU_DEP_2) | instskip(SKIP_1) | instid1(VALU_DEP_2)
	v_cndmask_b32_e32 v34, v34, v14, vcc_lo
	v_cmp_eq_u32_e32 vcc_lo, 5, v0
	;; [unrolled: 5-line block ×3, first 2 shown]
	v_cndmask_b32_e32 v34, v34, v17, vcc_lo
	s_wait_dscnt 0x0
	s_delay_alu instid0(VALU_DEP_1)
	v_mul_f32_e32 v38, v34, v35
	s_cbranch_execz .LBB7_53
	s_branch .LBB7_54
.LBB7_52:
                                        ; implicit-def: $vgpr38
.LBB7_53:
	ds_load_b32 v38, v37
.LBB7_54:
	s_and_saveexec_b32 s5, s1
	s_cbranch_execz .LBB7_64
; %bb.55:
	v_dual_add_nc_u32 v34, -4, v0 :: v_dual_add_nc_u32 v35, -3, v0
	s_delay_alu instid0(VALU_DEP_1)
	v_cmp_lt_u32_e32 vcc_lo, 6, v34
	v_mov_b32_e32 v34, 3
	s_and_saveexec_b32 s1, vcc_lo
	s_cbranch_execz .LBB7_59
; %bb.56:
	v_and_b32_e32 v34, -8, v35
	s_mov_b32 s6, 0
	s_mov_b64 s[2:3], 10
	s_mov_b32 s7, 44
	s_delay_alu instid0(VALU_DEP_1)
	v_sub_nc_u32_e32 v36, 0, v34
.LBB7_57:                               ; =>This Inner Loop Header: Depth=1
	s_add_co_i32 m0, s2, -7
	v_movrels_b32_e32 v39, v10
	v_mov_b32_e32 v34, s7
	s_add_co_i32 m0, s2, -6
	s_add_co_i32 s7, s7, 32
	v_movrels_b32_e32 v48, v10
	ds_load_2addr_b32 v[40:41], v34 offset1:1
	ds_load_2addr_b32 v[42:43], v34 offset0:2 offset1:3
	s_add_co_i32 m0, s2, -5
	s_wait_dscnt 0x1
	v_fmac_f32_e32 v38, v39, v40
	ds_load_2addr_b32 v[44:45], v34 offset0:4 offset1:5
	ds_load_2addr_b32 v[46:47], v34 offset0:6 offset1:7
	v_movrels_b32_e32 v34, v10
	s_add_co_i32 m0, s2, -4
	v_fmac_f32_e32 v38, v48, v41
	v_movrels_b32_e32 v39, v10
	s_add_co_i32 m0, s2, -3
	s_wait_dscnt 0x2
	s_delay_alu instid0(VALU_DEP_2) | instskip(SKIP_2) | instid1(VALU_DEP_2)
	v_fmac_f32_e32 v38, v34, v42
	v_movrels_b32_e32 v34, v10
	s_add_co_i32 m0, s2, -2
	v_fmac_f32_e32 v38, v39, v43
	v_movrels_b32_e32 v39, v10
	s_add_co_i32 m0, s2, -1
	s_wait_dscnt 0x1
	s_delay_alu instid0(VALU_DEP_2)
	v_fmac_f32_e32 v38, v34, v44
	v_movrels_b32_e32 v34, v10
	s_mov_b32 m0, s2
	s_add_nc_u64 s[2:3], s[2:3], 8
	v_movrels_b32_e32 v40, v10
	v_dual_fmac_f32 v38, v39, v45 :: v_dual_add_nc_u32 v39, s2, v36
	s_add_co_i32 s8, s2, -7
	s_wait_dscnt 0x0
	s_delay_alu instid0(VALU_DEP_1) | instskip(NEXT) | instid1(VALU_DEP_2)
	v_fmac_f32_e32 v38, v34, v46
	v_cmp_eq_u32_e32 vcc_lo, 10, v39
	s_delay_alu instid0(VALU_DEP_2) | instskip(SKIP_1) | instid1(SALU_CYCLE_1)
	v_dual_mov_b32 v34, s8 :: v_dual_fmac_f32 v38, v40, v47
	s_or_b32 s6, vcc_lo, s6
	s_and_not1_b32 exec_lo, exec_lo, s6
	s_cbranch_execnz .LBB7_57
; %bb.58:
	s_or_b32 exec_lo, exec_lo, s6
.LBB7_59:
	s_delay_alu instid0(SALU_CYCLE_1) | instskip(SKIP_3) | instid1(VALU_DEP_1)
	s_or_b32 exec_lo, exec_lo, s1
	v_and_b32_e32 v36, 7, v35
	s_mov_b32 s2, 0
	s_mov_b32 s1, exec_lo
	v_cmpx_ne_u32_e32 0, v36
	s_cbranch_execz .LBB7_63
; %bb.60:
	v_lshl_add_u32 v39, v34, 2, 32
	v_mov_b32_e32 v35, 0
.LBB7_61:                               ; =>This Inner Loop Header: Depth=1
	v_cmp_eq_u32_e32 vcc_lo, 1, v34
	ds_load_b32 v41, v39
	v_dual_add_nc_u32 v36, -1, v36 :: v_dual_add_nc_u32 v39, 4, v39
	v_cndmask_b32_e32 v40, v10, v11, vcc_lo
	v_cmp_eq_u32_e32 vcc_lo, 2, v34
	s_delay_alu instid0(VALU_DEP_2) | instskip(SKIP_1) | instid1(VALU_DEP_2)
	v_cndmask_b32_e32 v40, v40, v12, vcc_lo
	v_cmp_eq_u32_e32 vcc_lo, 3, v34
	v_cndmask_b32_e32 v40, v40, v13, vcc_lo
	v_cmp_eq_u32_e32 vcc_lo, 4, v34
	s_delay_alu instid0(VALU_DEP_2) | instskip(SKIP_1) | instid1(VALU_DEP_2)
	v_cndmask_b32_e32 v40, v40, v14, vcc_lo
	v_cmp_eq_u32_e32 vcc_lo, 5, v34
	v_cndmask_b32_e32 v40, v40, v15, vcc_lo
	v_cmp_eq_u32_e32 vcc_lo, 6, v34
	s_delay_alu instid0(VALU_DEP_2) | instskip(SKIP_2) | instid1(VALU_DEP_3)
	v_cndmask_b32_e32 v40, v40, v16, vcc_lo
	v_cmp_eq_u32_e32 vcc_lo, 7, v34
	v_add_nc_u64_e32 v[34:35], 1, v[34:35]
	v_cndmask_b32_e32 v40, v40, v17, vcc_lo
	v_cmp_eq_u32_e32 vcc_lo, 0, v36
	s_wait_dscnt 0x0
	s_delay_alu instid0(VALU_DEP_2) | instskip(SKIP_1) | instid1(SALU_CYCLE_1)
	v_fmac_f32_e32 v38, v40, v41
	s_or_b32 s2, vcc_lo, s2
	s_and_not1_b32 exec_lo, exec_lo, s2
	s_cbranch_execnz .LBB7_61
; %bb.62:
	s_or_b32 exec_lo, exec_lo, s2
.LBB7_63:
	s_delay_alu instid0(SALU_CYCLE_1)
	s_or_b32 exec_lo, exec_lo, s1
.LBB7_64:
	s_delay_alu instid0(SALU_CYCLE_1)
	s_or_b32 exec_lo, exec_lo, s5
	v_mov_b32_e32 v12, 0
	ds_load_b32 v12, v12 offset:8
	s_wait_dscnt 0x0
	v_mul_f32_e32 v12, v38, v12
.LBB7_65:
	s_or_b32 exec_lo, exec_lo, s4
	v_cmp_lt_u32_e64 s1, 1, v0
	ds_store_b32 v37, v11
	s_wait_dscnt 0x0
	s_barrier_signal -1
	s_barrier_wait -1
	s_and_saveexec_b32 s4, s1
	s_cbranch_execz .LBB7_81
; %bb.66:
	s_and_not1_b32 vcc_lo, exec_lo, s12
	s_cbranch_vccnz .LBB7_68
; %bb.67:
	v_cmp_eq_u32_e32 vcc_lo, 1, v0
	ds_load_b32 v35, v37
	v_cndmask_b32_e32 v34, v10, v11, vcc_lo
	v_cmp_eq_u32_e32 vcc_lo, 2, v0
	s_delay_alu instid0(VALU_DEP_2) | instskip(SKIP_1) | instid1(VALU_DEP_2)
	v_cndmask_b32_e32 v34, v34, v12, vcc_lo
	v_cmp_eq_u32_e32 vcc_lo, 3, v0
	v_cndmask_b32_e32 v34, v34, v13, vcc_lo
	v_cmp_eq_u32_e32 vcc_lo, 4, v0
	s_delay_alu instid0(VALU_DEP_2) | instskip(SKIP_1) | instid1(VALU_DEP_2)
	v_cndmask_b32_e32 v34, v34, v14, vcc_lo
	v_cmp_eq_u32_e32 vcc_lo, 5, v0
	;; [unrolled: 5-line block ×3, first 2 shown]
	v_cndmask_b32_e32 v34, v34, v17, vcc_lo
	s_wait_dscnt 0x0
	s_delay_alu instid0(VALU_DEP_1)
	v_mul_f32_e32 v38, v34, v35
	s_cbranch_execz .LBB7_69
	s_branch .LBB7_70
.LBB7_68:
                                        ; implicit-def: $vgpr38
.LBB7_69:
	ds_load_b32 v38, v37
.LBB7_70:
	s_and_saveexec_b32 s5, s0
	s_cbranch_execz .LBB7_80
; %bb.71:
	v_dual_add_nc_u32 v34, -3, v0 :: v_dual_add_nc_u32 v35, -2, v0
	s_delay_alu instid0(VALU_DEP_1)
	v_cmp_lt_u32_e32 vcc_lo, 6, v34
	v_mov_b32_e32 v34, 2
	s_and_saveexec_b32 s0, vcc_lo
	s_cbranch_execz .LBB7_75
; %bb.72:
	v_and_b32_e32 v34, -8, v35
	s_mov_b32 s6, 0
	s_mov_b64 s[2:3], 9
	s_mov_b32 s7, 40
	s_delay_alu instid0(VALU_DEP_1)
	v_sub_nc_u32_e32 v36, 0, v34
.LBB7_73:                               ; =>This Inner Loop Header: Depth=1
	s_add_co_i32 m0, s2, -7
	v_movrels_b32_e32 v39, v10
	v_mov_b32_e32 v34, s7
	s_add_co_i32 m0, s2, -6
	s_add_co_i32 s7, s7, 32
	v_movrels_b32_e32 v48, v10
	s_add_co_i32 m0, s2, -5
	ds_load_2addr_b64 v[40:43], v34 offset1:1
	ds_load_2addr_b64 v[44:47], v34 offset0:2 offset1:3
	v_movrels_b32_e32 v34, v10
	s_add_co_i32 m0, s2, -4
	s_wait_dscnt 0x1
	v_fmac_f32_e32 v38, v39, v40
	v_movrels_b32_e32 v39, v10
	s_add_co_i32 m0, s2, -3
	s_delay_alu instid0(VALU_DEP_2) | instskip(NEXT) | instid1(VALU_DEP_1)
	v_fmac_f32_e32 v38, v48, v41
	v_fmac_f32_e32 v38, v34, v42
	v_movrels_b32_e32 v34, v10
	s_add_co_i32 m0, s2, -2
	s_delay_alu instid0(VALU_DEP_2) | instskip(SKIP_3) | instid1(VALU_DEP_2)
	v_fmac_f32_e32 v38, v39, v43
	v_movrels_b32_e32 v39, v10
	s_add_co_i32 m0, s2, -1
	s_wait_dscnt 0x0
	v_fmac_f32_e32 v38, v34, v44
	v_movrels_b32_e32 v34, v10
	s_mov_b32 m0, s2
	s_add_nc_u64 s[2:3], s[2:3], 8
	v_movrels_b32_e32 v40, v10
	v_dual_fmac_f32 v38, v39, v45 :: v_dual_add_nc_u32 v39, s2, v36
	s_add_co_i32 s8, s2, -7
	s_delay_alu instid0(VALU_DEP_1) | instskip(NEXT) | instid1(VALU_DEP_2)
	v_fmac_f32_e32 v38, v34, v46
	v_cmp_eq_u32_e32 vcc_lo, 9, v39
	s_delay_alu instid0(VALU_DEP_2) | instskip(SKIP_1) | instid1(SALU_CYCLE_1)
	v_dual_mov_b32 v34, s8 :: v_dual_fmac_f32 v38, v40, v47
	s_or_b32 s6, vcc_lo, s6
	s_and_not1_b32 exec_lo, exec_lo, s6
	s_cbranch_execnz .LBB7_73
; %bb.74:
	s_or_b32 exec_lo, exec_lo, s6
.LBB7_75:
	s_delay_alu instid0(SALU_CYCLE_1) | instskip(SKIP_3) | instid1(VALU_DEP_1)
	s_or_b32 exec_lo, exec_lo, s0
	v_and_b32_e32 v36, 7, v35
	s_mov_b32 s2, 0
	s_mov_b32 s0, exec_lo
	v_cmpx_ne_u32_e32 0, v36
	s_cbranch_execz .LBB7_79
; %bb.76:
	v_lshl_add_u32 v39, v34, 2, 32
	v_mov_b32_e32 v35, 0
.LBB7_77:                               ; =>This Inner Loop Header: Depth=1
	v_cmp_eq_u32_e32 vcc_lo, 1, v34
	ds_load_b32 v41, v39
	v_dual_add_nc_u32 v36, -1, v36 :: v_dual_add_nc_u32 v39, 4, v39
	v_cndmask_b32_e32 v40, v10, v11, vcc_lo
	v_cmp_eq_u32_e32 vcc_lo, 2, v34
	s_delay_alu instid0(VALU_DEP_2) | instskip(SKIP_1) | instid1(VALU_DEP_2)
	v_cndmask_b32_e32 v40, v40, v12, vcc_lo
	v_cmp_eq_u32_e32 vcc_lo, 3, v34
	v_cndmask_b32_e32 v40, v40, v13, vcc_lo
	v_cmp_eq_u32_e32 vcc_lo, 4, v34
	s_delay_alu instid0(VALU_DEP_2) | instskip(SKIP_1) | instid1(VALU_DEP_2)
	v_cndmask_b32_e32 v40, v40, v14, vcc_lo
	v_cmp_eq_u32_e32 vcc_lo, 5, v34
	v_cndmask_b32_e32 v40, v40, v15, vcc_lo
	v_cmp_eq_u32_e32 vcc_lo, 6, v34
	s_delay_alu instid0(VALU_DEP_2) | instskip(SKIP_2) | instid1(VALU_DEP_3)
	v_cndmask_b32_e32 v40, v40, v16, vcc_lo
	v_cmp_eq_u32_e32 vcc_lo, 7, v34
	v_add_nc_u64_e32 v[34:35], 1, v[34:35]
	v_cndmask_b32_e32 v40, v40, v17, vcc_lo
	v_cmp_eq_u32_e32 vcc_lo, 0, v36
	s_wait_dscnt 0x0
	s_delay_alu instid0(VALU_DEP_2) | instskip(SKIP_1) | instid1(SALU_CYCLE_1)
	v_fmac_f32_e32 v38, v40, v41
	s_or_b32 s2, vcc_lo, s2
	s_and_not1_b32 exec_lo, exec_lo, s2
	s_cbranch_execnz .LBB7_77
; %bb.78:
	s_or_b32 exec_lo, exec_lo, s2
.LBB7_79:
	s_delay_alu instid0(SALU_CYCLE_1)
	s_or_b32 exec_lo, exec_lo, s0
.LBB7_80:
	s_delay_alu instid0(SALU_CYCLE_1)
	s_or_b32 exec_lo, exec_lo, s5
	v_mov_b32_e32 v11, 0
	ds_load_b32 v11, v11 offset:4
	s_wait_dscnt 0x0
	v_mul_f32_e32 v11, v38, v11
.LBB7_81:
	s_or_b32 exec_lo, exec_lo, s4
	s_mov_b32 s2, 0
	s_mov_b32 s3, exec_lo
	ds_store_b32 v37, v10
	s_wait_dscnt 0x0
	s_barrier_signal -1
	s_barrier_wait -1
	v_cmpx_ne_u32_e32 0, v0
	s_cbranch_execz .LBB7_97
; %bb.82:
	s_and_not1_b32 vcc_lo, exec_lo, s12
	s_cbranch_vccnz .LBB7_84
; %bb.83:
	v_cmp_eq_u32_e32 vcc_lo, 1, v0
	ds_load_b32 v35, v37
	v_cndmask_b32_e32 v34, v10, v11, vcc_lo
	v_cmp_eq_u32_e32 vcc_lo, 2, v0
	s_delay_alu instid0(VALU_DEP_2) | instskip(SKIP_1) | instid1(VALU_DEP_2)
	v_cndmask_b32_e32 v34, v34, v12, vcc_lo
	v_cmp_eq_u32_e32 vcc_lo, 3, v0
	v_cndmask_b32_e32 v34, v34, v13, vcc_lo
	v_cmp_eq_u32_e32 vcc_lo, 4, v0
	s_delay_alu instid0(VALU_DEP_2) | instskip(SKIP_1) | instid1(VALU_DEP_2)
	v_cndmask_b32_e32 v34, v34, v14, vcc_lo
	v_cmp_eq_u32_e32 vcc_lo, 5, v0
	;; [unrolled: 5-line block ×3, first 2 shown]
	v_cndmask_b32_e32 v34, v34, v17, vcc_lo
	s_wait_dscnt 0x0
	s_delay_alu instid0(VALU_DEP_1)
	v_mul_f32_e32 v38, v34, v35
	s_cbranch_execz .LBB7_85
	s_branch .LBB7_86
.LBB7_84:
                                        ; implicit-def: $vgpr38
.LBB7_85:
	ds_load_b32 v38, v37
.LBB7_86:
	s_and_saveexec_b32 s4, s1
	s_cbranch_execz .LBB7_96
; %bb.87:
	v_dual_add_nc_u32 v34, -2, v0 :: v_dual_add_nc_u32 v35, -1, v0
	s_delay_alu instid0(VALU_DEP_1)
	v_cmp_lt_u32_e32 vcc_lo, 6, v34
	v_mov_b32_e32 v34, 1
	s_and_saveexec_b32 s5, vcc_lo
	s_cbranch_execz .LBB7_91
; %bb.88:
	v_and_b32_e32 v34, -8, v35
	s_mov_b32 s6, 0
	s_mov_b64 s[0:1], 8
	s_mov_b32 s7, 36
	s_delay_alu instid0(VALU_DEP_1)
	v_sub_nc_u32_e32 v36, 0, v34
.LBB7_89:                               ; =>This Inner Loop Header: Depth=1
	s_add_co_i32 m0, s0, -7
	v_movrels_b32_e32 v39, v10
	v_mov_b32_e32 v34, s7
	s_add_co_i32 m0, s0, -6
	s_add_co_i32 s7, s7, 32
	v_movrels_b32_e32 v48, v10
	ds_load_2addr_b32 v[40:41], v34 offset1:1
	ds_load_2addr_b32 v[42:43], v34 offset0:2 offset1:3
	s_add_co_i32 m0, s0, -5
	s_wait_dscnt 0x1
	v_fmac_f32_e32 v38, v39, v40
	ds_load_2addr_b32 v[44:45], v34 offset0:4 offset1:5
	ds_load_2addr_b32 v[46:47], v34 offset0:6 offset1:7
	v_movrels_b32_e32 v34, v10
	s_add_co_i32 m0, s0, -4
	v_fmac_f32_e32 v38, v48, v41
	v_movrels_b32_e32 v39, v10
	s_add_co_i32 m0, s0, -3
	s_wait_dscnt 0x2
	s_delay_alu instid0(VALU_DEP_2) | instskip(SKIP_2) | instid1(VALU_DEP_2)
	v_fmac_f32_e32 v38, v34, v42
	v_movrels_b32_e32 v34, v10
	s_add_co_i32 m0, s0, -2
	v_fmac_f32_e32 v38, v39, v43
	v_movrels_b32_e32 v39, v10
	s_add_co_i32 m0, s0, -1
	s_wait_dscnt 0x1
	s_delay_alu instid0(VALU_DEP_2)
	v_fmac_f32_e32 v38, v34, v44
	v_movrels_b32_e32 v34, v10
	s_mov_b32 m0, s0
	s_add_nc_u64 s[0:1], s[0:1], 8
	v_movrels_b32_e32 v40, v10
	v_dual_fmac_f32 v38, v39, v45 :: v_dual_add_nc_u32 v39, s0, v36
	s_add_co_i32 s8, s0, -7
	s_wait_dscnt 0x0
	s_delay_alu instid0(VALU_DEP_1) | instskip(NEXT) | instid1(VALU_DEP_2)
	v_fmac_f32_e32 v38, v34, v46
	v_cmp_eq_u32_e32 vcc_lo, 8, v39
	s_delay_alu instid0(VALU_DEP_2) | instskip(SKIP_1) | instid1(SALU_CYCLE_1)
	v_dual_mov_b32 v34, s8 :: v_dual_fmac_f32 v38, v40, v47
	s_or_b32 s6, vcc_lo, s6
	s_and_not1_b32 exec_lo, exec_lo, s6
	s_cbranch_execnz .LBB7_89
; %bb.90:
	s_or_b32 exec_lo, exec_lo, s6
.LBB7_91:
	s_delay_alu instid0(SALU_CYCLE_1) | instskip(SKIP_3) | instid1(VALU_DEP_1)
	s_or_b32 exec_lo, exec_lo, s5
	v_and_b32_e32 v36, 7, v35
	s_mov_b32 s1, 0
	s_mov_b32 s0, exec_lo
	v_cmpx_ne_u32_e32 0, v36
	s_cbranch_execz .LBB7_95
; %bb.92:
	v_lshl_add_u32 v39, v34, 2, 32
	v_mov_b32_e32 v35, 0
.LBB7_93:                               ; =>This Inner Loop Header: Depth=1
	v_cmp_eq_u32_e32 vcc_lo, 1, v34
	ds_load_b32 v41, v39
	v_dual_add_nc_u32 v36, -1, v36 :: v_dual_add_nc_u32 v39, 4, v39
	v_cndmask_b32_e32 v40, v10, v11, vcc_lo
	v_cmp_eq_u32_e32 vcc_lo, 2, v34
	s_delay_alu instid0(VALU_DEP_2) | instskip(SKIP_1) | instid1(VALU_DEP_2)
	v_cndmask_b32_e32 v40, v40, v12, vcc_lo
	v_cmp_eq_u32_e32 vcc_lo, 3, v34
	v_cndmask_b32_e32 v40, v40, v13, vcc_lo
	v_cmp_eq_u32_e32 vcc_lo, 4, v34
	s_delay_alu instid0(VALU_DEP_2) | instskip(SKIP_1) | instid1(VALU_DEP_2)
	v_cndmask_b32_e32 v40, v40, v14, vcc_lo
	v_cmp_eq_u32_e32 vcc_lo, 5, v34
	v_cndmask_b32_e32 v40, v40, v15, vcc_lo
	v_cmp_eq_u32_e32 vcc_lo, 6, v34
	s_delay_alu instid0(VALU_DEP_2) | instskip(SKIP_2) | instid1(VALU_DEP_3)
	v_cndmask_b32_e32 v40, v40, v16, vcc_lo
	v_cmp_eq_u32_e32 vcc_lo, 7, v34
	v_add_nc_u64_e32 v[34:35], 1, v[34:35]
	v_cndmask_b32_e32 v40, v40, v17, vcc_lo
	v_cmp_eq_u32_e32 vcc_lo, 0, v36
	s_wait_dscnt 0x0
	s_delay_alu instid0(VALU_DEP_2) | instskip(SKIP_1) | instid1(SALU_CYCLE_1)
	v_fmac_f32_e32 v38, v40, v41
	s_or_b32 s1, vcc_lo, s1
	s_and_not1_b32 exec_lo, exec_lo, s1
	s_cbranch_execnz .LBB7_93
; %bb.94:
	s_or_b32 exec_lo, exec_lo, s1
.LBB7_95:
	s_delay_alu instid0(SALU_CYCLE_1)
	s_or_b32 exec_lo, exec_lo, s0
.LBB7_96:
	s_delay_alu instid0(SALU_CYCLE_1)
	s_or_b32 exec_lo, exec_lo, s4
	v_mov_b32_e32 v10, 0
	ds_load_b32 v10, v10
	s_wait_dscnt 0x0
	v_mul_f32_e32 v10, v38, v10
.LBB7_97:
	s_or_b32 exec_lo, exec_lo, s3
	s_delay_alu instid0(SALU_CYCLE_1)
	s_and_b32 vcc_lo, exec_lo, s2
	s_cbranch_vccz .LBB7_159
.LBB7_98:
	v_cmp_eq_u32_e64 s0, 0, v0
	s_wait_loadcnt 0x6
	ds_store_b32 v37, v3
	s_wait_loadcnt_dscnt 0x0
	s_barrier_signal -1
	s_barrier_wait -1
	s_and_saveexec_b32 s1, s0
	s_cbranch_execz .LBB7_104
; %bb.99:
	s_and_b32 vcc_lo, exec_lo, s12
	s_cbranch_vccz .LBB7_101
; %bb.100:
	v_cmp_eq_u32_e32 vcc_lo, 1, v0
	ds_load_b32 v10, v37
	v_cndmask_b32_e32 v3, v2, v3, vcc_lo
	v_cmp_eq_u32_e32 vcc_lo, 2, v0
	s_delay_alu instid0(VALU_DEP_2) | instskip(SKIP_1) | instid1(VALU_DEP_2)
	v_cndmask_b32_e32 v3, v3, v4, vcc_lo
	v_cmp_eq_u32_e32 vcc_lo, 3, v0
	v_cndmask_b32_e32 v3, v3, v5, vcc_lo
	v_cmp_eq_u32_e32 vcc_lo, 4, v0
	s_delay_alu instid0(VALU_DEP_2) | instskip(SKIP_1) | instid1(VALU_DEP_2)
	v_cndmask_b32_e32 v3, v3, v6, vcc_lo
	v_cmp_eq_u32_e32 vcc_lo, 5, v0
	;; [unrolled: 5-line block ×3, first 2 shown]
	v_cndmask_b32_e32 v3, v3, v9, vcc_lo
	s_wait_dscnt 0x0
	s_delay_alu instid0(VALU_DEP_1)
	v_mul_f32_e32 v3, v3, v10
	s_cbranch_execz .LBB7_102
	s_branch .LBB7_103
.LBB7_101:
                                        ; implicit-def: $vgpr3
.LBB7_102:
	ds_load_b32 v3, v37
.LBB7_103:
	v_mov_b32_e32 v10, 0
	ds_load_b32 v10, v10 offset:4
	s_wait_dscnt 0x0
	v_mul_f32_e32 v3, v3, v10
.LBB7_104:
	s_or_b32 exec_lo, exec_lo, s1
	v_cndmask_b32_e64 v12, 0, 1, s12
	s_mov_b32 s1, exec_lo
	ds_store_b32 v37, v4
	s_wait_dscnt 0x0
	s_barrier_signal -1
	s_barrier_wait -1
	v_cmpx_gt_u32_e32 2, v0
	s_cbranch_execz .LBB7_110
; %bb.105:
	s_and_not1_b32 vcc_lo, exec_lo, s12
	s_cbranch_vccnz .LBB7_107
; %bb.106:
	v_cmp_eq_u32_e32 vcc_lo, 1, v0
	v_cndmask_b32_e32 v10, v2, v3, vcc_lo
	v_cmp_eq_u32_e32 vcc_lo, 2, v0
	s_delay_alu instid0(VALU_DEP_2) | instskip(SKIP_4) | instid1(VALU_DEP_2)
	v_cndmask_b32_e32 v4, v10, v4, vcc_lo
	v_cmp_eq_u32_e32 vcc_lo, 3, v0
	ds_load_b32 v10, v37
	v_cndmask_b32_e32 v4, v4, v5, vcc_lo
	v_cmp_eq_u32_e32 vcc_lo, 4, v0
	v_cndmask_b32_e32 v4, v4, v6, vcc_lo
	v_cmp_eq_u32_e32 vcc_lo, 5, v0
	s_delay_alu instid0(VALU_DEP_2) | instskip(SKIP_1) | instid1(VALU_DEP_2)
	v_cndmask_b32_e32 v4, v4, v7, vcc_lo
	v_cmp_eq_u32_e32 vcc_lo, 6, v0
	v_cndmask_b32_e32 v4, v4, v8, vcc_lo
	v_cmp_eq_u32_e32 vcc_lo, 7, v0
	s_delay_alu instid0(VALU_DEP_2) | instskip(SKIP_1) | instid1(VALU_DEP_1)
	v_cndmask_b32_e32 v4, v4, v9, vcc_lo
	s_wait_dscnt 0x0
	v_mul_f32_e32 v4, v4, v10
	s_cbranch_execz .LBB7_108
	s_branch .LBB7_109
.LBB7_107:
                                        ; implicit-def: $vgpr4
.LBB7_108:
	ds_load_b32 v4, v37
.LBB7_109:
	v_mov_b32_e32 v10, 0
	ds_load_2addr_b32 v[10:11], v10 offset0:2 offset1:9
	s_wait_dscnt 0x0
	v_fma_f32 v11, v3, v11, v4
	s_delay_alu instid0(VALU_DEP_1) | instskip(NEXT) | instid1(VALU_DEP_1)
	v_cndmask_b32_e64 v4, v4, v11, s0
	v_mul_f32_e32 v4, v4, v10
.LBB7_110:
	s_or_b32 exec_lo, exec_lo, s1
	s_delay_alu instid0(SALU_CYCLE_1)
	s_mov_b32 s1, exec_lo
	ds_store_b32 v37, v5
	s_wait_dscnt 0x0
	s_barrier_signal -1
	s_barrier_wait -1
	v_cmpx_gt_u32_e32 3, v0
	s_cbranch_execz .LBB7_118
; %bb.111:
	v_cmp_ne_u32_e32 vcc_lo, 1, v12
	s_cbranch_vccnz .LBB7_113
; %bb.112:
	v_cmp_eq_u32_e32 vcc_lo, 1, v0
	ds_load_b32 v11, v37
	v_cndmask_b32_e32 v10, v2, v3, vcc_lo
	v_cmp_eq_u32_e32 vcc_lo, 2, v0
	s_delay_alu instid0(VALU_DEP_2) | instskip(SKIP_1) | instid1(VALU_DEP_2)
	v_cndmask_b32_e32 v10, v10, v4, vcc_lo
	v_cmp_eq_u32_e32 vcc_lo, 3, v0
	v_cndmask_b32_e32 v10, v10, v5, vcc_lo
	v_cmp_eq_u32_e32 vcc_lo, 4, v0
	s_delay_alu instid0(VALU_DEP_2) | instskip(SKIP_1) | instid1(VALU_DEP_2)
	v_cndmask_b32_e32 v10, v10, v6, vcc_lo
	v_cmp_eq_u32_e32 vcc_lo, 5, v0
	;; [unrolled: 5-line block ×3, first 2 shown]
	v_cndmask_b32_e32 v10, v10, v9, vcc_lo
	s_wait_dscnt 0x0
	s_delay_alu instid0(VALU_DEP_1)
	v_mul_f32_e32 v10, v10, v11
	s_cbranch_execz .LBB7_114
	s_branch .LBB7_115
.LBB7_113:
                                        ; implicit-def: $vgpr10
.LBB7_114:
	ds_load_b32 v10, v37
.LBB7_115:
	s_mov_b32 s2, exec_lo
	v_cmpx_ne_u32_e32 2, v0
	s_cbranch_execz .LBB7_117
; %bb.116:
	v_dual_mov_b32 v14, 0 :: v_dual_add_nc_u32 v11, 1, v0
	s_delay_alu instid0(VALU_DEP_1) | instskip(SKIP_3) | instid1(VALU_DEP_2)
	v_cmp_eq_u32_e32 vcc_lo, 1, v11
	ds_load_b32 v14, v14 offset:40
	v_cndmask_b32_e32 v13, v2, v3, vcc_lo
	v_cmp_eq_u32_e32 vcc_lo, 2, v11
	v_cndmask_b32_e32 v13, v13, v4, vcc_lo
	v_cmp_eq_u32_e32 vcc_lo, 3, v11
	s_delay_alu instid0(VALU_DEP_2) | instskip(SKIP_4) | instid1(VALU_DEP_2)
	v_cndmask_b32_e32 v5, v13, v5, vcc_lo
	v_cmp_eq_u32_e32 vcc_lo, 4, v11
	ds_load_b32 v13, v37 offset:4
	v_cndmask_b32_e32 v5, v5, v6, vcc_lo
	v_cmp_eq_u32_e32 vcc_lo, 5, v11
	v_cndmask_b32_e32 v5, v5, v7, vcc_lo
	v_cmp_eq_u32_e32 vcc_lo, 6, v11
	s_delay_alu instid0(VALU_DEP_2) | instskip(SKIP_1) | instid1(VALU_DEP_2)
	v_cndmask_b32_e32 v5, v5, v8, vcc_lo
	v_cmp_eq_u32_e32 vcc_lo, 7, v11
	v_cndmask_b32_e32 v5, v5, v9, vcc_lo
	s_wait_dscnt 0x0
	s_delay_alu instid0(VALU_DEP_1) | instskip(NEXT) | instid1(VALU_DEP_1)
	v_fmac_f32_e32 v10, v5, v13
	v_fma_f32 v5, v4, v14, v10
	s_delay_alu instid0(VALU_DEP_1)
	v_cndmask_b32_e64 v10, v10, v5, s0
.LBB7_117:
	s_or_b32 exec_lo, exec_lo, s2
	v_mov_b32_e32 v5, 0
	ds_load_b32 v5, v5 offset:12
	s_wait_dscnt 0x0
	v_mul_f32_e32 v5, v10, v5
.LBB7_118:
	s_or_b32 exec_lo, exec_lo, s1
	s_delay_alu instid0(SALU_CYCLE_1)
	s_mov_b32 s0, exec_lo
	ds_store_b32 v37, v6
	s_wait_dscnt 0x0
	s_barrier_signal -1
	s_barrier_wait -1
	v_cmpx_gt_u32_e32 4, v0
	s_cbranch_execz .LBB7_128
; %bb.119:
	v_cmp_ne_u32_e32 vcc_lo, 1, v12
	s_cbranch_vccnz .LBB7_121
; %bb.120:
	v_cmp_eq_u32_e32 vcc_lo, 1, v0
	ds_load_b32 v11, v37
	v_cndmask_b32_e32 v10, v2, v3, vcc_lo
	v_cmp_eq_u32_e32 vcc_lo, 2, v0
	s_delay_alu instid0(VALU_DEP_2) | instskip(SKIP_1) | instid1(VALU_DEP_2)
	v_cndmask_b32_e32 v10, v10, v4, vcc_lo
	v_cmp_eq_u32_e32 vcc_lo, 3, v0
	v_cndmask_b32_e32 v10, v10, v5, vcc_lo
	v_cmp_eq_u32_e32 vcc_lo, 4, v0
	s_delay_alu instid0(VALU_DEP_2) | instskip(SKIP_1) | instid1(VALU_DEP_2)
	v_cndmask_b32_e32 v10, v10, v6, vcc_lo
	v_cmp_eq_u32_e32 vcc_lo, 5, v0
	;; [unrolled: 5-line block ×3, first 2 shown]
	v_cndmask_b32_e32 v10, v10, v9, vcc_lo
	s_wait_dscnt 0x0
	s_delay_alu instid0(VALU_DEP_1)
	v_mul_f32_e32 v13, v10, v11
	s_cbranch_execz .LBB7_122
	s_branch .LBB7_123
.LBB7_121:
                                        ; implicit-def: $vgpr13
.LBB7_122:
	ds_load_b32 v13, v37
.LBB7_123:
	s_mov_b32 s1, exec_lo
	v_cmpx_ne_u32_e32 3, v0
	s_cbranch_execz .LBB7_127
; %bb.124:
	v_mov_b64_e32 v[10:11], v[0:1]
	v_lshl_add_u32 v14, v0, 2, 36
	s_mov_b32 s2, 0
.LBB7_125:                              ; =>This Inner Loop Header: Depth=1
	s_delay_alu instid0(VALU_DEP_2)
	v_add_nc_u64_e32 v[10:11], 1, v[10:11]
	ds_load_b32 v16, v14
	v_add_nc_u32_e32 v14, 4, v14
	v_cmp_eq_u32_e32 vcc_lo, 1, v10
	v_cndmask_b32_e32 v15, v2, v3, vcc_lo
	v_cmp_eq_u32_e32 vcc_lo, 2, v10
	s_delay_alu instid0(VALU_DEP_2) | instskip(SKIP_1) | instid1(VALU_DEP_2)
	v_cndmask_b32_e32 v15, v15, v4, vcc_lo
	v_cmp_eq_u32_e32 vcc_lo, 3, v10
	v_cndmask_b32_e32 v15, v15, v5, vcc_lo
	v_cmp_eq_u32_e32 vcc_lo, 4, v10
	s_delay_alu instid0(VALU_DEP_2) | instskip(SKIP_1) | instid1(VALU_DEP_2)
	v_cndmask_b32_e32 v15, v15, v6, vcc_lo
	;; [unrolled: 5-line block ×3, first 2 shown]
	v_cmp_eq_u32_e32 vcc_lo, 7, v10
	v_cndmask_b32_e32 v15, v15, v9, vcc_lo
	v_cmp_lt_u32_e32 vcc_lo, 2, v10
	s_wait_dscnt 0x0
	s_delay_alu instid0(VALU_DEP_2) | instskip(SKIP_1) | instid1(SALU_CYCLE_1)
	v_fmac_f32_e32 v13, v15, v16
	s_or_b32 s2, vcc_lo, s2
	s_and_not1_b32 exec_lo, exec_lo, s2
	s_cbranch_execnz .LBB7_125
; %bb.126:
	s_or_b32 exec_lo, exec_lo, s2
.LBB7_127:
	s_delay_alu instid0(SALU_CYCLE_1)
	s_or_b32 exec_lo, exec_lo, s1
	v_mov_b32_e32 v6, 0
	ds_load_b32 v6, v6 offset:16
	s_wait_dscnt 0x0
	v_mul_f32_e32 v6, v13, v6
.LBB7_128:
	s_or_b32 exec_lo, exec_lo, s0
	s_delay_alu instid0(SALU_CYCLE_1)
	s_mov_b32 s0, exec_lo
	ds_store_b32 v37, v7
	s_wait_dscnt 0x0
	s_barrier_signal -1
	s_barrier_wait -1
	v_cmpx_gt_u32_e32 5, v0
	s_cbranch_execz .LBB7_138
; %bb.129:
	v_cmp_ne_u32_e32 vcc_lo, 1, v12
	s_cbranch_vccnz .LBB7_131
; %bb.130:
	v_cmp_eq_u32_e32 vcc_lo, 1, v0
	ds_load_b32 v11, v37
	v_cndmask_b32_e32 v10, v2, v3, vcc_lo
	v_cmp_eq_u32_e32 vcc_lo, 2, v0
	s_delay_alu instid0(VALU_DEP_2) | instskip(SKIP_1) | instid1(VALU_DEP_2)
	v_cndmask_b32_e32 v10, v10, v4, vcc_lo
	v_cmp_eq_u32_e32 vcc_lo, 3, v0
	v_cndmask_b32_e32 v10, v10, v5, vcc_lo
	v_cmp_eq_u32_e32 vcc_lo, 4, v0
	s_delay_alu instid0(VALU_DEP_2) | instskip(SKIP_1) | instid1(VALU_DEP_2)
	v_cndmask_b32_e32 v10, v10, v6, vcc_lo
	v_cmp_eq_u32_e32 vcc_lo, 5, v0
	v_cndmask_b32_e32 v10, v10, v7, vcc_lo
	v_cmp_eq_u32_e32 vcc_lo, 6, v0
	s_delay_alu instid0(VALU_DEP_2) | instskip(SKIP_1) | instid1(VALU_DEP_2)
	v_cndmask_b32_e32 v10, v10, v8, vcc_lo
	v_cmp_eq_u32_e32 vcc_lo, 7, v0
	v_cndmask_b32_e32 v10, v10, v9, vcc_lo
	s_wait_dscnt 0x0
	s_delay_alu instid0(VALU_DEP_1)
	v_mul_f32_e32 v13, v10, v11
	s_cbranch_execz .LBB7_132
	s_branch .LBB7_133
.LBB7_131:
                                        ; implicit-def: $vgpr13
.LBB7_132:
	ds_load_b32 v13, v37
.LBB7_133:
	s_mov_b32 s1, exec_lo
	v_cmpx_ne_u32_e32 4, v0
	s_cbranch_execz .LBB7_137
; %bb.134:
	v_mov_b64_e32 v[10:11], v[0:1]
	v_lshl_add_u32 v14, v0, 2, 36
	s_mov_b32 s2, 0
.LBB7_135:                              ; =>This Inner Loop Header: Depth=1
	s_delay_alu instid0(VALU_DEP_2)
	v_add_nc_u64_e32 v[10:11], 1, v[10:11]
	ds_load_b32 v16, v14
	v_add_nc_u32_e32 v14, 4, v14
	v_cmp_eq_u32_e32 vcc_lo, 1, v10
	v_cndmask_b32_e32 v15, v2, v3, vcc_lo
	v_cmp_eq_u32_e32 vcc_lo, 2, v10
	s_delay_alu instid0(VALU_DEP_2) | instskip(SKIP_1) | instid1(VALU_DEP_2)
	v_cndmask_b32_e32 v15, v15, v4, vcc_lo
	v_cmp_eq_u32_e32 vcc_lo, 3, v10
	v_cndmask_b32_e32 v15, v15, v5, vcc_lo
	v_cmp_eq_u32_e32 vcc_lo, 4, v10
	s_delay_alu instid0(VALU_DEP_2) | instskip(SKIP_1) | instid1(VALU_DEP_2)
	v_cndmask_b32_e32 v15, v15, v6, vcc_lo
	;; [unrolled: 5-line block ×3, first 2 shown]
	v_cmp_eq_u32_e32 vcc_lo, 7, v10
	v_cndmask_b32_e32 v15, v15, v9, vcc_lo
	v_cmp_lt_u32_e32 vcc_lo, 3, v10
	s_wait_dscnt 0x0
	s_delay_alu instid0(VALU_DEP_2) | instskip(SKIP_1) | instid1(SALU_CYCLE_1)
	v_fmac_f32_e32 v13, v15, v16
	s_or_b32 s2, vcc_lo, s2
	s_and_not1_b32 exec_lo, exec_lo, s2
	s_cbranch_execnz .LBB7_135
; %bb.136:
	s_or_b32 exec_lo, exec_lo, s2
.LBB7_137:
	s_delay_alu instid0(SALU_CYCLE_1)
	s_or_b32 exec_lo, exec_lo, s1
	v_mov_b32_e32 v7, 0
	ds_load_b32 v7, v7 offset:20
	s_wait_dscnt 0x0
	v_mul_f32_e32 v7, v13, v7
.LBB7_138:
	s_or_b32 exec_lo, exec_lo, s0
	v_cmp_gt_u32_e64 s0, 6, v0
	ds_store_b32 v37, v8
	s_wait_dscnt 0x0
	s_barrier_signal -1
	s_barrier_wait -1
	s_and_saveexec_b32 s1, s0
	s_cbranch_execz .LBB7_148
; %bb.139:
	v_cmp_ne_u32_e32 vcc_lo, 1, v12
	s_cbranch_vccnz .LBB7_141
; %bb.140:
	v_cmp_eq_u32_e32 vcc_lo, 1, v0
	ds_load_b32 v11, v37
	v_cndmask_b32_e32 v10, v2, v3, vcc_lo
	v_cmp_eq_u32_e32 vcc_lo, 2, v0
	s_delay_alu instid0(VALU_DEP_2) | instskip(SKIP_1) | instid1(VALU_DEP_2)
	v_cndmask_b32_e32 v10, v10, v4, vcc_lo
	v_cmp_eq_u32_e32 vcc_lo, 3, v0
	v_cndmask_b32_e32 v10, v10, v5, vcc_lo
	v_cmp_eq_u32_e32 vcc_lo, 4, v0
	s_delay_alu instid0(VALU_DEP_2) | instskip(SKIP_1) | instid1(VALU_DEP_2)
	v_cndmask_b32_e32 v10, v10, v6, vcc_lo
	v_cmp_eq_u32_e32 vcc_lo, 5, v0
	v_cndmask_b32_e32 v10, v10, v7, vcc_lo
	v_cmp_eq_u32_e32 vcc_lo, 6, v0
	s_delay_alu instid0(VALU_DEP_2) | instskip(SKIP_1) | instid1(VALU_DEP_2)
	v_cndmask_b32_e32 v10, v10, v8, vcc_lo
	v_cmp_eq_u32_e32 vcc_lo, 7, v0
	v_cndmask_b32_e32 v10, v10, v9, vcc_lo
	s_wait_dscnt 0x0
	s_delay_alu instid0(VALU_DEP_1)
	v_mul_f32_e32 v13, v10, v11
	s_cbranch_execz .LBB7_142
	s_branch .LBB7_143
.LBB7_141:
                                        ; implicit-def: $vgpr13
.LBB7_142:
	ds_load_b32 v13, v37
.LBB7_143:
	s_mov_b32 s2, exec_lo
	v_cmpx_ne_u32_e32 5, v0
	s_cbranch_execz .LBB7_147
; %bb.144:
	v_mov_b64_e32 v[10:11], v[0:1]
	v_lshl_add_u32 v14, v0, 2, 36
	s_mov_b32 s3, 0
.LBB7_145:                              ; =>This Inner Loop Header: Depth=1
	s_delay_alu instid0(VALU_DEP_2)
	v_add_nc_u64_e32 v[10:11], 1, v[10:11]
	ds_load_b32 v16, v14
	v_add_nc_u32_e32 v14, 4, v14
	v_cmp_eq_u32_e32 vcc_lo, 1, v10
	v_cndmask_b32_e32 v15, v2, v3, vcc_lo
	v_cmp_eq_u32_e32 vcc_lo, 2, v10
	s_delay_alu instid0(VALU_DEP_2) | instskip(SKIP_1) | instid1(VALU_DEP_2)
	v_cndmask_b32_e32 v15, v15, v4, vcc_lo
	v_cmp_eq_u32_e32 vcc_lo, 3, v10
	v_cndmask_b32_e32 v15, v15, v5, vcc_lo
	v_cmp_eq_u32_e32 vcc_lo, 4, v10
	s_delay_alu instid0(VALU_DEP_2) | instskip(SKIP_1) | instid1(VALU_DEP_2)
	v_cndmask_b32_e32 v15, v15, v6, vcc_lo
	;; [unrolled: 5-line block ×3, first 2 shown]
	v_cmp_eq_u32_e32 vcc_lo, 7, v10
	v_cndmask_b32_e32 v15, v15, v9, vcc_lo
	v_cmp_lt_u32_e32 vcc_lo, 4, v10
	s_wait_dscnt 0x0
	s_delay_alu instid0(VALU_DEP_2) | instskip(SKIP_1) | instid1(SALU_CYCLE_1)
	v_fmac_f32_e32 v13, v15, v16
	s_or_b32 s3, vcc_lo, s3
	s_and_not1_b32 exec_lo, exec_lo, s3
	s_cbranch_execnz .LBB7_145
; %bb.146:
	s_or_b32 exec_lo, exec_lo, s3
.LBB7_147:
	s_delay_alu instid0(SALU_CYCLE_1)
	s_or_b32 exec_lo, exec_lo, s2
	v_mov_b32_e32 v8, 0
	ds_load_b32 v8, v8 offset:24
	s_wait_dscnt 0x0
	v_mul_f32_e32 v8, v13, v8
.LBB7_148:
	s_or_b32 exec_lo, exec_lo, s1
	s_delay_alu instid0(SALU_CYCLE_1)
	s_mov_b32 s1, exec_lo
	ds_store_b32 v37, v9
	s_wait_dscnt 0x0
	s_barrier_signal -1
	s_barrier_wait -1
	v_cmpx_ne_u32_e32 7, v0
	s_cbranch_execz .LBB7_158
; %bb.149:
	v_cmp_ne_u32_e32 vcc_lo, 1, v12
	s_cbranch_vccnz .LBB7_151
; %bb.150:
	v_cmp_eq_u32_e32 vcc_lo, 1, v0
	ds_load_b32 v11, v37
	v_cndmask_b32_e32 v10, v2, v3, vcc_lo
	v_cmp_eq_u32_e32 vcc_lo, 2, v0
	s_delay_alu instid0(VALU_DEP_2) | instskip(SKIP_1) | instid1(VALU_DEP_2)
	v_cndmask_b32_e32 v10, v10, v4, vcc_lo
	v_cmp_eq_u32_e32 vcc_lo, 3, v0
	v_cndmask_b32_e32 v10, v10, v5, vcc_lo
	v_cmp_eq_u32_e32 vcc_lo, 4, v0
	s_delay_alu instid0(VALU_DEP_2) | instskip(SKIP_1) | instid1(VALU_DEP_2)
	v_cndmask_b32_e32 v10, v10, v6, vcc_lo
	v_cmp_eq_u32_e32 vcc_lo, 5, v0
	;; [unrolled: 5-line block ×3, first 2 shown]
	v_cndmask_b32_e32 v10, v10, v9, vcc_lo
	s_wait_dscnt 0x0
	s_delay_alu instid0(VALU_DEP_1)
	v_mul_f32_e32 v10, v10, v11
	s_cbranch_execz .LBB7_152
	s_branch .LBB7_153
.LBB7_151:
                                        ; implicit-def: $vgpr10
.LBB7_152:
	ds_load_b32 v10, v37
.LBB7_153:
	s_and_saveexec_b32 s2, s0
	s_cbranch_execz .LBB7_157
; %bb.154:
	v_lshl_add_u32 v11, v0, 2, 36
	s_mov_b32 s0, 0
.LBB7_155:                              ; =>This Inner Loop Header: Depth=1
	v_add_nc_u64_e32 v[0:1], 1, v[0:1]
	ds_load_b32 v13, v11
	v_add_nc_u32_e32 v11, 4, v11
	v_cmp_eq_u32_e32 vcc_lo, 1, v0
	v_cndmask_b32_e32 v12, v2, v3, vcc_lo
	v_cmp_eq_u32_e32 vcc_lo, 2, v0
	s_delay_alu instid0(VALU_DEP_2) | instskip(SKIP_1) | instid1(VALU_DEP_2)
	v_cndmask_b32_e32 v12, v12, v4, vcc_lo
	v_cmp_eq_u32_e32 vcc_lo, 3, v0
	v_cndmask_b32_e32 v12, v12, v5, vcc_lo
	v_cmp_eq_u32_e32 vcc_lo, 4, v0
	s_delay_alu instid0(VALU_DEP_2) | instskip(SKIP_1) | instid1(VALU_DEP_2)
	v_cndmask_b32_e32 v12, v12, v6, vcc_lo
	;; [unrolled: 5-line block ×3, first 2 shown]
	v_cmp_eq_u32_e32 vcc_lo, 7, v0
	v_cndmask_b32_e32 v12, v12, v9, vcc_lo
	v_cmp_lt_u32_e32 vcc_lo, 5, v0
	s_wait_dscnt 0x0
	s_delay_alu instid0(VALU_DEP_2) | instskip(SKIP_1) | instid1(SALU_CYCLE_1)
	v_fmac_f32_e32 v10, v12, v13
	s_or_b32 s0, vcc_lo, s0
	s_and_not1_b32 exec_lo, exec_lo, s0
	s_cbranch_execnz .LBB7_155
; %bb.156:
	s_or_b32 exec_lo, exec_lo, s0
.LBB7_157:
	s_delay_alu instid0(SALU_CYCLE_1)
	s_or_b32 exec_lo, exec_lo, s2
	v_mov_b32_e32 v0, 0
	ds_load_b32 v0, v0 offset:28
	s_wait_dscnt 0x0
	v_mul_f32_e32 v9, v10, v0
.LBB7_158:
	s_or_b32 exec_lo, exec_lo, s1
	s_delay_alu instid0(VALU_DEP_1)
	v_mov_b64_e32 v[16:17], v[8:9]
	v_mov_b64_e32 v[14:15], v[6:7]
	;; [unrolled: 1-line block ×4, first 2 shown]
.LBB7_159:
	s_wait_xcnt 0x7
	v_lshl_add_u64 v[0:1], v[18:19], 2, s[10:11]
	s_wait_loadcnt 0x6
	v_lshl_add_u64 v[2:3], v[20:21], 2, s[10:11]
	s_wait_loadcnt 0x4
	;; [unrolled: 2-line block ×4, first 2 shown]
	v_lshl_add_u64 v[8:9], v[30:31], 2, s[10:11]
	v_lshl_add_u64 v[18:19], v[32:33], 2, s[10:11]
	s_clause 0x7
	global_store_b32 v[22:23], v10, off
	global_store_b32 v[26:27], v11, off
	;; [unrolled: 1-line block ×8, first 2 shown]
.LBB7_160:
	s_endpgm
	.section	.rodata,"a",@progbits
	.p2align	6, 0x0
	.amdhsa_kernel _ZN9rocsolver6v33100L18trti2_kernel_smallILi8EfPfEEv13rocblas_fill_17rocblas_diagonal_T1_iil
		.amdhsa_group_segment_fixed_size 64
		.amdhsa_private_segment_fixed_size 0
		.amdhsa_kernarg_size 32
		.amdhsa_user_sgpr_count 2
		.amdhsa_user_sgpr_dispatch_ptr 0
		.amdhsa_user_sgpr_queue_ptr 0
		.amdhsa_user_sgpr_kernarg_segment_ptr 1
		.amdhsa_user_sgpr_dispatch_id 0
		.amdhsa_user_sgpr_kernarg_preload_length 0
		.amdhsa_user_sgpr_kernarg_preload_offset 0
		.amdhsa_user_sgpr_private_segment_size 0
		.amdhsa_wavefront_size32 1
		.amdhsa_uses_dynamic_stack 0
		.amdhsa_enable_private_segment 0
		.amdhsa_system_sgpr_workgroup_id_x 1
		.amdhsa_system_sgpr_workgroup_id_y 0
		.amdhsa_system_sgpr_workgroup_id_z 0
		.amdhsa_system_sgpr_workgroup_info 0
		.amdhsa_system_vgpr_workitem_id 0
		.amdhsa_next_free_vgpr 49
		.amdhsa_next_free_sgpr 16
		.amdhsa_named_barrier_count 0
		.amdhsa_reserve_vcc 1
		.amdhsa_float_round_mode_32 0
		.amdhsa_float_round_mode_16_64 0
		.amdhsa_float_denorm_mode_32 3
		.amdhsa_float_denorm_mode_16_64 3
		.amdhsa_fp16_overflow 0
		.amdhsa_memory_ordered 1
		.amdhsa_forward_progress 1
		.amdhsa_inst_pref_size 50
		.amdhsa_round_robin_scheduling 0
		.amdhsa_exception_fp_ieee_invalid_op 0
		.amdhsa_exception_fp_denorm_src 0
		.amdhsa_exception_fp_ieee_div_zero 0
		.amdhsa_exception_fp_ieee_overflow 0
		.amdhsa_exception_fp_ieee_underflow 0
		.amdhsa_exception_fp_ieee_inexact 0
		.amdhsa_exception_int_div_zero 0
	.end_amdhsa_kernel
	.section	.text._ZN9rocsolver6v33100L18trti2_kernel_smallILi8EfPfEEv13rocblas_fill_17rocblas_diagonal_T1_iil,"axG",@progbits,_ZN9rocsolver6v33100L18trti2_kernel_smallILi8EfPfEEv13rocblas_fill_17rocblas_diagonal_T1_iil,comdat
.Lfunc_end7:
	.size	_ZN9rocsolver6v33100L18trti2_kernel_smallILi8EfPfEEv13rocblas_fill_17rocblas_diagonal_T1_iil, .Lfunc_end7-_ZN9rocsolver6v33100L18trti2_kernel_smallILi8EfPfEEv13rocblas_fill_17rocblas_diagonal_T1_iil
                                        ; -- End function
	.set _ZN9rocsolver6v33100L18trti2_kernel_smallILi8EfPfEEv13rocblas_fill_17rocblas_diagonal_T1_iil.num_vgpr, 49
	.set _ZN9rocsolver6v33100L18trti2_kernel_smallILi8EfPfEEv13rocblas_fill_17rocblas_diagonal_T1_iil.num_agpr, 0
	.set _ZN9rocsolver6v33100L18trti2_kernel_smallILi8EfPfEEv13rocblas_fill_17rocblas_diagonal_T1_iil.numbered_sgpr, 16
	.set _ZN9rocsolver6v33100L18trti2_kernel_smallILi8EfPfEEv13rocblas_fill_17rocblas_diagonal_T1_iil.num_named_barrier, 0
	.set _ZN9rocsolver6v33100L18trti2_kernel_smallILi8EfPfEEv13rocblas_fill_17rocblas_diagonal_T1_iil.private_seg_size, 0
	.set _ZN9rocsolver6v33100L18trti2_kernel_smallILi8EfPfEEv13rocblas_fill_17rocblas_diagonal_T1_iil.uses_vcc, 1
	.set _ZN9rocsolver6v33100L18trti2_kernel_smallILi8EfPfEEv13rocblas_fill_17rocblas_diagonal_T1_iil.uses_flat_scratch, 0
	.set _ZN9rocsolver6v33100L18trti2_kernel_smallILi8EfPfEEv13rocblas_fill_17rocblas_diagonal_T1_iil.has_dyn_sized_stack, 0
	.set _ZN9rocsolver6v33100L18trti2_kernel_smallILi8EfPfEEv13rocblas_fill_17rocblas_diagonal_T1_iil.has_recursion, 0
	.set _ZN9rocsolver6v33100L18trti2_kernel_smallILi8EfPfEEv13rocblas_fill_17rocblas_diagonal_T1_iil.has_indirect_call, 0
	.section	.AMDGPU.csdata,"",@progbits
; Kernel info:
; codeLenInByte = 6336
; TotalNumSgprs: 18
; NumVgprs: 49
; ScratchSize: 0
; MemoryBound: 0
; FloatMode: 240
; IeeeMode: 1
; LDSByteSize: 64 bytes/workgroup (compile time only)
; SGPRBlocks: 0
; VGPRBlocks: 3
; NumSGPRsForWavesPerEU: 18
; NumVGPRsForWavesPerEU: 49
; NamedBarCnt: 0
; Occupancy: 16
; WaveLimiterHint : 0
; COMPUTE_PGM_RSRC2:SCRATCH_EN: 0
; COMPUTE_PGM_RSRC2:USER_SGPR: 2
; COMPUTE_PGM_RSRC2:TRAP_HANDLER: 0
; COMPUTE_PGM_RSRC2:TGID_X_EN: 1
; COMPUTE_PGM_RSRC2:TGID_Y_EN: 0
; COMPUTE_PGM_RSRC2:TGID_Z_EN: 0
; COMPUTE_PGM_RSRC2:TIDIG_COMP_CNT: 0
	.section	.text._ZN9rocsolver6v33100L18trti2_kernel_smallILi9EfPfEEv13rocblas_fill_17rocblas_diagonal_T1_iil,"axG",@progbits,_ZN9rocsolver6v33100L18trti2_kernel_smallILi9EfPfEEv13rocblas_fill_17rocblas_diagonal_T1_iil,comdat
	.globl	_ZN9rocsolver6v33100L18trti2_kernel_smallILi9EfPfEEv13rocblas_fill_17rocblas_diagonal_T1_iil ; -- Begin function _ZN9rocsolver6v33100L18trti2_kernel_smallILi9EfPfEEv13rocblas_fill_17rocblas_diagonal_T1_iil
	.p2align	8
	.type	_ZN9rocsolver6v33100L18trti2_kernel_smallILi9EfPfEEv13rocblas_fill_17rocblas_diagonal_T1_iil,@function
_ZN9rocsolver6v33100L18trti2_kernel_smallILi9EfPfEEv13rocblas_fill_17rocblas_diagonal_T1_iil: ; @_ZN9rocsolver6v33100L18trti2_kernel_smallILi9EfPfEEv13rocblas_fill_17rocblas_diagonal_T1_iil
; %bb.0:
	s_mov_b32 s2, exec_lo
	v_cmpx_gt_u32_e32 9, v0
	s_cbranch_execz .LBB8_186
; %bb.1:
	s_load_b256 s[12:19], s[0:1], 0x0
	s_wait_xcnt 0x0
	s_bfe_u32 s0, ttmp6, 0x4000c
	s_and_b32 s1, ttmp6, 15
	s_add_co_i32 s0, s0, 1
	s_getreg_b32 s2, hwreg(HW_REG_IB_STS2, 6, 4)
	s_mul_i32 s0, ttmp9, s0
	s_delay_alu instid0(SALU_CYCLE_1)
	s_add_co_i32 s0, s1, s0
	s_wait_kmcnt 0x0
	v_add3_u32 v22, s17, s17, v0
	s_ashr_i32 s1, s16, 31
	s_cmp_eq_u32 s2, 0
	v_mov_b32_e32 v1, 0
	s_cselect_b32 s2, ttmp9, s0
	v_add_nc_u32_e32 v24, s17, v22
	s_ashr_i32 s3, s2, 31
	s_mov_b32 s0, s16
	s_mul_u64 s[2:3], s[18:19], s[2:3]
	v_dual_mov_b32 v13, v1 :: v_dual_lshlrev_b32 v12, 2, v0
	v_add_nc_u32_e32 v26, s17, v24
	s_lshl_b64 s[2:3], s[2:3], 2
	s_lshl_b64 s[0:1], s[0:1], 2
	s_add_nc_u64 s[2:3], s[14:15], s[2:3]
	s_delay_alu instid0(VALU_DEP_1)
	v_add_nc_u32_e32 v30, s17, v26
	s_add_nc_u64 s[10:11], s[2:3], s[0:1]
	s_mov_b32 s0, s17
	v_add_nc_u64_e32 v[28:29], s[10:11], v[12:13]
	s_ashr_i32 s1, s17, 31
	v_add_nc_u32_e32 v34, s17, v30
	global_load_b32 v2, v0, s[10:11] scale_offset
	s_cmp_lg_u32 s13, 0x84
	v_mov_b32_e32 v13, -1.0
	s_cselect_b32 s9, -1, 0
	v_add_nc_u32_e32 v36, s17, v34
	v_lshl_add_u64 v[32:33], s[0:1], 2, v[28:29]
	v_cmp_eq_u32_e64 s0, 0, v0
	s_cmp_eq_u32 s13, 0x84
	v_add_nc_u32_e32 v38, s17, v36
	s_clause 0x7
	global_load_b32 v3, v[32:33], off
	global_load_b32 v4, v22, s[10:11] scale_offset
	global_load_b32 v5, v24, s[10:11] scale_offset
	global_load_b32 v6, v26, s[10:11] scale_offset
	global_load_b32 v7, v30, s[10:11] scale_offset
	global_load_b32 v8, v34, s[10:11] scale_offset
	global_load_b32 v9, v36, s[10:11] scale_offset
	global_load_b32 v10, v38, s[10:11] scale_offset
	s_cbranch_scc1 .LBB8_3
; %bb.2:
	v_cmp_eq_u32_e64 s1, 1, v0
	v_cmp_eq_u32_e64 s2, 2, v0
	v_cmp_eq_u32_e64 s3, 3, v0
	v_cmp_eq_u32_e64 s4, 4, v0
	v_cmp_eq_u32_e64 s5, 5, v0
	s_wait_loadcnt 0x7
	v_cndmask_b32_e64 v11, v2, v3, s1
	v_cmp_eq_u32_e64 s6, 6, v0
	v_cmp_eq_u32_e64 s7, 7, v0
	;; [unrolled: 1-line block ×3, first 2 shown]
	s_wait_loadcnt 0x6
	v_cndmask_b32_e64 v11, v11, v4, s2
	s_wait_loadcnt 0x5
	s_delay_alu instid0(VALU_DEP_1) | instskip(SKIP_1) | instid1(VALU_DEP_1)
	v_cndmask_b32_e64 v11, v11, v5, s3
	s_wait_loadcnt 0x4
	v_cndmask_b32_e64 v11, v11, v6, s4
	s_wait_loadcnt 0x3
	s_delay_alu instid0(VALU_DEP_1) | instskip(SKIP_1) | instid1(VALU_DEP_1)
	v_cndmask_b32_e64 v11, v11, v7, s5
	;; [unrolled: 5-line block ×3, first 2 shown]
	s_wait_loadcnt 0x0
	v_cndmask_b32_e64 v11, v11, v10, s8
	s_delay_alu instid0(VALU_DEP_1) | instskip(SKIP_1) | instid1(VALU_DEP_2)
	v_div_scale_f32 v13, null, v11, v11, 1.0
	v_div_scale_f32 v16, vcc_lo, 1.0, v11, 1.0
	v_rcp_f32_e32 v14, v13
	v_nop
	s_delay_alu instid0(TRANS32_DEP_1) | instskip(NEXT) | instid1(VALU_DEP_1)
	v_fma_f32 v15, -v13, v14, 1.0
	v_fmac_f32_e32 v14, v15, v14
	s_delay_alu instid0(VALU_DEP_1) | instskip(NEXT) | instid1(VALU_DEP_1)
	v_mul_f32_e32 v15, v16, v14
	v_fma_f32 v17, -v13, v15, v16
	s_delay_alu instid0(VALU_DEP_1) | instskip(NEXT) | instid1(VALU_DEP_1)
	v_fmac_f32_e32 v15, v17, v14
	v_fma_f32 v13, -v13, v15, v16
	s_delay_alu instid0(VALU_DEP_1) | instskip(NEXT) | instid1(VALU_DEP_1)
	v_div_fmas_f32 v13, v13, v14, v15
	v_div_fixup_f32 v11, v13, v11, 1.0
	s_delay_alu instid0(VALU_DEP_1)
	v_dual_cndmask_b32 v10, v10, v11, s8 :: v_dual_cndmask_b32 v9, v9, v11, s7
	v_dual_cndmask_b32 v8, v8, v11, s6 :: v_dual_cndmask_b32 v7, v7, v11, s5
	;; [unrolled: 1-line block ×4, first 2 shown]
	v_cndmask_b32_e64 v2, v2, v11, s0
	v_xor_b32_e32 v13, 0x80000000, v11
.LBB8_3:
	v_dual_ashrrev_i32 v23, 31, v22 :: v_dual_ashrrev_i32 v25, 31, v24
	v_dual_ashrrev_i32 v27, 31, v26 :: v_dual_ashrrev_i32 v37, 31, v36
	v_dual_ashrrev_i32 v31, 31, v30 :: v_dual_add_nc_u32 v11, 48, v12
	v_ashrrev_i32_e32 v35, 31, v34
	v_ashrrev_i32_e32 v39, 31, v38
	s_cmp_eq_u32 s12, 0x79
	ds_store_b32 v12, v13
	s_cbranch_scc1 .LBB8_7
; %bb.4:
	s_wait_loadcnt 0x0
	v_dual_mov_b32 v20, v10 :: v_dual_mov_b32 v19, v9
	v_dual_mov_b32 v18, v8 :: v_dual_mov_b32 v17, v7
	;; [unrolled: 1-line block ×4, first 2 shown]
	v_mov_b32_e32 v12, v2
	v_cmp_eq_u32_e64 s1, 8, v0
	ds_store_b32 v11, v9
	s_wait_dscnt 0x0
	s_barrier_signal -1
	s_barrier_wait -1
	s_and_saveexec_b32 s0, s1
	s_cbranch_execz .LBB8_11
; %bb.5:
	s_and_b32 vcc_lo, exec_lo, s9
	s_cbranch_vccz .LBB8_8
; %bb.6:
	v_cmp_eq_u32_e32 vcc_lo, 1, v0
	ds_load_b32 v13, v11
	v_cndmask_b32_e32 v12, v2, v3, vcc_lo
	v_cmp_eq_u32_e32 vcc_lo, 2, v0
	s_delay_alu instid0(VALU_DEP_2) | instskip(SKIP_1) | instid1(VALU_DEP_2)
	v_cndmask_b32_e32 v12, v12, v4, vcc_lo
	v_cmp_eq_u32_e32 vcc_lo, 3, v0
	v_cndmask_b32_e32 v12, v12, v5, vcc_lo
	v_cmp_eq_u32_e32 vcc_lo, 4, v0
	s_delay_alu instid0(VALU_DEP_2) | instskip(SKIP_1) | instid1(VALU_DEP_2)
	v_cndmask_b32_e32 v12, v12, v6, vcc_lo
	v_cmp_eq_u32_e32 vcc_lo, 5, v0
	;; [unrolled: 5-line block ×3, first 2 shown]
	v_cndmask_b32_e32 v12, v12, v9, vcc_lo
	v_cmp_eq_u32_e32 vcc_lo, 8, v0
	s_delay_alu instid0(VALU_DEP_2) | instskip(SKIP_1) | instid1(VALU_DEP_1)
	v_cndmask_b32_e32 v12, v12, v10, vcc_lo
	s_wait_dscnt 0x0
	v_mul_f32_e32 v12, v12, v13
	s_cbranch_execz .LBB8_9
	s_branch .LBB8_10
.LBB8_7:
                                        ; implicit-def: $vgpr12_vgpr13_vgpr14_vgpr15_vgpr16_vgpr17_vgpr18_vgpr19_vgpr20
	s_cbranch_execnz .LBB8_114
	s_branch .LBB8_185
.LBB8_8:
                                        ; implicit-def: $vgpr12
.LBB8_9:
	ds_load_b32 v12, v11
.LBB8_10:
	v_mov_b32_e32 v13, 0
	ds_load_b32 v13, v13 offset:28
	s_wait_dscnt 0x0
	v_dual_mul_f32 v21, v12, v13 :: v_dual_mov_b32 v20, v10
	v_dual_mov_b32 v19, v9 :: v_dual_mov_b32 v18, v8
	v_dual_mov_b32 v17, v7 :: v_dual_mov_b32 v16, v6
	;; [unrolled: 1-line block ×4, first 2 shown]
	v_mov_b32_e32 v19, v21
.LBB8_11:
	s_or_b32 exec_lo, exec_lo, s0
	v_cmp_lt_u32_e64 s0, 6, v0
	ds_store_b32 v11, v18
	s_wait_dscnt 0x0
	s_barrier_signal -1
	s_barrier_wait -1
	s_and_saveexec_b32 s2, s0
	s_cbranch_execz .LBB8_17
; %bb.12:
	s_and_not1_b32 vcc_lo, exec_lo, s9
	s_cbranch_vccnz .LBB8_14
; %bb.13:
	v_cmp_eq_u32_e32 vcc_lo, 1, v0
	ds_load_b32 v40, v11
	v_cndmask_b32_e32 v21, v12, v13, vcc_lo
	v_cmp_eq_u32_e32 vcc_lo, 2, v0
	s_delay_alu instid0(VALU_DEP_2) | instskip(SKIP_1) | instid1(VALU_DEP_2)
	v_cndmask_b32_e32 v21, v21, v14, vcc_lo
	v_cmp_eq_u32_e32 vcc_lo, 3, v0
	v_cndmask_b32_e32 v21, v21, v15, vcc_lo
	v_cmp_eq_u32_e32 vcc_lo, 4, v0
	s_delay_alu instid0(VALU_DEP_2) | instskip(SKIP_1) | instid1(VALU_DEP_2)
	v_cndmask_b32_e32 v21, v21, v16, vcc_lo
	v_cmp_eq_u32_e32 vcc_lo, 5, v0
	;; [unrolled: 5-line block ×3, first 2 shown]
	v_cndmask_b32_e32 v18, v18, v19, vcc_lo
	v_cmp_eq_u32_e32 vcc_lo, 8, v0
	s_delay_alu instid0(VALU_DEP_2) | instskip(SKIP_1) | instid1(VALU_DEP_1)
	v_cndmask_b32_e32 v18, v18, v20, vcc_lo
	s_wait_dscnt 0x0
	v_mul_f32_e32 v18, v18, v40
	s_cbranch_execz .LBB8_15
	s_branch .LBB8_16
.LBB8_14:
                                        ; implicit-def: $vgpr18
.LBB8_15:
	ds_load_b32 v18, v11
.LBB8_16:
	v_mov_b32_e32 v21, 0
	ds_load_2addr_b32 v[40:41], v21 offset0:6 offset1:19
	s_wait_dscnt 0x0
	v_fma_f32 v21, v19, v41, v18
	s_delay_alu instid0(VALU_DEP_1) | instskip(NEXT) | instid1(VALU_DEP_1)
	v_cndmask_b32_e64 v18, v18, v21, s1
	v_mul_f32_e32 v18, v18, v40
.LBB8_17:
	s_or_b32 exec_lo, exec_lo, s2
	v_cmp_lt_u32_e64 s1, 5, v0
	ds_store_b32 v11, v17
	s_wait_dscnt 0x0
	s_barrier_signal -1
	s_barrier_wait -1
	s_and_saveexec_b32 s4, s1
	s_cbranch_execz .LBB8_33
; %bb.18:
	s_and_not1_b32 vcc_lo, exec_lo, s9
	s_cbranch_vccnz .LBB8_20
; %bb.19:
	v_cmp_eq_u32_e32 vcc_lo, 1, v0
	ds_load_b32 v40, v11
	v_cndmask_b32_e32 v21, v12, v13, vcc_lo
	v_cmp_eq_u32_e32 vcc_lo, 2, v0
	s_delay_alu instid0(VALU_DEP_2) | instskip(SKIP_1) | instid1(VALU_DEP_2)
	v_cndmask_b32_e32 v21, v21, v14, vcc_lo
	v_cmp_eq_u32_e32 vcc_lo, 3, v0
	v_cndmask_b32_e32 v21, v21, v15, vcc_lo
	v_cmp_eq_u32_e32 vcc_lo, 4, v0
	s_delay_alu instid0(VALU_DEP_2) | instskip(SKIP_1) | instid1(VALU_DEP_2)
	v_cndmask_b32_e32 v21, v21, v16, vcc_lo
	v_cmp_eq_u32_e32 vcc_lo, 5, v0
	;; [unrolled: 5-line block ×3, first 2 shown]
	v_cndmask_b32_e32 v21, v21, v19, vcc_lo
	v_cmp_eq_u32_e32 vcc_lo, 8, v0
	s_delay_alu instid0(VALU_DEP_2) | instskip(SKIP_1) | instid1(VALU_DEP_1)
	v_cndmask_b32_e32 v21, v21, v20, vcc_lo
	s_wait_dscnt 0x0
	v_mul_f32_e32 v21, v21, v40
	s_cbranch_execz .LBB8_21
	s_branch .LBB8_22
.LBB8_20:
                                        ; implicit-def: $vgpr21
.LBB8_21:
	ds_load_b32 v21, v11
.LBB8_22:
	s_and_saveexec_b32 s5, s0
	s_cbranch_execz .LBB8_32
; %bb.23:
	v_dual_add_nc_u32 v42, -7, v0 :: v_dual_add_nc_u32 v41, -6, v0
	v_mov_b32_e32 v40, 6
	s_mov_b32 s0, exec_lo
	s_delay_alu instid0(VALU_DEP_2)
	v_cmpx_lt_u32_e32 6, v42
	s_cbranch_execz .LBB8_27
; %bb.24:
	v_and_b32_e32 v40, -8, v41
	s_mov_b32 s6, 0
	s_mov_b64 s[2:3], 13
	s_movk_i32 s7, 0x48
	s_delay_alu instid0(VALU_DEP_1)
	v_sub_nc_u32_e32 v42, 0, v40
.LBB8_25:                               ; =>This Inner Loop Header: Depth=1
	s_add_co_i32 m0, s2, -7
	v_movrels_b32_e32 v43, v12
	v_mov_b32_e32 v40, s7
	s_add_co_i32 m0, s2, -6
	s_add_co_i32 s7, s7, 32
	v_movrels_b32_e32 v52, v12
	s_add_co_i32 m0, s2, -5
	ds_load_2addr_b64 v[44:47], v40 offset1:1
	ds_load_2addr_b64 v[48:51], v40 offset0:2 offset1:3
	v_movrels_b32_e32 v40, v12
	s_add_co_i32 m0, s2, -4
	s_wait_dscnt 0x1
	v_fmac_f32_e32 v21, v43, v44
	v_movrels_b32_e32 v43, v12
	s_add_co_i32 m0, s2, -3
	s_delay_alu instid0(VALU_DEP_2) | instskip(NEXT) | instid1(VALU_DEP_1)
	v_fmac_f32_e32 v21, v52, v45
	v_fmac_f32_e32 v21, v40, v46
	v_movrels_b32_e32 v40, v12
	s_add_co_i32 m0, s2, -2
	s_delay_alu instid0(VALU_DEP_2) | instskip(SKIP_3) | instid1(VALU_DEP_2)
	v_fmac_f32_e32 v21, v43, v47
	v_movrels_b32_e32 v43, v12
	s_add_co_i32 m0, s2, -1
	s_wait_dscnt 0x0
	v_fmac_f32_e32 v21, v40, v48
	v_movrels_b32_e32 v40, v12
	s_mov_b32 m0, s2
	s_add_nc_u64 s[2:3], s[2:3], 8
	v_movrels_b32_e32 v44, v12
	v_dual_fmac_f32 v21, v43, v49 :: v_dual_add_nc_u32 v43, s2, v42
	s_add_co_i32 s8, s2, -7
	s_delay_alu instid0(VALU_DEP_1) | instskip(NEXT) | instid1(VALU_DEP_2)
	v_fmac_f32_e32 v21, v40, v50
	v_cmp_eq_u32_e32 vcc_lo, 13, v43
	s_delay_alu instid0(VALU_DEP_2) | instskip(SKIP_1) | instid1(SALU_CYCLE_1)
	v_dual_mov_b32 v40, s8 :: v_dual_fmac_f32 v21, v44, v51
	s_or_b32 s6, vcc_lo, s6
	s_and_not1_b32 exec_lo, exec_lo, s6
	s_cbranch_execnz .LBB8_25
; %bb.26:
	s_or_b32 exec_lo, exec_lo, s6
.LBB8_27:
	s_delay_alu instid0(SALU_CYCLE_1) | instskip(SKIP_3) | instid1(VALU_DEP_1)
	s_or_b32 exec_lo, exec_lo, s0
	v_and_b32_e32 v42, 7, v41
	s_mov_b32 s2, 0
	s_mov_b32 s0, exec_lo
	v_cmpx_ne_u32_e32 0, v42
	s_cbranch_execz .LBB8_31
; %bb.28:
	v_lshl_add_u32 v43, v40, 2, 48
	v_mov_b32_e32 v41, 0
.LBB8_29:                               ; =>This Inner Loop Header: Depth=1
	v_cmp_eq_u32_e32 vcc_lo, 1, v40
	ds_load_b32 v45, v43
	v_dual_add_nc_u32 v42, -1, v42 :: v_dual_add_nc_u32 v43, 4, v43
	v_cndmask_b32_e32 v44, v12, v13, vcc_lo
	v_cmp_eq_u32_e32 vcc_lo, 2, v40
	s_delay_alu instid0(VALU_DEP_2) | instskip(SKIP_1) | instid1(VALU_DEP_2)
	v_cndmask_b32_e32 v44, v44, v14, vcc_lo
	v_cmp_eq_u32_e32 vcc_lo, 3, v40
	v_cndmask_b32_e32 v44, v44, v15, vcc_lo
	v_cmp_eq_u32_e32 vcc_lo, 4, v40
	s_delay_alu instid0(VALU_DEP_2) | instskip(SKIP_1) | instid1(VALU_DEP_2)
	v_cndmask_b32_e32 v44, v44, v16, vcc_lo
	v_cmp_eq_u32_e32 vcc_lo, 5, v40
	;; [unrolled: 5-line block ×3, first 2 shown]
	v_cndmask_b32_e32 v44, v44, v19, vcc_lo
	v_cmp_eq_u32_e32 vcc_lo, 8, v40
	v_add_nc_u64_e32 v[40:41], 1, v[40:41]
	s_delay_alu instid0(VALU_DEP_3) | instskip(SKIP_2) | instid1(VALU_DEP_2)
	v_cndmask_b32_e32 v44, v44, v20, vcc_lo
	v_cmp_eq_u32_e32 vcc_lo, 0, v42
	s_wait_dscnt 0x0
	v_fmac_f32_e32 v21, v44, v45
	s_or_b32 s2, vcc_lo, s2
	s_delay_alu instid0(SALU_CYCLE_1)
	s_and_not1_b32 exec_lo, exec_lo, s2
	s_cbranch_execnz .LBB8_29
; %bb.30:
	s_or_b32 exec_lo, exec_lo, s2
.LBB8_31:
	s_delay_alu instid0(SALU_CYCLE_1)
	s_or_b32 exec_lo, exec_lo, s0
.LBB8_32:
	s_delay_alu instid0(SALU_CYCLE_1)
	s_or_b32 exec_lo, exec_lo, s5
	v_mov_b32_e32 v17, 0
	ds_load_b32 v17, v17 offset:20
	s_wait_dscnt 0x0
	v_mul_f32_e32 v17, v21, v17
.LBB8_33:
	s_or_b32 exec_lo, exec_lo, s4
	v_cmp_lt_u32_e64 s0, 4, v0
	ds_store_b32 v11, v16
	s_wait_dscnt 0x0
	s_barrier_signal -1
	s_barrier_wait -1
	s_and_saveexec_b32 s4, s0
	s_cbranch_execz .LBB8_49
; %bb.34:
	s_and_not1_b32 vcc_lo, exec_lo, s9
	s_cbranch_vccnz .LBB8_36
; %bb.35:
	v_cmp_eq_u32_e32 vcc_lo, 1, v0
	ds_load_b32 v40, v11
	v_cndmask_b32_e32 v21, v12, v13, vcc_lo
	v_cmp_eq_u32_e32 vcc_lo, 2, v0
	s_delay_alu instid0(VALU_DEP_2) | instskip(SKIP_1) | instid1(VALU_DEP_2)
	v_cndmask_b32_e32 v21, v21, v14, vcc_lo
	v_cmp_eq_u32_e32 vcc_lo, 3, v0
	v_cndmask_b32_e32 v21, v21, v15, vcc_lo
	v_cmp_eq_u32_e32 vcc_lo, 4, v0
	s_delay_alu instid0(VALU_DEP_2) | instskip(SKIP_1) | instid1(VALU_DEP_2)
	v_cndmask_b32_e32 v21, v21, v16, vcc_lo
	v_cmp_eq_u32_e32 vcc_lo, 5, v0
	;; [unrolled: 5-line block ×3, first 2 shown]
	v_cndmask_b32_e32 v21, v21, v19, vcc_lo
	v_cmp_eq_u32_e32 vcc_lo, 8, v0
	s_delay_alu instid0(VALU_DEP_2) | instskip(SKIP_1) | instid1(VALU_DEP_1)
	v_cndmask_b32_e32 v21, v21, v20, vcc_lo
	s_wait_dscnt 0x0
	v_mul_f32_e32 v21, v21, v40
	s_cbranch_execz .LBB8_37
	s_branch .LBB8_38
.LBB8_36:
                                        ; implicit-def: $vgpr21
.LBB8_37:
	ds_load_b32 v21, v11
.LBB8_38:
	s_and_saveexec_b32 s5, s1
	s_cbranch_execz .LBB8_48
; %bb.39:
	v_dual_add_nc_u32 v40, -6, v0 :: v_dual_add_nc_u32 v41, -5, v0
	s_delay_alu instid0(VALU_DEP_1)
	v_cmp_lt_u32_e32 vcc_lo, 6, v40
	v_mov_b32_e32 v40, 5
	s_and_saveexec_b32 s1, vcc_lo
	s_cbranch_execz .LBB8_43
; %bb.40:
	v_and_b32_e32 v40, -8, v41
	s_mov_b32 s6, 0
	s_mov_b64 s[2:3], 12
	s_movk_i32 s7, 0x44
	s_delay_alu instid0(VALU_DEP_1)
	v_sub_nc_u32_e32 v42, 0, v40
.LBB8_41:                               ; =>This Inner Loop Header: Depth=1
	s_add_co_i32 m0, s2, -7
	v_movrels_b32_e32 v43, v12
	v_mov_b32_e32 v40, s7
	s_add_co_i32 m0, s2, -6
	s_add_co_i32 s7, s7, 32
	v_movrels_b32_e32 v52, v12
	ds_load_2addr_b32 v[44:45], v40 offset1:1
	ds_load_2addr_b32 v[46:47], v40 offset0:2 offset1:3
	s_add_co_i32 m0, s2, -5
	s_wait_dscnt 0x1
	v_fmac_f32_e32 v21, v43, v44
	ds_load_2addr_b32 v[48:49], v40 offset0:4 offset1:5
	ds_load_2addr_b32 v[50:51], v40 offset0:6 offset1:7
	v_movrels_b32_e32 v40, v12
	s_add_co_i32 m0, s2, -4
	v_fmac_f32_e32 v21, v52, v45
	v_movrels_b32_e32 v43, v12
	s_add_co_i32 m0, s2, -3
	s_wait_dscnt 0x2
	s_delay_alu instid0(VALU_DEP_2) | instskip(SKIP_2) | instid1(VALU_DEP_2)
	v_fmac_f32_e32 v21, v40, v46
	v_movrels_b32_e32 v40, v12
	s_add_co_i32 m0, s2, -2
	v_fmac_f32_e32 v21, v43, v47
	v_movrels_b32_e32 v43, v12
	s_add_co_i32 m0, s2, -1
	s_wait_dscnt 0x1
	s_delay_alu instid0(VALU_DEP_2)
	v_fmac_f32_e32 v21, v40, v48
	v_movrels_b32_e32 v40, v12
	s_mov_b32 m0, s2
	s_add_nc_u64 s[2:3], s[2:3], 8
	v_movrels_b32_e32 v44, v12
	v_dual_fmac_f32 v21, v43, v49 :: v_dual_add_nc_u32 v43, s2, v42
	s_add_co_i32 s8, s2, -7
	s_wait_dscnt 0x0
	s_delay_alu instid0(VALU_DEP_1) | instskip(NEXT) | instid1(VALU_DEP_2)
	v_fmac_f32_e32 v21, v40, v50
	v_cmp_eq_u32_e32 vcc_lo, 12, v43
	s_delay_alu instid0(VALU_DEP_2) | instskip(SKIP_1) | instid1(SALU_CYCLE_1)
	v_dual_mov_b32 v40, s8 :: v_dual_fmac_f32 v21, v44, v51
	s_or_b32 s6, vcc_lo, s6
	s_and_not1_b32 exec_lo, exec_lo, s6
	s_cbranch_execnz .LBB8_41
; %bb.42:
	s_or_b32 exec_lo, exec_lo, s6
.LBB8_43:
	s_delay_alu instid0(SALU_CYCLE_1) | instskip(SKIP_3) | instid1(VALU_DEP_1)
	s_or_b32 exec_lo, exec_lo, s1
	v_and_b32_e32 v42, 7, v41
	s_mov_b32 s2, 0
	s_mov_b32 s1, exec_lo
	v_cmpx_ne_u32_e32 0, v42
	s_cbranch_execz .LBB8_47
; %bb.44:
	v_lshl_add_u32 v43, v40, 2, 48
	v_mov_b32_e32 v41, 0
.LBB8_45:                               ; =>This Inner Loop Header: Depth=1
	v_cmp_eq_u32_e32 vcc_lo, 1, v40
	ds_load_b32 v45, v43
	v_dual_add_nc_u32 v42, -1, v42 :: v_dual_add_nc_u32 v43, 4, v43
	v_cndmask_b32_e32 v44, v12, v13, vcc_lo
	v_cmp_eq_u32_e32 vcc_lo, 2, v40
	s_delay_alu instid0(VALU_DEP_2) | instskip(SKIP_1) | instid1(VALU_DEP_2)
	v_cndmask_b32_e32 v44, v44, v14, vcc_lo
	v_cmp_eq_u32_e32 vcc_lo, 3, v40
	v_cndmask_b32_e32 v44, v44, v15, vcc_lo
	v_cmp_eq_u32_e32 vcc_lo, 4, v40
	s_delay_alu instid0(VALU_DEP_2) | instskip(SKIP_1) | instid1(VALU_DEP_2)
	v_cndmask_b32_e32 v44, v44, v16, vcc_lo
	v_cmp_eq_u32_e32 vcc_lo, 5, v40
	;; [unrolled: 5-line block ×3, first 2 shown]
	v_cndmask_b32_e32 v44, v44, v19, vcc_lo
	v_cmp_eq_u32_e32 vcc_lo, 8, v40
	v_add_nc_u64_e32 v[40:41], 1, v[40:41]
	s_delay_alu instid0(VALU_DEP_3) | instskip(SKIP_2) | instid1(VALU_DEP_2)
	v_cndmask_b32_e32 v44, v44, v20, vcc_lo
	v_cmp_eq_u32_e32 vcc_lo, 0, v42
	s_wait_dscnt 0x0
	v_fmac_f32_e32 v21, v44, v45
	s_or_b32 s2, vcc_lo, s2
	s_delay_alu instid0(SALU_CYCLE_1)
	s_and_not1_b32 exec_lo, exec_lo, s2
	s_cbranch_execnz .LBB8_45
; %bb.46:
	s_or_b32 exec_lo, exec_lo, s2
.LBB8_47:
	s_delay_alu instid0(SALU_CYCLE_1)
	s_or_b32 exec_lo, exec_lo, s1
.LBB8_48:
	s_delay_alu instid0(SALU_CYCLE_1)
	s_or_b32 exec_lo, exec_lo, s5
	v_mov_b32_e32 v16, 0
	ds_load_b32 v16, v16 offset:16
	s_wait_dscnt 0x0
	v_mul_f32_e32 v16, v21, v16
.LBB8_49:
	s_or_b32 exec_lo, exec_lo, s4
	v_cmp_lt_u32_e64 s1, 3, v0
	ds_store_b32 v11, v15
	s_wait_dscnt 0x0
	s_barrier_signal -1
	s_barrier_wait -1
	s_and_saveexec_b32 s4, s1
	s_cbranch_execz .LBB8_65
; %bb.50:
	s_and_not1_b32 vcc_lo, exec_lo, s9
	s_cbranch_vccnz .LBB8_52
; %bb.51:
	v_cmp_eq_u32_e32 vcc_lo, 1, v0
	ds_load_b32 v40, v11
	v_cndmask_b32_e32 v21, v12, v13, vcc_lo
	v_cmp_eq_u32_e32 vcc_lo, 2, v0
	s_delay_alu instid0(VALU_DEP_2) | instskip(SKIP_1) | instid1(VALU_DEP_2)
	v_cndmask_b32_e32 v21, v21, v14, vcc_lo
	v_cmp_eq_u32_e32 vcc_lo, 3, v0
	v_cndmask_b32_e32 v21, v21, v15, vcc_lo
	v_cmp_eq_u32_e32 vcc_lo, 4, v0
	s_delay_alu instid0(VALU_DEP_2) | instskip(SKIP_1) | instid1(VALU_DEP_2)
	v_cndmask_b32_e32 v21, v21, v16, vcc_lo
	v_cmp_eq_u32_e32 vcc_lo, 5, v0
	;; [unrolled: 5-line block ×3, first 2 shown]
	v_cndmask_b32_e32 v21, v21, v19, vcc_lo
	v_cmp_eq_u32_e32 vcc_lo, 8, v0
	s_delay_alu instid0(VALU_DEP_2) | instskip(SKIP_1) | instid1(VALU_DEP_1)
	v_cndmask_b32_e32 v21, v21, v20, vcc_lo
	s_wait_dscnt 0x0
	v_mul_f32_e32 v21, v21, v40
	s_cbranch_execz .LBB8_53
	s_branch .LBB8_54
.LBB8_52:
                                        ; implicit-def: $vgpr21
.LBB8_53:
	ds_load_b32 v21, v11
.LBB8_54:
	s_and_saveexec_b32 s5, s0
	s_cbranch_execz .LBB8_64
; %bb.55:
	v_dual_add_nc_u32 v40, -5, v0 :: v_dual_add_nc_u32 v41, -4, v0
	s_delay_alu instid0(VALU_DEP_1)
	v_cmp_lt_u32_e32 vcc_lo, 6, v40
	v_mov_b32_e32 v40, 4
	s_and_saveexec_b32 s0, vcc_lo
	s_cbranch_execz .LBB8_59
; %bb.56:
	v_and_b32_e32 v40, -8, v41
	s_mov_b32 s6, 0
	s_mov_b64 s[2:3], 5
	s_mov_b32 s7, 64
	s_delay_alu instid0(VALU_DEP_1)
	v_sub_nc_u32_e32 v42, 0, v40
.LBB8_57:                               ; =>This Inner Loop Header: Depth=1
	s_add_co_i32 m0, s2, -1
	v_movrels_b32_e32 v43, v12
	v_mov_b32_e32 v40, s7
	s_mov_b32 m0, s2
	s_add_co_i32 s7, s7, 32
	v_movrels_b32_e32 v52, v12
	s_add_co_i32 m0, s2, 1
	ds_load_b128 v[44:47], v40
	ds_load_b128 v[48:51], v40 offset:16
	v_movrels_b32_e32 v40, v12
	s_add_co_i32 m0, s2, 2
	s_wait_dscnt 0x1
	v_fmac_f32_e32 v21, v43, v44
	v_movrels_b32_e32 v43, v12
	s_add_co_i32 m0, s2, 3
	s_delay_alu instid0(VALU_DEP_2) | instskip(NEXT) | instid1(VALU_DEP_1)
	v_fmac_f32_e32 v21, v52, v45
	v_fmac_f32_e32 v21, v40, v46
	v_movrels_b32_e32 v40, v12
	s_add_co_i32 m0, s2, 4
	s_delay_alu instid0(VALU_DEP_2) | instskip(SKIP_3) | instid1(VALU_DEP_2)
	v_fmac_f32_e32 v21, v43, v47
	v_movrels_b32_e32 v43, v12
	s_add_co_i32 m0, s2, 5
	s_wait_dscnt 0x0
	v_fmac_f32_e32 v21, v40, v48
	v_movrels_b32_e32 v40, v12
	s_add_co_i32 m0, s2, 6
	s_add_nc_u64 s[2:3], s[2:3], 8
	v_movrels_b32_e32 v44, v12
	v_dual_fmac_f32 v21, v43, v49 :: v_dual_add_nc_u32 v43, s2, v42
	s_add_co_i32 s8, s2, -1
	s_delay_alu instid0(VALU_DEP_1) | instskip(NEXT) | instid1(VALU_DEP_2)
	v_fmac_f32_e32 v21, v40, v50
	v_cmp_eq_u32_e32 vcc_lo, 5, v43
	s_delay_alu instid0(VALU_DEP_2) | instskip(SKIP_1) | instid1(SALU_CYCLE_1)
	v_dual_mov_b32 v40, s8 :: v_dual_fmac_f32 v21, v44, v51
	s_or_b32 s6, vcc_lo, s6
	s_and_not1_b32 exec_lo, exec_lo, s6
	s_cbranch_execnz .LBB8_57
; %bb.58:
	s_or_b32 exec_lo, exec_lo, s6
.LBB8_59:
	s_delay_alu instid0(SALU_CYCLE_1) | instskip(SKIP_3) | instid1(VALU_DEP_1)
	s_or_b32 exec_lo, exec_lo, s0
	v_and_b32_e32 v42, 7, v41
	s_mov_b32 s2, 0
	s_mov_b32 s0, exec_lo
	v_cmpx_ne_u32_e32 0, v42
	s_cbranch_execz .LBB8_63
; %bb.60:
	v_lshl_add_u32 v43, v40, 2, 48
	v_mov_b32_e32 v41, 0
.LBB8_61:                               ; =>This Inner Loop Header: Depth=1
	v_cmp_eq_u32_e32 vcc_lo, 1, v40
	ds_load_b32 v45, v43
	v_dual_add_nc_u32 v42, -1, v42 :: v_dual_add_nc_u32 v43, 4, v43
	v_cndmask_b32_e32 v44, v12, v13, vcc_lo
	v_cmp_eq_u32_e32 vcc_lo, 2, v40
	s_delay_alu instid0(VALU_DEP_2) | instskip(SKIP_1) | instid1(VALU_DEP_2)
	v_cndmask_b32_e32 v44, v44, v14, vcc_lo
	v_cmp_eq_u32_e32 vcc_lo, 3, v40
	v_cndmask_b32_e32 v44, v44, v15, vcc_lo
	v_cmp_eq_u32_e32 vcc_lo, 4, v40
	s_delay_alu instid0(VALU_DEP_2) | instskip(SKIP_1) | instid1(VALU_DEP_2)
	v_cndmask_b32_e32 v44, v44, v16, vcc_lo
	v_cmp_eq_u32_e32 vcc_lo, 5, v40
	;; [unrolled: 5-line block ×3, first 2 shown]
	v_cndmask_b32_e32 v44, v44, v19, vcc_lo
	v_cmp_eq_u32_e32 vcc_lo, 8, v40
	v_add_nc_u64_e32 v[40:41], 1, v[40:41]
	s_delay_alu instid0(VALU_DEP_3) | instskip(SKIP_2) | instid1(VALU_DEP_2)
	v_cndmask_b32_e32 v44, v44, v20, vcc_lo
	v_cmp_eq_u32_e32 vcc_lo, 0, v42
	s_wait_dscnt 0x0
	v_fmac_f32_e32 v21, v44, v45
	s_or_b32 s2, vcc_lo, s2
	s_delay_alu instid0(SALU_CYCLE_1)
	s_and_not1_b32 exec_lo, exec_lo, s2
	s_cbranch_execnz .LBB8_61
; %bb.62:
	s_or_b32 exec_lo, exec_lo, s2
.LBB8_63:
	s_delay_alu instid0(SALU_CYCLE_1)
	s_or_b32 exec_lo, exec_lo, s0
.LBB8_64:
	s_delay_alu instid0(SALU_CYCLE_1)
	s_or_b32 exec_lo, exec_lo, s5
	v_mov_b32_e32 v15, 0
	ds_load_b32 v15, v15 offset:12
	s_wait_dscnt 0x0
	v_mul_f32_e32 v15, v21, v15
.LBB8_65:
	s_or_b32 exec_lo, exec_lo, s4
	v_cmp_lt_u32_e64 s0, 2, v0
	ds_store_b32 v11, v14
	s_wait_dscnt 0x0
	s_barrier_signal -1
	s_barrier_wait -1
	s_and_saveexec_b32 s4, s0
	s_cbranch_execz .LBB8_81
; %bb.66:
	s_and_not1_b32 vcc_lo, exec_lo, s9
	s_cbranch_vccnz .LBB8_68
; %bb.67:
	v_cmp_eq_u32_e32 vcc_lo, 1, v0
	ds_load_b32 v40, v11
	v_cndmask_b32_e32 v21, v12, v13, vcc_lo
	v_cmp_eq_u32_e32 vcc_lo, 2, v0
	s_delay_alu instid0(VALU_DEP_2) | instskip(SKIP_1) | instid1(VALU_DEP_2)
	v_cndmask_b32_e32 v21, v21, v14, vcc_lo
	v_cmp_eq_u32_e32 vcc_lo, 3, v0
	v_cndmask_b32_e32 v21, v21, v15, vcc_lo
	v_cmp_eq_u32_e32 vcc_lo, 4, v0
	s_delay_alu instid0(VALU_DEP_2) | instskip(SKIP_1) | instid1(VALU_DEP_2)
	v_cndmask_b32_e32 v21, v21, v16, vcc_lo
	v_cmp_eq_u32_e32 vcc_lo, 5, v0
	;; [unrolled: 5-line block ×3, first 2 shown]
	v_cndmask_b32_e32 v21, v21, v19, vcc_lo
	v_cmp_eq_u32_e32 vcc_lo, 8, v0
	s_delay_alu instid0(VALU_DEP_2) | instskip(SKIP_1) | instid1(VALU_DEP_1)
	v_cndmask_b32_e32 v21, v21, v20, vcc_lo
	s_wait_dscnt 0x0
	v_mul_f32_e32 v21, v21, v40
	s_cbranch_execz .LBB8_69
	s_branch .LBB8_70
.LBB8_68:
                                        ; implicit-def: $vgpr21
.LBB8_69:
	ds_load_b32 v21, v11
.LBB8_70:
	s_and_saveexec_b32 s5, s1
	s_cbranch_execz .LBB8_80
; %bb.71:
	v_dual_add_nc_u32 v40, -4, v0 :: v_dual_add_nc_u32 v41, -3, v0
	s_delay_alu instid0(VALU_DEP_1)
	v_cmp_lt_u32_e32 vcc_lo, 6, v40
	v_mov_b32_e32 v40, 3
	s_and_saveexec_b32 s1, vcc_lo
	s_cbranch_execz .LBB8_75
; %bb.72:
	v_and_b32_e32 v40, -8, v41
	s_mov_b32 s6, 0
	s_mov_b64 s[2:3], 10
	s_mov_b32 s7, 60
	s_delay_alu instid0(VALU_DEP_1)
	v_sub_nc_u32_e32 v42, 0, v40
.LBB8_73:                               ; =>This Inner Loop Header: Depth=1
	s_add_co_i32 m0, s2, -7
	v_movrels_b32_e32 v43, v12
	v_mov_b32_e32 v40, s7
	s_add_co_i32 m0, s2, -6
	s_add_co_i32 s7, s7, 32
	v_movrels_b32_e32 v52, v12
	ds_load_2addr_b32 v[44:45], v40 offset1:1
	ds_load_2addr_b32 v[46:47], v40 offset0:2 offset1:3
	s_add_co_i32 m0, s2, -5
	s_wait_dscnt 0x1
	v_fmac_f32_e32 v21, v43, v44
	ds_load_2addr_b32 v[48:49], v40 offset0:4 offset1:5
	ds_load_2addr_b32 v[50:51], v40 offset0:6 offset1:7
	v_movrels_b32_e32 v40, v12
	s_add_co_i32 m0, s2, -4
	v_fmac_f32_e32 v21, v52, v45
	v_movrels_b32_e32 v43, v12
	s_add_co_i32 m0, s2, -3
	s_wait_dscnt 0x2
	s_delay_alu instid0(VALU_DEP_2) | instskip(SKIP_2) | instid1(VALU_DEP_2)
	v_fmac_f32_e32 v21, v40, v46
	v_movrels_b32_e32 v40, v12
	s_add_co_i32 m0, s2, -2
	v_fmac_f32_e32 v21, v43, v47
	v_movrels_b32_e32 v43, v12
	s_add_co_i32 m0, s2, -1
	s_wait_dscnt 0x1
	s_delay_alu instid0(VALU_DEP_2)
	v_fmac_f32_e32 v21, v40, v48
	v_movrels_b32_e32 v40, v12
	s_mov_b32 m0, s2
	s_add_nc_u64 s[2:3], s[2:3], 8
	v_movrels_b32_e32 v44, v12
	v_dual_fmac_f32 v21, v43, v49 :: v_dual_add_nc_u32 v43, s2, v42
	s_add_co_i32 s8, s2, -7
	s_wait_dscnt 0x0
	s_delay_alu instid0(VALU_DEP_1) | instskip(NEXT) | instid1(VALU_DEP_2)
	v_fmac_f32_e32 v21, v40, v50
	v_cmp_eq_u32_e32 vcc_lo, 10, v43
	s_delay_alu instid0(VALU_DEP_2) | instskip(SKIP_1) | instid1(SALU_CYCLE_1)
	v_dual_mov_b32 v40, s8 :: v_dual_fmac_f32 v21, v44, v51
	s_or_b32 s6, vcc_lo, s6
	s_and_not1_b32 exec_lo, exec_lo, s6
	s_cbranch_execnz .LBB8_73
; %bb.74:
	s_or_b32 exec_lo, exec_lo, s6
.LBB8_75:
	s_delay_alu instid0(SALU_CYCLE_1) | instskip(SKIP_3) | instid1(VALU_DEP_1)
	s_or_b32 exec_lo, exec_lo, s1
	v_and_b32_e32 v42, 7, v41
	s_mov_b32 s2, 0
	s_mov_b32 s1, exec_lo
	v_cmpx_ne_u32_e32 0, v42
	s_cbranch_execz .LBB8_79
; %bb.76:
	v_lshl_add_u32 v43, v40, 2, 48
	v_mov_b32_e32 v41, 0
.LBB8_77:                               ; =>This Inner Loop Header: Depth=1
	v_cmp_eq_u32_e32 vcc_lo, 1, v40
	ds_load_b32 v45, v43
	v_dual_add_nc_u32 v42, -1, v42 :: v_dual_add_nc_u32 v43, 4, v43
	v_cndmask_b32_e32 v44, v12, v13, vcc_lo
	v_cmp_eq_u32_e32 vcc_lo, 2, v40
	s_delay_alu instid0(VALU_DEP_2) | instskip(SKIP_1) | instid1(VALU_DEP_2)
	v_cndmask_b32_e32 v44, v44, v14, vcc_lo
	v_cmp_eq_u32_e32 vcc_lo, 3, v40
	v_cndmask_b32_e32 v44, v44, v15, vcc_lo
	v_cmp_eq_u32_e32 vcc_lo, 4, v40
	s_delay_alu instid0(VALU_DEP_2) | instskip(SKIP_1) | instid1(VALU_DEP_2)
	v_cndmask_b32_e32 v44, v44, v16, vcc_lo
	v_cmp_eq_u32_e32 vcc_lo, 5, v40
	;; [unrolled: 5-line block ×3, first 2 shown]
	v_cndmask_b32_e32 v44, v44, v19, vcc_lo
	v_cmp_eq_u32_e32 vcc_lo, 8, v40
	v_add_nc_u64_e32 v[40:41], 1, v[40:41]
	s_delay_alu instid0(VALU_DEP_3) | instskip(SKIP_2) | instid1(VALU_DEP_2)
	v_cndmask_b32_e32 v44, v44, v20, vcc_lo
	v_cmp_eq_u32_e32 vcc_lo, 0, v42
	s_wait_dscnt 0x0
	v_fmac_f32_e32 v21, v44, v45
	s_or_b32 s2, vcc_lo, s2
	s_delay_alu instid0(SALU_CYCLE_1)
	s_and_not1_b32 exec_lo, exec_lo, s2
	s_cbranch_execnz .LBB8_77
; %bb.78:
	s_or_b32 exec_lo, exec_lo, s2
.LBB8_79:
	s_delay_alu instid0(SALU_CYCLE_1)
	s_or_b32 exec_lo, exec_lo, s1
.LBB8_80:
	s_delay_alu instid0(SALU_CYCLE_1)
	s_or_b32 exec_lo, exec_lo, s5
	v_mov_b32_e32 v14, 0
	ds_load_b32 v14, v14 offset:8
	s_wait_dscnt 0x0
	v_mul_f32_e32 v14, v21, v14
.LBB8_81:
	s_or_b32 exec_lo, exec_lo, s4
	v_cmp_lt_u32_e64 s1, 1, v0
	ds_store_b32 v11, v13
	s_wait_dscnt 0x0
	s_barrier_signal -1
	s_barrier_wait -1
	s_and_saveexec_b32 s4, s1
	s_cbranch_execz .LBB8_97
; %bb.82:
	s_and_not1_b32 vcc_lo, exec_lo, s9
	s_cbranch_vccnz .LBB8_84
; %bb.83:
	v_cmp_eq_u32_e32 vcc_lo, 1, v0
	ds_load_b32 v40, v11
	v_cndmask_b32_e32 v21, v12, v13, vcc_lo
	v_cmp_eq_u32_e32 vcc_lo, 2, v0
	s_delay_alu instid0(VALU_DEP_2) | instskip(SKIP_1) | instid1(VALU_DEP_2)
	v_cndmask_b32_e32 v21, v21, v14, vcc_lo
	v_cmp_eq_u32_e32 vcc_lo, 3, v0
	v_cndmask_b32_e32 v21, v21, v15, vcc_lo
	v_cmp_eq_u32_e32 vcc_lo, 4, v0
	s_delay_alu instid0(VALU_DEP_2) | instskip(SKIP_1) | instid1(VALU_DEP_2)
	v_cndmask_b32_e32 v21, v21, v16, vcc_lo
	v_cmp_eq_u32_e32 vcc_lo, 5, v0
	;; [unrolled: 5-line block ×3, first 2 shown]
	v_cndmask_b32_e32 v21, v21, v19, vcc_lo
	v_cmp_eq_u32_e32 vcc_lo, 8, v0
	s_delay_alu instid0(VALU_DEP_2) | instskip(SKIP_1) | instid1(VALU_DEP_1)
	v_cndmask_b32_e32 v21, v21, v20, vcc_lo
	s_wait_dscnt 0x0
	v_mul_f32_e32 v21, v21, v40
	s_cbranch_execz .LBB8_85
	s_branch .LBB8_86
.LBB8_84:
                                        ; implicit-def: $vgpr21
.LBB8_85:
	ds_load_b32 v21, v11
.LBB8_86:
	s_and_saveexec_b32 s5, s0
	s_cbranch_execz .LBB8_96
; %bb.87:
	v_dual_add_nc_u32 v40, -3, v0 :: v_dual_add_nc_u32 v41, -2, v0
	s_delay_alu instid0(VALU_DEP_1)
	v_cmp_lt_u32_e32 vcc_lo, 6, v40
	v_mov_b32_e32 v40, 2
	s_and_saveexec_b32 s0, vcc_lo
	s_cbranch_execz .LBB8_91
; %bb.88:
	v_and_b32_e32 v40, -8, v41
	s_mov_b32 s6, 0
	s_mov_b64 s[2:3], 9
	s_mov_b32 s7, 56
	s_delay_alu instid0(VALU_DEP_1)
	v_sub_nc_u32_e32 v42, 0, v40
.LBB8_89:                               ; =>This Inner Loop Header: Depth=1
	s_add_co_i32 m0, s2, -7
	v_movrels_b32_e32 v43, v12
	v_mov_b32_e32 v40, s7
	s_add_co_i32 m0, s2, -6
	s_add_co_i32 s7, s7, 32
	v_movrels_b32_e32 v52, v12
	s_add_co_i32 m0, s2, -5
	ds_load_2addr_b64 v[44:47], v40 offset1:1
	ds_load_2addr_b64 v[48:51], v40 offset0:2 offset1:3
	v_movrels_b32_e32 v40, v12
	s_add_co_i32 m0, s2, -4
	s_wait_dscnt 0x1
	v_fmac_f32_e32 v21, v43, v44
	v_movrels_b32_e32 v43, v12
	s_add_co_i32 m0, s2, -3
	s_delay_alu instid0(VALU_DEP_2) | instskip(NEXT) | instid1(VALU_DEP_1)
	v_fmac_f32_e32 v21, v52, v45
	v_fmac_f32_e32 v21, v40, v46
	v_movrels_b32_e32 v40, v12
	s_add_co_i32 m0, s2, -2
	s_delay_alu instid0(VALU_DEP_2) | instskip(SKIP_3) | instid1(VALU_DEP_2)
	v_fmac_f32_e32 v21, v43, v47
	v_movrels_b32_e32 v43, v12
	s_add_co_i32 m0, s2, -1
	s_wait_dscnt 0x0
	v_fmac_f32_e32 v21, v40, v48
	v_movrels_b32_e32 v40, v12
	s_mov_b32 m0, s2
	s_add_nc_u64 s[2:3], s[2:3], 8
	v_movrels_b32_e32 v44, v12
	v_dual_fmac_f32 v21, v43, v49 :: v_dual_add_nc_u32 v43, s2, v42
	s_add_co_i32 s8, s2, -7
	s_delay_alu instid0(VALU_DEP_1) | instskip(NEXT) | instid1(VALU_DEP_2)
	v_fmac_f32_e32 v21, v40, v50
	v_cmp_eq_u32_e32 vcc_lo, 9, v43
	s_delay_alu instid0(VALU_DEP_2) | instskip(SKIP_1) | instid1(SALU_CYCLE_1)
	v_dual_mov_b32 v40, s8 :: v_dual_fmac_f32 v21, v44, v51
	s_or_b32 s6, vcc_lo, s6
	s_and_not1_b32 exec_lo, exec_lo, s6
	s_cbranch_execnz .LBB8_89
; %bb.90:
	s_or_b32 exec_lo, exec_lo, s6
.LBB8_91:
	s_delay_alu instid0(SALU_CYCLE_1) | instskip(SKIP_3) | instid1(VALU_DEP_1)
	s_or_b32 exec_lo, exec_lo, s0
	v_and_b32_e32 v42, 7, v41
	s_mov_b32 s2, 0
	s_mov_b32 s0, exec_lo
	v_cmpx_ne_u32_e32 0, v42
	s_cbranch_execz .LBB8_95
; %bb.92:
	v_lshl_add_u32 v43, v40, 2, 48
	v_mov_b32_e32 v41, 0
.LBB8_93:                               ; =>This Inner Loop Header: Depth=1
	v_cmp_eq_u32_e32 vcc_lo, 1, v40
	ds_load_b32 v45, v43
	v_dual_add_nc_u32 v42, -1, v42 :: v_dual_add_nc_u32 v43, 4, v43
	v_cndmask_b32_e32 v44, v12, v13, vcc_lo
	v_cmp_eq_u32_e32 vcc_lo, 2, v40
	s_delay_alu instid0(VALU_DEP_2) | instskip(SKIP_1) | instid1(VALU_DEP_2)
	v_cndmask_b32_e32 v44, v44, v14, vcc_lo
	v_cmp_eq_u32_e32 vcc_lo, 3, v40
	v_cndmask_b32_e32 v44, v44, v15, vcc_lo
	v_cmp_eq_u32_e32 vcc_lo, 4, v40
	s_delay_alu instid0(VALU_DEP_2) | instskip(SKIP_1) | instid1(VALU_DEP_2)
	v_cndmask_b32_e32 v44, v44, v16, vcc_lo
	v_cmp_eq_u32_e32 vcc_lo, 5, v40
	;; [unrolled: 5-line block ×3, first 2 shown]
	v_cndmask_b32_e32 v44, v44, v19, vcc_lo
	v_cmp_eq_u32_e32 vcc_lo, 8, v40
	v_add_nc_u64_e32 v[40:41], 1, v[40:41]
	s_delay_alu instid0(VALU_DEP_3) | instskip(SKIP_2) | instid1(VALU_DEP_2)
	v_cndmask_b32_e32 v44, v44, v20, vcc_lo
	v_cmp_eq_u32_e32 vcc_lo, 0, v42
	s_wait_dscnt 0x0
	v_fmac_f32_e32 v21, v44, v45
	s_or_b32 s2, vcc_lo, s2
	s_delay_alu instid0(SALU_CYCLE_1)
	s_and_not1_b32 exec_lo, exec_lo, s2
	s_cbranch_execnz .LBB8_93
; %bb.94:
	s_or_b32 exec_lo, exec_lo, s2
.LBB8_95:
	s_delay_alu instid0(SALU_CYCLE_1)
	s_or_b32 exec_lo, exec_lo, s0
.LBB8_96:
	s_delay_alu instid0(SALU_CYCLE_1)
	s_or_b32 exec_lo, exec_lo, s5
	v_mov_b32_e32 v13, 0
	ds_load_b32 v13, v13 offset:4
	s_wait_dscnt 0x0
	v_mul_f32_e32 v13, v21, v13
.LBB8_97:
	s_or_b32 exec_lo, exec_lo, s4
	s_mov_b32 s2, 0
	s_mov_b32 s3, exec_lo
	ds_store_b32 v11, v12
	s_wait_dscnt 0x0
	s_barrier_signal -1
	s_barrier_wait -1
	v_cmpx_ne_u32_e32 0, v0
	s_cbranch_execz .LBB8_113
; %bb.98:
	s_and_not1_b32 vcc_lo, exec_lo, s9
	s_cbranch_vccnz .LBB8_100
; %bb.99:
	v_cmp_eq_u32_e32 vcc_lo, 1, v0
	ds_load_b32 v40, v11
	v_cndmask_b32_e32 v21, v12, v13, vcc_lo
	v_cmp_eq_u32_e32 vcc_lo, 2, v0
	s_delay_alu instid0(VALU_DEP_2) | instskip(SKIP_1) | instid1(VALU_DEP_2)
	v_cndmask_b32_e32 v21, v21, v14, vcc_lo
	v_cmp_eq_u32_e32 vcc_lo, 3, v0
	v_cndmask_b32_e32 v21, v21, v15, vcc_lo
	v_cmp_eq_u32_e32 vcc_lo, 4, v0
	s_delay_alu instid0(VALU_DEP_2) | instskip(SKIP_1) | instid1(VALU_DEP_2)
	v_cndmask_b32_e32 v21, v21, v16, vcc_lo
	v_cmp_eq_u32_e32 vcc_lo, 5, v0
	v_cndmask_b32_e32 v21, v21, v17, vcc_lo
	v_cmp_eq_u32_e32 vcc_lo, 6, v0
	s_delay_alu instid0(VALU_DEP_2) | instskip(SKIP_1) | instid1(VALU_DEP_2)
	v_cndmask_b32_e32 v21, v21, v18, vcc_lo
	v_cmp_eq_u32_e32 vcc_lo, 7, v0
	v_cndmask_b32_e32 v21, v21, v19, vcc_lo
	v_cmp_eq_u32_e32 vcc_lo, 8, v0
	s_delay_alu instid0(VALU_DEP_2) | instskip(SKIP_1) | instid1(VALU_DEP_1)
	v_cndmask_b32_e32 v21, v21, v20, vcc_lo
	s_wait_dscnt 0x0
	v_mul_f32_e32 v21, v21, v40
	s_cbranch_execz .LBB8_101
	s_branch .LBB8_102
.LBB8_100:
                                        ; implicit-def: $vgpr21
.LBB8_101:
	ds_load_b32 v21, v11
.LBB8_102:
	s_and_saveexec_b32 s4, s1
	s_cbranch_execz .LBB8_112
; %bb.103:
	v_dual_add_nc_u32 v40, -2, v0 :: v_dual_add_nc_u32 v41, -1, v0
	s_delay_alu instid0(VALU_DEP_1)
	v_cmp_lt_u32_e32 vcc_lo, 6, v40
	v_mov_b32_e32 v40, 1
	s_and_saveexec_b32 s5, vcc_lo
	s_cbranch_execz .LBB8_107
; %bb.104:
	v_and_b32_e32 v40, -8, v41
	s_mov_b32 s6, 0
	s_mov_b64 s[0:1], 8
	s_mov_b32 s7, 52
	s_delay_alu instid0(VALU_DEP_1)
	v_sub_nc_u32_e32 v42, 0, v40
.LBB8_105:                              ; =>This Inner Loop Header: Depth=1
	s_add_co_i32 m0, s0, -7
	v_movrels_b32_e32 v43, v12
	v_mov_b32_e32 v40, s7
	s_add_co_i32 m0, s0, -6
	s_add_co_i32 s7, s7, 32
	v_movrels_b32_e32 v52, v12
	ds_load_2addr_b32 v[44:45], v40 offset1:1
	ds_load_2addr_b32 v[46:47], v40 offset0:2 offset1:3
	s_add_co_i32 m0, s0, -5
	s_wait_dscnt 0x1
	v_fmac_f32_e32 v21, v43, v44
	ds_load_2addr_b32 v[48:49], v40 offset0:4 offset1:5
	ds_load_2addr_b32 v[50:51], v40 offset0:6 offset1:7
	v_movrels_b32_e32 v40, v12
	s_add_co_i32 m0, s0, -4
	v_fmac_f32_e32 v21, v52, v45
	v_movrels_b32_e32 v43, v12
	s_add_co_i32 m0, s0, -3
	s_wait_dscnt 0x2
	s_delay_alu instid0(VALU_DEP_2) | instskip(SKIP_2) | instid1(VALU_DEP_2)
	v_fmac_f32_e32 v21, v40, v46
	v_movrels_b32_e32 v40, v12
	s_add_co_i32 m0, s0, -2
	v_fmac_f32_e32 v21, v43, v47
	v_movrels_b32_e32 v43, v12
	s_add_co_i32 m0, s0, -1
	s_wait_dscnt 0x1
	s_delay_alu instid0(VALU_DEP_2)
	v_fmac_f32_e32 v21, v40, v48
	v_movrels_b32_e32 v40, v12
	s_mov_b32 m0, s0
	s_add_nc_u64 s[0:1], s[0:1], 8
	v_movrels_b32_e32 v44, v12
	v_dual_fmac_f32 v21, v43, v49 :: v_dual_add_nc_u32 v43, s0, v42
	s_add_co_i32 s8, s0, -7
	s_wait_dscnt 0x0
	s_delay_alu instid0(VALU_DEP_1) | instskip(NEXT) | instid1(VALU_DEP_2)
	v_fmac_f32_e32 v21, v40, v50
	v_cmp_eq_u32_e32 vcc_lo, 8, v43
	s_delay_alu instid0(VALU_DEP_2) | instskip(SKIP_1) | instid1(SALU_CYCLE_1)
	v_dual_mov_b32 v40, s8 :: v_dual_fmac_f32 v21, v44, v51
	s_or_b32 s6, vcc_lo, s6
	s_and_not1_b32 exec_lo, exec_lo, s6
	s_cbranch_execnz .LBB8_105
; %bb.106:
	s_or_b32 exec_lo, exec_lo, s6
.LBB8_107:
	s_delay_alu instid0(SALU_CYCLE_1) | instskip(SKIP_3) | instid1(VALU_DEP_1)
	s_or_b32 exec_lo, exec_lo, s5
	v_and_b32_e32 v42, 7, v41
	s_mov_b32 s1, 0
	s_mov_b32 s0, exec_lo
	v_cmpx_ne_u32_e32 0, v42
	s_cbranch_execz .LBB8_111
; %bb.108:
	v_lshl_add_u32 v43, v40, 2, 48
	v_mov_b32_e32 v41, 0
.LBB8_109:                              ; =>This Inner Loop Header: Depth=1
	v_cmp_eq_u32_e32 vcc_lo, 1, v40
	ds_load_b32 v45, v43
	v_dual_add_nc_u32 v42, -1, v42 :: v_dual_add_nc_u32 v43, 4, v43
	v_cndmask_b32_e32 v44, v12, v13, vcc_lo
	v_cmp_eq_u32_e32 vcc_lo, 2, v40
	s_delay_alu instid0(VALU_DEP_2) | instskip(SKIP_1) | instid1(VALU_DEP_2)
	v_cndmask_b32_e32 v44, v44, v14, vcc_lo
	v_cmp_eq_u32_e32 vcc_lo, 3, v40
	v_cndmask_b32_e32 v44, v44, v15, vcc_lo
	v_cmp_eq_u32_e32 vcc_lo, 4, v40
	s_delay_alu instid0(VALU_DEP_2) | instskip(SKIP_1) | instid1(VALU_DEP_2)
	v_cndmask_b32_e32 v44, v44, v16, vcc_lo
	v_cmp_eq_u32_e32 vcc_lo, 5, v40
	;; [unrolled: 5-line block ×3, first 2 shown]
	v_cndmask_b32_e32 v44, v44, v19, vcc_lo
	v_cmp_eq_u32_e32 vcc_lo, 8, v40
	v_add_nc_u64_e32 v[40:41], 1, v[40:41]
	s_delay_alu instid0(VALU_DEP_3) | instskip(SKIP_2) | instid1(VALU_DEP_2)
	v_cndmask_b32_e32 v44, v44, v20, vcc_lo
	v_cmp_eq_u32_e32 vcc_lo, 0, v42
	s_wait_dscnt 0x0
	v_fmac_f32_e32 v21, v44, v45
	s_or_b32 s1, vcc_lo, s1
	s_delay_alu instid0(SALU_CYCLE_1)
	s_and_not1_b32 exec_lo, exec_lo, s1
	s_cbranch_execnz .LBB8_109
; %bb.110:
	s_or_b32 exec_lo, exec_lo, s1
.LBB8_111:
	s_delay_alu instid0(SALU_CYCLE_1)
	s_or_b32 exec_lo, exec_lo, s0
.LBB8_112:
	s_delay_alu instid0(SALU_CYCLE_1)
	s_or_b32 exec_lo, exec_lo, s4
	v_mov_b32_e32 v12, 0
	ds_load_b32 v12, v12
	s_wait_dscnt 0x0
	v_mul_f32_e32 v12, v21, v12
.LBB8_113:
	s_or_b32 exec_lo, exec_lo, s3
	s_delay_alu instid0(SALU_CYCLE_1)
	s_and_b32 vcc_lo, exec_lo, s2
	s_cbranch_vccz .LBB8_185
.LBB8_114:
	v_cmp_eq_u32_e64 s0, 0, v0
	s_wait_loadcnt 0x7
	ds_store_b32 v11, v3
	s_wait_loadcnt_dscnt 0x0
	s_barrier_signal -1
	s_barrier_wait -1
	s_and_saveexec_b32 s1, s0
	s_cbranch_execz .LBB8_120
; %bb.115:
	s_and_b32 vcc_lo, exec_lo, s9
	s_cbranch_vccz .LBB8_117
; %bb.116:
	v_cmp_eq_u32_e32 vcc_lo, 1, v0
	ds_load_b32 v12, v11
	v_cndmask_b32_e32 v3, v2, v3, vcc_lo
	v_cmp_eq_u32_e32 vcc_lo, 2, v0
	s_delay_alu instid0(VALU_DEP_2) | instskip(SKIP_1) | instid1(VALU_DEP_2)
	v_cndmask_b32_e32 v3, v3, v4, vcc_lo
	v_cmp_eq_u32_e32 vcc_lo, 3, v0
	v_cndmask_b32_e32 v3, v3, v5, vcc_lo
	v_cmp_eq_u32_e32 vcc_lo, 4, v0
	s_delay_alu instid0(VALU_DEP_2) | instskip(SKIP_1) | instid1(VALU_DEP_2)
	v_cndmask_b32_e32 v3, v3, v6, vcc_lo
	v_cmp_eq_u32_e32 vcc_lo, 5, v0
	;; [unrolled: 5-line block ×3, first 2 shown]
	v_cndmask_b32_e32 v3, v3, v9, vcc_lo
	v_cmp_eq_u32_e32 vcc_lo, 8, v0
	s_delay_alu instid0(VALU_DEP_2) | instskip(SKIP_1) | instid1(VALU_DEP_1)
	v_cndmask_b32_e32 v3, v3, v10, vcc_lo
	s_wait_dscnt 0x0
	v_mul_f32_e32 v3, v3, v12
	s_cbranch_execz .LBB8_118
	s_branch .LBB8_119
.LBB8_117:
                                        ; implicit-def: $vgpr3
.LBB8_118:
	ds_load_b32 v3, v11
.LBB8_119:
	v_mov_b32_e32 v12, 0
	ds_load_b32 v12, v12 offset:4
	s_wait_dscnt 0x0
	v_mul_f32_e32 v3, v3, v12
.LBB8_120:
	s_or_b32 exec_lo, exec_lo, s1
	v_cndmask_b32_e64 v14, 0, 1, s9
	s_mov_b32 s1, exec_lo
	ds_store_b32 v11, v4
	s_wait_dscnt 0x0
	s_barrier_signal -1
	s_barrier_wait -1
	v_cmpx_gt_u32_e32 2, v0
	s_cbranch_execz .LBB8_126
; %bb.121:
	s_and_not1_b32 vcc_lo, exec_lo, s9
	s_cbranch_vccnz .LBB8_123
; %bb.122:
	v_cmp_eq_u32_e32 vcc_lo, 1, v0
	v_cndmask_b32_e32 v12, v2, v3, vcc_lo
	v_cmp_eq_u32_e32 vcc_lo, 2, v0
	s_delay_alu instid0(VALU_DEP_2) | instskip(SKIP_4) | instid1(VALU_DEP_2)
	v_cndmask_b32_e32 v4, v12, v4, vcc_lo
	v_cmp_eq_u32_e32 vcc_lo, 3, v0
	ds_load_b32 v12, v11
	v_cndmask_b32_e32 v4, v4, v5, vcc_lo
	v_cmp_eq_u32_e32 vcc_lo, 4, v0
	v_cndmask_b32_e32 v4, v4, v6, vcc_lo
	v_cmp_eq_u32_e32 vcc_lo, 5, v0
	s_delay_alu instid0(VALU_DEP_2) | instskip(SKIP_1) | instid1(VALU_DEP_2)
	v_cndmask_b32_e32 v4, v4, v7, vcc_lo
	v_cmp_eq_u32_e32 vcc_lo, 6, v0
	v_cndmask_b32_e32 v4, v4, v8, vcc_lo
	v_cmp_eq_u32_e32 vcc_lo, 7, v0
	s_delay_alu instid0(VALU_DEP_2) | instskip(SKIP_1) | instid1(VALU_DEP_2)
	v_cndmask_b32_e32 v4, v4, v9, vcc_lo
	v_cmp_eq_u32_e32 vcc_lo, 8, v0
	v_cndmask_b32_e32 v4, v4, v10, vcc_lo
	s_wait_dscnt 0x0
	s_delay_alu instid0(VALU_DEP_1)
	v_mul_f32_e32 v4, v4, v12
	s_cbranch_execz .LBB8_124
	s_branch .LBB8_125
.LBB8_123:
                                        ; implicit-def: $vgpr4
.LBB8_124:
	ds_load_b32 v4, v11
.LBB8_125:
	v_mov_b32_e32 v12, 0
	ds_load_2addr_b32 v[12:13], v12 offset0:2 offset1:13
	s_wait_dscnt 0x0
	v_fma_f32 v13, v3, v13, v4
	s_delay_alu instid0(VALU_DEP_1) | instskip(NEXT) | instid1(VALU_DEP_1)
	v_cndmask_b32_e64 v4, v4, v13, s0
	v_mul_f32_e32 v4, v4, v12
.LBB8_126:
	s_or_b32 exec_lo, exec_lo, s1
	s_delay_alu instid0(SALU_CYCLE_1)
	s_mov_b32 s1, exec_lo
	ds_store_b32 v11, v5
	s_wait_dscnt 0x0
	s_barrier_signal -1
	s_barrier_wait -1
	v_cmpx_gt_u32_e32 3, v0
	s_cbranch_execz .LBB8_134
; %bb.127:
	v_cmp_ne_u32_e32 vcc_lo, 1, v14
	s_cbranch_vccnz .LBB8_129
; %bb.128:
	v_cmp_eq_u32_e32 vcc_lo, 1, v0
	ds_load_b32 v13, v11
	v_cndmask_b32_e32 v12, v2, v3, vcc_lo
	v_cmp_eq_u32_e32 vcc_lo, 2, v0
	s_delay_alu instid0(VALU_DEP_2) | instskip(SKIP_1) | instid1(VALU_DEP_2)
	v_cndmask_b32_e32 v12, v12, v4, vcc_lo
	v_cmp_eq_u32_e32 vcc_lo, 3, v0
	v_cndmask_b32_e32 v12, v12, v5, vcc_lo
	v_cmp_eq_u32_e32 vcc_lo, 4, v0
	s_delay_alu instid0(VALU_DEP_2) | instskip(SKIP_1) | instid1(VALU_DEP_2)
	v_cndmask_b32_e32 v12, v12, v6, vcc_lo
	v_cmp_eq_u32_e32 vcc_lo, 5, v0
	;; [unrolled: 5-line block ×3, first 2 shown]
	v_cndmask_b32_e32 v12, v12, v9, vcc_lo
	v_cmp_eq_u32_e32 vcc_lo, 8, v0
	s_delay_alu instid0(VALU_DEP_2) | instskip(SKIP_1) | instid1(VALU_DEP_1)
	v_cndmask_b32_e32 v12, v12, v10, vcc_lo
	s_wait_dscnt 0x0
	v_mul_f32_e32 v12, v12, v13
	s_cbranch_execz .LBB8_130
	s_branch .LBB8_131
.LBB8_129:
                                        ; implicit-def: $vgpr12
.LBB8_130:
	ds_load_b32 v12, v11
.LBB8_131:
	s_mov_b32 s2, exec_lo
	v_cmpx_ne_u32_e32 2, v0
	s_cbranch_execz .LBB8_133
; %bb.132:
	v_dual_mov_b32 v16, 0 :: v_dual_add_nc_u32 v13, 1, v0
	s_delay_alu instid0(VALU_DEP_1) | instskip(SKIP_3) | instid1(VALU_DEP_2)
	v_cmp_eq_u32_e32 vcc_lo, 1, v13
	ds_load_b32 v16, v16 offset:56
	v_cndmask_b32_e32 v15, v2, v3, vcc_lo
	v_cmp_eq_u32_e32 vcc_lo, 2, v13
	v_cndmask_b32_e32 v15, v15, v4, vcc_lo
	v_cmp_eq_u32_e32 vcc_lo, 3, v13
	s_delay_alu instid0(VALU_DEP_2) | instskip(SKIP_4) | instid1(VALU_DEP_2)
	v_cndmask_b32_e32 v5, v15, v5, vcc_lo
	v_cmp_eq_u32_e32 vcc_lo, 4, v13
	ds_load_b32 v15, v11 offset:4
	v_cndmask_b32_e32 v5, v5, v6, vcc_lo
	v_cmp_eq_u32_e32 vcc_lo, 5, v13
	v_cndmask_b32_e32 v5, v5, v7, vcc_lo
	v_cmp_eq_u32_e32 vcc_lo, 6, v13
	s_delay_alu instid0(VALU_DEP_2) | instskip(SKIP_1) | instid1(VALU_DEP_2)
	v_cndmask_b32_e32 v5, v5, v8, vcc_lo
	v_cmp_eq_u32_e32 vcc_lo, 7, v13
	v_cndmask_b32_e32 v5, v5, v9, vcc_lo
	v_cmp_eq_u32_e32 vcc_lo, 8, v13
	s_delay_alu instid0(VALU_DEP_2) | instskip(SKIP_1) | instid1(VALU_DEP_1)
	v_cndmask_b32_e32 v5, v5, v10, vcc_lo
	s_wait_dscnt 0x0
	v_fmac_f32_e32 v12, v5, v15
	s_delay_alu instid0(VALU_DEP_1) | instskip(NEXT) | instid1(VALU_DEP_1)
	v_fma_f32 v5, v4, v16, v12
	v_cndmask_b32_e64 v12, v12, v5, s0
.LBB8_133:
	s_or_b32 exec_lo, exec_lo, s2
	v_mov_b32_e32 v5, 0
	ds_load_b32 v5, v5 offset:12
	s_wait_dscnt 0x0
	v_mul_f32_e32 v5, v12, v5
.LBB8_134:
	s_or_b32 exec_lo, exec_lo, s1
	s_delay_alu instid0(SALU_CYCLE_1)
	s_mov_b32 s0, exec_lo
	ds_store_b32 v11, v6
	s_wait_dscnt 0x0
	s_barrier_signal -1
	s_barrier_wait -1
	v_cmpx_gt_u32_e32 4, v0
	s_cbranch_execz .LBB8_144
; %bb.135:
	v_cmp_ne_u32_e32 vcc_lo, 1, v14
	s_cbranch_vccnz .LBB8_137
; %bb.136:
	v_cmp_eq_u32_e32 vcc_lo, 1, v0
	ds_load_b32 v13, v11
	v_cndmask_b32_e32 v12, v2, v3, vcc_lo
	v_cmp_eq_u32_e32 vcc_lo, 2, v0
	s_delay_alu instid0(VALU_DEP_2) | instskip(SKIP_1) | instid1(VALU_DEP_2)
	v_cndmask_b32_e32 v12, v12, v4, vcc_lo
	v_cmp_eq_u32_e32 vcc_lo, 3, v0
	v_cndmask_b32_e32 v12, v12, v5, vcc_lo
	v_cmp_eq_u32_e32 vcc_lo, 4, v0
	s_delay_alu instid0(VALU_DEP_2) | instskip(SKIP_1) | instid1(VALU_DEP_2)
	v_cndmask_b32_e32 v12, v12, v6, vcc_lo
	v_cmp_eq_u32_e32 vcc_lo, 5, v0
	v_cndmask_b32_e32 v12, v12, v7, vcc_lo
	v_cmp_eq_u32_e32 vcc_lo, 6, v0
	s_delay_alu instid0(VALU_DEP_2) | instskip(SKIP_1) | instid1(VALU_DEP_2)
	v_cndmask_b32_e32 v12, v12, v8, vcc_lo
	v_cmp_eq_u32_e32 vcc_lo, 7, v0
	v_cndmask_b32_e32 v12, v12, v9, vcc_lo
	v_cmp_eq_u32_e32 vcc_lo, 8, v0
	s_delay_alu instid0(VALU_DEP_2) | instskip(SKIP_1) | instid1(VALU_DEP_1)
	v_cndmask_b32_e32 v12, v12, v10, vcc_lo
	s_wait_dscnt 0x0
	v_mul_f32_e32 v15, v12, v13
	s_cbranch_execz .LBB8_138
	s_branch .LBB8_139
.LBB8_137:
                                        ; implicit-def: $vgpr15
.LBB8_138:
	ds_load_b32 v15, v11
.LBB8_139:
	s_mov_b32 s1, exec_lo
	v_cmpx_ne_u32_e32 3, v0
	s_cbranch_execz .LBB8_143
; %bb.140:
	v_mov_b64_e32 v[12:13], v[0:1]
	v_lshl_add_u32 v16, v0, 2, 52
	s_mov_b32 s2, 0
.LBB8_141:                              ; =>This Inner Loop Header: Depth=1
	s_delay_alu instid0(VALU_DEP_2)
	v_add_nc_u64_e32 v[12:13], 1, v[12:13]
	ds_load_b32 v18, v16
	v_add_nc_u32_e32 v16, 4, v16
	v_cmp_eq_u32_e32 vcc_lo, 1, v12
	v_cndmask_b32_e32 v17, v2, v3, vcc_lo
	v_cmp_eq_u32_e32 vcc_lo, 2, v12
	s_delay_alu instid0(VALU_DEP_2) | instskip(SKIP_1) | instid1(VALU_DEP_2)
	v_cndmask_b32_e32 v17, v17, v4, vcc_lo
	v_cmp_eq_u32_e32 vcc_lo, 3, v12
	v_cndmask_b32_e32 v17, v17, v5, vcc_lo
	v_cmp_eq_u32_e32 vcc_lo, 4, v12
	s_delay_alu instid0(VALU_DEP_2) | instskip(SKIP_1) | instid1(VALU_DEP_2)
	v_cndmask_b32_e32 v17, v17, v6, vcc_lo
	v_cmp_eq_u32_e32 vcc_lo, 5, v12
	v_cndmask_b32_e32 v17, v17, v7, vcc_lo
	v_cmp_eq_u32_e32 vcc_lo, 6, v12
	s_delay_alu instid0(VALU_DEP_2) | instskip(SKIP_1) | instid1(VALU_DEP_2)
	v_cndmask_b32_e32 v17, v17, v8, vcc_lo
	v_cmp_eq_u32_e32 vcc_lo, 7, v12
	v_cndmask_b32_e32 v17, v17, v9, vcc_lo
	v_cmp_eq_u32_e32 vcc_lo, 8, v12
	s_delay_alu instid0(VALU_DEP_2) | instskip(SKIP_2) | instid1(VALU_DEP_2)
	v_cndmask_b32_e32 v17, v17, v10, vcc_lo
	v_cmp_lt_u32_e32 vcc_lo, 2, v12
	s_wait_dscnt 0x0
	v_fmac_f32_e32 v15, v17, v18
	s_or_b32 s2, vcc_lo, s2
	s_delay_alu instid0(SALU_CYCLE_1)
	s_and_not1_b32 exec_lo, exec_lo, s2
	s_cbranch_execnz .LBB8_141
; %bb.142:
	s_or_b32 exec_lo, exec_lo, s2
.LBB8_143:
	s_delay_alu instid0(SALU_CYCLE_1)
	s_or_b32 exec_lo, exec_lo, s1
	v_mov_b32_e32 v6, 0
	ds_load_b32 v6, v6 offset:16
	s_wait_dscnt 0x0
	v_mul_f32_e32 v6, v15, v6
.LBB8_144:
	s_or_b32 exec_lo, exec_lo, s0
	s_delay_alu instid0(SALU_CYCLE_1)
	s_mov_b32 s0, exec_lo
	ds_store_b32 v11, v7
	s_wait_dscnt 0x0
	s_barrier_signal -1
	s_barrier_wait -1
	v_cmpx_gt_u32_e32 5, v0
	s_cbranch_execz .LBB8_154
; %bb.145:
	v_cmp_ne_u32_e32 vcc_lo, 1, v14
	s_cbranch_vccnz .LBB8_147
; %bb.146:
	v_cmp_eq_u32_e32 vcc_lo, 1, v0
	ds_load_b32 v13, v11
	v_cndmask_b32_e32 v12, v2, v3, vcc_lo
	v_cmp_eq_u32_e32 vcc_lo, 2, v0
	s_delay_alu instid0(VALU_DEP_2) | instskip(SKIP_1) | instid1(VALU_DEP_2)
	v_cndmask_b32_e32 v12, v12, v4, vcc_lo
	v_cmp_eq_u32_e32 vcc_lo, 3, v0
	v_cndmask_b32_e32 v12, v12, v5, vcc_lo
	v_cmp_eq_u32_e32 vcc_lo, 4, v0
	s_delay_alu instid0(VALU_DEP_2) | instskip(SKIP_1) | instid1(VALU_DEP_2)
	v_cndmask_b32_e32 v12, v12, v6, vcc_lo
	v_cmp_eq_u32_e32 vcc_lo, 5, v0
	;; [unrolled: 5-line block ×3, first 2 shown]
	v_cndmask_b32_e32 v12, v12, v9, vcc_lo
	v_cmp_eq_u32_e32 vcc_lo, 8, v0
	s_delay_alu instid0(VALU_DEP_2) | instskip(SKIP_1) | instid1(VALU_DEP_1)
	v_cndmask_b32_e32 v12, v12, v10, vcc_lo
	s_wait_dscnt 0x0
	v_mul_f32_e32 v15, v12, v13
	s_cbranch_execz .LBB8_148
	s_branch .LBB8_149
.LBB8_147:
                                        ; implicit-def: $vgpr15
.LBB8_148:
	ds_load_b32 v15, v11
.LBB8_149:
	s_mov_b32 s1, exec_lo
	v_cmpx_ne_u32_e32 4, v0
	s_cbranch_execz .LBB8_153
; %bb.150:
	v_mov_b64_e32 v[12:13], v[0:1]
	v_lshl_add_u32 v16, v0, 2, 52
	s_mov_b32 s2, 0
.LBB8_151:                              ; =>This Inner Loop Header: Depth=1
	s_delay_alu instid0(VALU_DEP_2)
	v_add_nc_u64_e32 v[12:13], 1, v[12:13]
	ds_load_b32 v18, v16
	v_add_nc_u32_e32 v16, 4, v16
	v_cmp_eq_u32_e32 vcc_lo, 1, v12
	v_cndmask_b32_e32 v17, v2, v3, vcc_lo
	v_cmp_eq_u32_e32 vcc_lo, 2, v12
	s_delay_alu instid0(VALU_DEP_2) | instskip(SKIP_1) | instid1(VALU_DEP_2)
	v_cndmask_b32_e32 v17, v17, v4, vcc_lo
	v_cmp_eq_u32_e32 vcc_lo, 3, v12
	v_cndmask_b32_e32 v17, v17, v5, vcc_lo
	v_cmp_eq_u32_e32 vcc_lo, 4, v12
	s_delay_alu instid0(VALU_DEP_2) | instskip(SKIP_1) | instid1(VALU_DEP_2)
	v_cndmask_b32_e32 v17, v17, v6, vcc_lo
	;; [unrolled: 5-line block ×3, first 2 shown]
	v_cmp_eq_u32_e32 vcc_lo, 7, v12
	v_cndmask_b32_e32 v17, v17, v9, vcc_lo
	v_cmp_eq_u32_e32 vcc_lo, 8, v12
	s_delay_alu instid0(VALU_DEP_2) | instskip(SKIP_2) | instid1(VALU_DEP_2)
	v_cndmask_b32_e32 v17, v17, v10, vcc_lo
	v_cmp_lt_u32_e32 vcc_lo, 3, v12
	s_wait_dscnt 0x0
	v_fmac_f32_e32 v15, v17, v18
	s_or_b32 s2, vcc_lo, s2
	s_delay_alu instid0(SALU_CYCLE_1)
	s_and_not1_b32 exec_lo, exec_lo, s2
	s_cbranch_execnz .LBB8_151
; %bb.152:
	s_or_b32 exec_lo, exec_lo, s2
.LBB8_153:
	s_delay_alu instid0(SALU_CYCLE_1)
	s_or_b32 exec_lo, exec_lo, s1
	v_mov_b32_e32 v7, 0
	ds_load_b32 v7, v7 offset:20
	s_wait_dscnt 0x0
	v_mul_f32_e32 v7, v15, v7
.LBB8_154:
	s_or_b32 exec_lo, exec_lo, s0
	s_delay_alu instid0(SALU_CYCLE_1)
	s_mov_b32 s0, exec_lo
	ds_store_b32 v11, v8
	s_wait_dscnt 0x0
	s_barrier_signal -1
	s_barrier_wait -1
	v_cmpx_gt_u32_e32 6, v0
	s_cbranch_execz .LBB8_164
; %bb.155:
	v_cmp_ne_u32_e32 vcc_lo, 1, v14
	s_cbranch_vccnz .LBB8_157
; %bb.156:
	v_cmp_eq_u32_e32 vcc_lo, 1, v0
	ds_load_b32 v13, v11
	v_cndmask_b32_e32 v12, v2, v3, vcc_lo
	v_cmp_eq_u32_e32 vcc_lo, 2, v0
	s_delay_alu instid0(VALU_DEP_2) | instskip(SKIP_1) | instid1(VALU_DEP_2)
	v_cndmask_b32_e32 v12, v12, v4, vcc_lo
	v_cmp_eq_u32_e32 vcc_lo, 3, v0
	v_cndmask_b32_e32 v12, v12, v5, vcc_lo
	v_cmp_eq_u32_e32 vcc_lo, 4, v0
	s_delay_alu instid0(VALU_DEP_2) | instskip(SKIP_1) | instid1(VALU_DEP_2)
	v_cndmask_b32_e32 v12, v12, v6, vcc_lo
	v_cmp_eq_u32_e32 vcc_lo, 5, v0
	;; [unrolled: 5-line block ×3, first 2 shown]
	v_cndmask_b32_e32 v12, v12, v9, vcc_lo
	v_cmp_eq_u32_e32 vcc_lo, 8, v0
	s_delay_alu instid0(VALU_DEP_2) | instskip(SKIP_1) | instid1(VALU_DEP_1)
	v_cndmask_b32_e32 v12, v12, v10, vcc_lo
	s_wait_dscnt 0x0
	v_mul_f32_e32 v15, v12, v13
	s_cbranch_execz .LBB8_158
	s_branch .LBB8_159
.LBB8_157:
                                        ; implicit-def: $vgpr15
.LBB8_158:
	ds_load_b32 v15, v11
.LBB8_159:
	s_mov_b32 s1, exec_lo
	v_cmpx_ne_u32_e32 5, v0
	s_cbranch_execz .LBB8_163
; %bb.160:
	v_mov_b64_e32 v[12:13], v[0:1]
	v_lshl_add_u32 v16, v0, 2, 52
	s_mov_b32 s2, 0
.LBB8_161:                              ; =>This Inner Loop Header: Depth=1
	s_delay_alu instid0(VALU_DEP_2)
	v_add_nc_u64_e32 v[12:13], 1, v[12:13]
	ds_load_b32 v18, v16
	v_add_nc_u32_e32 v16, 4, v16
	v_cmp_eq_u32_e32 vcc_lo, 1, v12
	v_cndmask_b32_e32 v17, v2, v3, vcc_lo
	v_cmp_eq_u32_e32 vcc_lo, 2, v12
	s_delay_alu instid0(VALU_DEP_2) | instskip(SKIP_1) | instid1(VALU_DEP_2)
	v_cndmask_b32_e32 v17, v17, v4, vcc_lo
	v_cmp_eq_u32_e32 vcc_lo, 3, v12
	v_cndmask_b32_e32 v17, v17, v5, vcc_lo
	v_cmp_eq_u32_e32 vcc_lo, 4, v12
	s_delay_alu instid0(VALU_DEP_2) | instskip(SKIP_1) | instid1(VALU_DEP_2)
	v_cndmask_b32_e32 v17, v17, v6, vcc_lo
	;; [unrolled: 5-line block ×3, first 2 shown]
	v_cmp_eq_u32_e32 vcc_lo, 7, v12
	v_cndmask_b32_e32 v17, v17, v9, vcc_lo
	v_cmp_eq_u32_e32 vcc_lo, 8, v12
	s_delay_alu instid0(VALU_DEP_2) | instskip(SKIP_2) | instid1(VALU_DEP_2)
	v_cndmask_b32_e32 v17, v17, v10, vcc_lo
	v_cmp_lt_u32_e32 vcc_lo, 4, v12
	s_wait_dscnt 0x0
	v_fmac_f32_e32 v15, v17, v18
	s_or_b32 s2, vcc_lo, s2
	s_delay_alu instid0(SALU_CYCLE_1)
	s_and_not1_b32 exec_lo, exec_lo, s2
	s_cbranch_execnz .LBB8_161
; %bb.162:
	s_or_b32 exec_lo, exec_lo, s2
.LBB8_163:
	s_delay_alu instid0(SALU_CYCLE_1)
	s_or_b32 exec_lo, exec_lo, s1
	v_mov_b32_e32 v8, 0
	ds_load_b32 v8, v8 offset:24
	s_wait_dscnt 0x0
	v_mul_f32_e32 v8, v15, v8
.LBB8_164:
	s_or_b32 exec_lo, exec_lo, s0
	v_cmp_gt_u32_e64 s0, 7, v0
	ds_store_b32 v11, v9
	s_wait_dscnt 0x0
	s_barrier_signal -1
	s_barrier_wait -1
	s_and_saveexec_b32 s1, s0
	s_cbranch_execz .LBB8_174
; %bb.165:
	v_cmp_ne_u32_e32 vcc_lo, 1, v14
	s_cbranch_vccnz .LBB8_167
; %bb.166:
	v_cmp_eq_u32_e32 vcc_lo, 1, v0
	ds_load_b32 v13, v11
	v_cndmask_b32_e32 v12, v2, v3, vcc_lo
	v_cmp_eq_u32_e32 vcc_lo, 2, v0
	s_delay_alu instid0(VALU_DEP_2) | instskip(SKIP_1) | instid1(VALU_DEP_2)
	v_cndmask_b32_e32 v12, v12, v4, vcc_lo
	v_cmp_eq_u32_e32 vcc_lo, 3, v0
	v_cndmask_b32_e32 v12, v12, v5, vcc_lo
	v_cmp_eq_u32_e32 vcc_lo, 4, v0
	s_delay_alu instid0(VALU_DEP_2) | instskip(SKIP_1) | instid1(VALU_DEP_2)
	v_cndmask_b32_e32 v12, v12, v6, vcc_lo
	v_cmp_eq_u32_e32 vcc_lo, 5, v0
	;; [unrolled: 5-line block ×3, first 2 shown]
	v_cndmask_b32_e32 v12, v12, v9, vcc_lo
	v_cmp_eq_u32_e32 vcc_lo, 8, v0
	s_delay_alu instid0(VALU_DEP_2) | instskip(SKIP_1) | instid1(VALU_DEP_1)
	v_cndmask_b32_e32 v12, v12, v10, vcc_lo
	s_wait_dscnt 0x0
	v_mul_f32_e32 v15, v12, v13
	s_cbranch_execz .LBB8_168
	s_branch .LBB8_169
.LBB8_167:
                                        ; implicit-def: $vgpr15
.LBB8_168:
	ds_load_b32 v15, v11
.LBB8_169:
	s_mov_b32 s2, exec_lo
	v_cmpx_ne_u32_e32 6, v0
	s_cbranch_execz .LBB8_173
; %bb.170:
	v_mov_b64_e32 v[12:13], v[0:1]
	v_lshl_add_u32 v16, v0, 2, 52
	s_mov_b32 s3, 0
.LBB8_171:                              ; =>This Inner Loop Header: Depth=1
	s_delay_alu instid0(VALU_DEP_2)
	v_add_nc_u64_e32 v[12:13], 1, v[12:13]
	ds_load_b32 v18, v16
	v_add_nc_u32_e32 v16, 4, v16
	v_cmp_eq_u32_e32 vcc_lo, 1, v12
	v_cndmask_b32_e32 v17, v2, v3, vcc_lo
	v_cmp_eq_u32_e32 vcc_lo, 2, v12
	s_delay_alu instid0(VALU_DEP_2) | instskip(SKIP_1) | instid1(VALU_DEP_2)
	v_cndmask_b32_e32 v17, v17, v4, vcc_lo
	v_cmp_eq_u32_e32 vcc_lo, 3, v12
	v_cndmask_b32_e32 v17, v17, v5, vcc_lo
	v_cmp_eq_u32_e32 vcc_lo, 4, v12
	s_delay_alu instid0(VALU_DEP_2) | instskip(SKIP_1) | instid1(VALU_DEP_2)
	v_cndmask_b32_e32 v17, v17, v6, vcc_lo
	;; [unrolled: 5-line block ×3, first 2 shown]
	v_cmp_eq_u32_e32 vcc_lo, 7, v12
	v_cndmask_b32_e32 v17, v17, v9, vcc_lo
	v_cmp_eq_u32_e32 vcc_lo, 8, v12
	s_delay_alu instid0(VALU_DEP_2) | instskip(SKIP_2) | instid1(VALU_DEP_2)
	v_cndmask_b32_e32 v17, v17, v10, vcc_lo
	v_cmp_lt_u32_e32 vcc_lo, 5, v12
	s_wait_dscnt 0x0
	v_fmac_f32_e32 v15, v17, v18
	s_or_b32 s3, vcc_lo, s3
	s_delay_alu instid0(SALU_CYCLE_1)
	s_and_not1_b32 exec_lo, exec_lo, s3
	s_cbranch_execnz .LBB8_171
; %bb.172:
	s_or_b32 exec_lo, exec_lo, s3
.LBB8_173:
	s_delay_alu instid0(SALU_CYCLE_1)
	s_or_b32 exec_lo, exec_lo, s2
	v_mov_b32_e32 v9, 0
	ds_load_b32 v9, v9 offset:28
	s_wait_dscnt 0x0
	v_mul_f32_e32 v9, v15, v9
.LBB8_174:
	s_or_b32 exec_lo, exec_lo, s1
	s_delay_alu instid0(SALU_CYCLE_1)
	s_mov_b32 s1, exec_lo
	ds_store_b32 v11, v10
	s_wait_dscnt 0x0
	s_barrier_signal -1
	s_barrier_wait -1
	v_cmpx_ne_u32_e32 8, v0
	s_cbranch_execz .LBB8_184
; %bb.175:
	v_cmp_ne_u32_e32 vcc_lo, 1, v14
	s_cbranch_vccnz .LBB8_177
; %bb.176:
	v_cmp_eq_u32_e32 vcc_lo, 1, v0
	ds_load_b32 v13, v11
	v_cndmask_b32_e32 v12, v2, v3, vcc_lo
	v_cmp_eq_u32_e32 vcc_lo, 2, v0
	s_delay_alu instid0(VALU_DEP_2) | instskip(SKIP_1) | instid1(VALU_DEP_2)
	v_cndmask_b32_e32 v12, v12, v4, vcc_lo
	v_cmp_eq_u32_e32 vcc_lo, 3, v0
	v_cndmask_b32_e32 v12, v12, v5, vcc_lo
	v_cmp_eq_u32_e32 vcc_lo, 4, v0
	s_delay_alu instid0(VALU_DEP_2) | instskip(SKIP_1) | instid1(VALU_DEP_2)
	v_cndmask_b32_e32 v12, v12, v6, vcc_lo
	v_cmp_eq_u32_e32 vcc_lo, 5, v0
	;; [unrolled: 5-line block ×3, first 2 shown]
	v_cndmask_b32_e32 v12, v12, v9, vcc_lo
	v_cmp_eq_u32_e32 vcc_lo, 8, v0
	s_delay_alu instid0(VALU_DEP_2) | instskip(SKIP_1) | instid1(VALU_DEP_1)
	v_cndmask_b32_e32 v12, v12, v10, vcc_lo
	s_wait_dscnt 0x0
	v_mul_f32_e32 v12, v12, v13
	s_cbranch_execz .LBB8_178
	s_branch .LBB8_179
.LBB8_177:
                                        ; implicit-def: $vgpr12
.LBB8_178:
	ds_load_b32 v12, v11
.LBB8_179:
	s_and_saveexec_b32 s2, s0
	s_cbranch_execz .LBB8_183
; %bb.180:
	v_lshl_add_u32 v11, v0, 2, 52
	s_mov_b32 s0, 0
.LBB8_181:                              ; =>This Inner Loop Header: Depth=1
	v_add_nc_u64_e32 v[0:1], 1, v[0:1]
	ds_load_b32 v14, v11
	v_add_nc_u32_e32 v11, 4, v11
	v_cmp_eq_u32_e32 vcc_lo, 1, v0
	v_cndmask_b32_e32 v13, v2, v3, vcc_lo
	v_cmp_eq_u32_e32 vcc_lo, 2, v0
	s_delay_alu instid0(VALU_DEP_2) | instskip(SKIP_1) | instid1(VALU_DEP_2)
	v_cndmask_b32_e32 v13, v13, v4, vcc_lo
	v_cmp_eq_u32_e32 vcc_lo, 3, v0
	v_cndmask_b32_e32 v13, v13, v5, vcc_lo
	v_cmp_eq_u32_e32 vcc_lo, 4, v0
	s_delay_alu instid0(VALU_DEP_2) | instskip(SKIP_1) | instid1(VALU_DEP_2)
	v_cndmask_b32_e32 v13, v13, v6, vcc_lo
	;; [unrolled: 5-line block ×3, first 2 shown]
	v_cmp_eq_u32_e32 vcc_lo, 7, v0
	v_cndmask_b32_e32 v13, v13, v9, vcc_lo
	v_cmp_eq_u32_e32 vcc_lo, 8, v0
	s_delay_alu instid0(VALU_DEP_2) | instskip(SKIP_2) | instid1(VALU_DEP_2)
	v_cndmask_b32_e32 v13, v13, v10, vcc_lo
	v_cmp_lt_u32_e32 vcc_lo, 6, v0
	s_wait_dscnt 0x0
	v_fmac_f32_e32 v12, v13, v14
	s_or_b32 s0, vcc_lo, s0
	s_delay_alu instid0(SALU_CYCLE_1)
	s_and_not1_b32 exec_lo, exec_lo, s0
	s_cbranch_execnz .LBB8_181
; %bb.182:
	s_or_b32 exec_lo, exec_lo, s0
.LBB8_183:
	s_delay_alu instid0(SALU_CYCLE_1)
	s_or_b32 exec_lo, exec_lo, s2
	v_mov_b32_e32 v0, 0
	ds_load_b32 v0, v0 offset:32
	s_wait_dscnt 0x0
	v_mul_f32_e32 v10, v12, v0
.LBB8_184:
	s_or_b32 exec_lo, exec_lo, s1
	s_delay_alu instid0(VALU_DEP_1)
	v_dual_mov_b32 v20, v10 :: v_dual_mov_b32 v19, v9
	v_dual_mov_b32 v18, v8 :: v_dual_mov_b32 v17, v7
	;; [unrolled: 1-line block ×4, first 2 shown]
	v_mov_b32_e32 v12, v2
.LBB8_185:
	s_wait_xcnt 0x8
	v_lshl_add_u64 v[0:1], v[22:23], 2, s[10:11]
	s_wait_loadcnt 0x7
	v_lshl_add_u64 v[2:3], v[24:25], 2, s[10:11]
	s_wait_loadcnt 0x5
	;; [unrolled: 2-line block ×5, first 2 shown]
	v_lshl_add_u64 v[10:11], v[36:37], 2, s[10:11]
	v_lshl_add_u64 v[22:23], v[38:39], 2, s[10:11]
	s_clause 0x8
	global_store_b32 v[28:29], v12, off
	global_store_b32 v[32:33], v13, off
	;; [unrolled: 1-line block ×9, first 2 shown]
.LBB8_186:
	s_endpgm
	.section	.rodata,"a",@progbits
	.p2align	6, 0x0
	.amdhsa_kernel _ZN9rocsolver6v33100L18trti2_kernel_smallILi9EfPfEEv13rocblas_fill_17rocblas_diagonal_T1_iil
		.amdhsa_group_segment_fixed_size 84
		.amdhsa_private_segment_fixed_size 0
		.amdhsa_kernarg_size 32
		.amdhsa_user_sgpr_count 2
		.amdhsa_user_sgpr_dispatch_ptr 0
		.amdhsa_user_sgpr_queue_ptr 0
		.amdhsa_user_sgpr_kernarg_segment_ptr 1
		.amdhsa_user_sgpr_dispatch_id 0
		.amdhsa_user_sgpr_kernarg_preload_length 0
		.amdhsa_user_sgpr_kernarg_preload_offset 0
		.amdhsa_user_sgpr_private_segment_size 0
		.amdhsa_wavefront_size32 1
		.amdhsa_uses_dynamic_stack 0
		.amdhsa_enable_private_segment 0
		.amdhsa_system_sgpr_workgroup_id_x 1
		.amdhsa_system_sgpr_workgroup_id_y 0
		.amdhsa_system_sgpr_workgroup_id_z 0
		.amdhsa_system_sgpr_workgroup_info 0
		.amdhsa_system_vgpr_workitem_id 0
		.amdhsa_next_free_vgpr 53
		.amdhsa_next_free_sgpr 20
		.amdhsa_named_barrier_count 0
		.amdhsa_reserve_vcc 1
		.amdhsa_float_round_mode_32 0
		.amdhsa_float_round_mode_16_64 0
		.amdhsa_float_denorm_mode_32 3
		.amdhsa_float_denorm_mode_16_64 3
		.amdhsa_fp16_overflow 0
		.amdhsa_memory_ordered 1
		.amdhsa_forward_progress 1
		.amdhsa_inst_pref_size 60
		.amdhsa_round_robin_scheduling 0
		.amdhsa_exception_fp_ieee_invalid_op 0
		.amdhsa_exception_fp_denorm_src 0
		.amdhsa_exception_fp_ieee_div_zero 0
		.amdhsa_exception_fp_ieee_overflow 0
		.amdhsa_exception_fp_ieee_underflow 0
		.amdhsa_exception_fp_ieee_inexact 0
		.amdhsa_exception_int_div_zero 0
	.end_amdhsa_kernel
	.section	.text._ZN9rocsolver6v33100L18trti2_kernel_smallILi9EfPfEEv13rocblas_fill_17rocblas_diagonal_T1_iil,"axG",@progbits,_ZN9rocsolver6v33100L18trti2_kernel_smallILi9EfPfEEv13rocblas_fill_17rocblas_diagonal_T1_iil,comdat
.Lfunc_end8:
	.size	_ZN9rocsolver6v33100L18trti2_kernel_smallILi9EfPfEEv13rocblas_fill_17rocblas_diagonal_T1_iil, .Lfunc_end8-_ZN9rocsolver6v33100L18trti2_kernel_smallILi9EfPfEEv13rocblas_fill_17rocblas_diagonal_T1_iil
                                        ; -- End function
	.set _ZN9rocsolver6v33100L18trti2_kernel_smallILi9EfPfEEv13rocblas_fill_17rocblas_diagonal_T1_iil.num_vgpr, 53
	.set _ZN9rocsolver6v33100L18trti2_kernel_smallILi9EfPfEEv13rocblas_fill_17rocblas_diagonal_T1_iil.num_agpr, 0
	.set _ZN9rocsolver6v33100L18trti2_kernel_smallILi9EfPfEEv13rocblas_fill_17rocblas_diagonal_T1_iil.numbered_sgpr, 20
	.set _ZN9rocsolver6v33100L18trti2_kernel_smallILi9EfPfEEv13rocblas_fill_17rocblas_diagonal_T1_iil.num_named_barrier, 0
	.set _ZN9rocsolver6v33100L18trti2_kernel_smallILi9EfPfEEv13rocblas_fill_17rocblas_diagonal_T1_iil.private_seg_size, 0
	.set _ZN9rocsolver6v33100L18trti2_kernel_smallILi9EfPfEEv13rocblas_fill_17rocblas_diagonal_T1_iil.uses_vcc, 1
	.set _ZN9rocsolver6v33100L18trti2_kernel_smallILi9EfPfEEv13rocblas_fill_17rocblas_diagonal_T1_iil.uses_flat_scratch, 0
	.set _ZN9rocsolver6v33100L18trti2_kernel_smallILi9EfPfEEv13rocblas_fill_17rocblas_diagonal_T1_iil.has_dyn_sized_stack, 0
	.set _ZN9rocsolver6v33100L18trti2_kernel_smallILi9EfPfEEv13rocblas_fill_17rocblas_diagonal_T1_iil.has_recursion, 0
	.set _ZN9rocsolver6v33100L18trti2_kernel_smallILi9EfPfEEv13rocblas_fill_17rocblas_diagonal_T1_iil.has_indirect_call, 0
	.section	.AMDGPU.csdata,"",@progbits
; Kernel info:
; codeLenInByte = 7668
; TotalNumSgprs: 22
; NumVgprs: 53
; ScratchSize: 0
; MemoryBound: 0
; FloatMode: 240
; IeeeMode: 1
; LDSByteSize: 84 bytes/workgroup (compile time only)
; SGPRBlocks: 0
; VGPRBlocks: 3
; NumSGPRsForWavesPerEU: 22
; NumVGPRsForWavesPerEU: 53
; NamedBarCnt: 0
; Occupancy: 16
; WaveLimiterHint : 0
; COMPUTE_PGM_RSRC2:SCRATCH_EN: 0
; COMPUTE_PGM_RSRC2:USER_SGPR: 2
; COMPUTE_PGM_RSRC2:TRAP_HANDLER: 0
; COMPUTE_PGM_RSRC2:TGID_X_EN: 1
; COMPUTE_PGM_RSRC2:TGID_Y_EN: 0
; COMPUTE_PGM_RSRC2:TGID_Z_EN: 0
; COMPUTE_PGM_RSRC2:TIDIG_COMP_CNT: 0
	.section	.text._ZN9rocsolver6v33100L18trti2_kernel_smallILi10EfPfEEv13rocblas_fill_17rocblas_diagonal_T1_iil,"axG",@progbits,_ZN9rocsolver6v33100L18trti2_kernel_smallILi10EfPfEEv13rocblas_fill_17rocblas_diagonal_T1_iil,comdat
	.globl	_ZN9rocsolver6v33100L18trti2_kernel_smallILi10EfPfEEv13rocblas_fill_17rocblas_diagonal_T1_iil ; -- Begin function _ZN9rocsolver6v33100L18trti2_kernel_smallILi10EfPfEEv13rocblas_fill_17rocblas_diagonal_T1_iil
	.p2align	8
	.type	_ZN9rocsolver6v33100L18trti2_kernel_smallILi10EfPfEEv13rocblas_fill_17rocblas_diagonal_T1_iil,@function
_ZN9rocsolver6v33100L18trti2_kernel_smallILi10EfPfEEv13rocblas_fill_17rocblas_diagonal_T1_iil: ; @_ZN9rocsolver6v33100L18trti2_kernel_smallILi10EfPfEEv13rocblas_fill_17rocblas_diagonal_T1_iil
; %bb.0:
	s_mov_b32 s2, exec_lo
	v_cmpx_gt_u32_e32 10, v0
	s_cbranch_execz .LBB9_224
; %bb.1:
	s_load_b256 s[12:19], s[0:1], 0x0
	s_wait_xcnt 0x0
	s_bfe_u32 s0, ttmp6, 0x4000c
	s_and_b32 s1, ttmp6, 15
	s_add_co_i32 s0, s0, 1
	s_getreg_b32 s2, hwreg(HW_REG_IB_STS2, 6, 4)
	s_mul_i32 s0, ttmp9, s0
	v_mov_b32_e32 v1, 0
	s_add_co_i32 s0, s1, s0
	s_delay_alu instid0(VALU_DEP_1)
	v_mov_b32_e32 v13, v1
	s_wait_kmcnt 0x0
	v_add3_u32 v22, s17, s17, v0
	s_ashr_i32 s1, s16, 31
	s_cmp_eq_u32 s2, 0
	s_cselect_b32 s2, ttmp9, s0
	s_delay_alu instid0(VALU_DEP_1)
	v_add_nc_u32_e32 v24, s17, v22
	s_ashr_i32 s3, s2, 31
	s_mov_b32 s0, s16
	s_mul_u64 s[2:3], s[18:19], s[2:3]
	s_lshl_b64 s[0:1], s[0:1], 2
	v_add_nc_u32_e32 v26, s17, v24
	v_lshlrev_b32_e32 v12, 2, v0
	s_lshl_b64 s[2:3], s[2:3], 2
	s_delay_alu instid0(SALU_CYCLE_1) | instskip(NEXT) | instid1(VALU_DEP_2)
	s_add_nc_u64 s[2:3], s[14:15], s[2:3]
	v_add_nc_u32_e32 v28, s17, v26
	s_add_nc_u64 s[10:11], s[2:3], s[0:1]
	s_mov_b32 s0, s17
	v_add_nc_u64_e32 v[30:31], s[10:11], v[12:13]
	s_ashr_i32 s1, s17, 31
	v_add_nc_u32_e32 v32, s17, v28
	s_cmp_lg_u32 s13, 0x84
	v_mov_b32_e32 v13, -1.0
	s_cselect_b32 s14, -1, 0
	s_cmp_eq_u32 s13, 0x84
	v_add_nc_u32_e32 v36, s17, v32
	v_lshl_add_u64 v[34:35], s[0:1], 2, v[30:31]
	v_cmp_eq_u32_e64 s0, 0, v0
	s_delay_alu instid0(VALU_DEP_3) | instskip(NEXT) | instid1(VALU_DEP_1)
	v_add_nc_u32_e32 v38, s17, v36
	v_add_nc_u32_e32 v40, s17, v38
	s_clause 0x9
	global_load_b32 v3, v[34:35], off
	global_load_b32 v4, v22, s[10:11] scale_offset
	global_load_b32 v5, v24, s[10:11] scale_offset
	;; [unrolled: 1-line block ×9, first 2 shown]
	s_cbranch_scc1 .LBB9_3
; %bb.2:
	v_cmp_eq_u32_e64 s1, 1, v0
	v_cmp_eq_u32_e64 s2, 2, v0
	;; [unrolled: 1-line block ×5, first 2 shown]
	s_wait_loadcnt 0x1
	v_cndmask_b32_e64 v13, v2, v3, s1
	v_cmp_eq_u32_e64 s6, 6, v0
	v_cmp_eq_u32_e64 s7, 7, v0
	;; [unrolled: 1-line block ×4, first 2 shown]
	v_cndmask_b32_e64 v13, v13, v4, s2
	s_delay_alu instid0(VALU_DEP_1) | instskip(NEXT) | instid1(VALU_DEP_1)
	v_cndmask_b32_e64 v13, v13, v5, s3
	v_cndmask_b32_e64 v13, v13, v6, s4
	s_delay_alu instid0(VALU_DEP_1) | instskip(NEXT) | instid1(VALU_DEP_1)
	v_cndmask_b32_e64 v13, v13, v7, s5
	;; [unrolled: 3-line block ×3, first 2 shown]
	v_cndmask_b32_e64 v13, v13, v10, s8
	s_wait_loadcnt 0x0
	s_delay_alu instid0(VALU_DEP_1) | instskip(NEXT) | instid1(VALU_DEP_1)
	v_cndmask_b32_e64 v13, v13, v11, s9
	v_div_scale_f32 v14, null, v13, v13, 1.0
	v_div_scale_f32 v17, vcc_lo, 1.0, v13, 1.0
	s_delay_alu instid0(VALU_DEP_2) | instskip(SKIP_1) | instid1(TRANS32_DEP_1)
	v_rcp_f32_e32 v15, v14
	v_nop
	v_fma_f32 v16, -v14, v15, 1.0
	s_delay_alu instid0(VALU_DEP_1) | instskip(NEXT) | instid1(VALU_DEP_1)
	v_fmac_f32_e32 v15, v16, v15
	v_mul_f32_e32 v16, v17, v15
	s_delay_alu instid0(VALU_DEP_1) | instskip(NEXT) | instid1(VALU_DEP_1)
	v_fma_f32 v18, -v14, v16, v17
	v_fmac_f32_e32 v16, v18, v15
	s_delay_alu instid0(VALU_DEP_1) | instskip(NEXT) | instid1(VALU_DEP_1)
	v_fma_f32 v14, -v14, v16, v17
	v_div_fmas_f32 v14, v14, v15, v16
	s_delay_alu instid0(VALU_DEP_1) | instskip(NEXT) | instid1(VALU_DEP_1)
	v_div_fixup_f32 v13, v14, v13, 1.0
	v_dual_cndmask_b32 v11, v11, v13, s9 :: v_dual_cndmask_b32 v10, v10, v13, s8
	v_dual_cndmask_b32 v9, v9, v13, s7 :: v_dual_cndmask_b32 v8, v8, v13, s6
	;; [unrolled: 1-line block ×5, first 2 shown]
	v_xor_b32_e32 v13, 0x80000000, v13
.LBB9_3:
	v_dual_ashrrev_i32 v23, 31, v22 :: v_dual_ashrrev_i32 v25, 31, v24
	v_dual_ashrrev_i32 v27, 31, v26 :: v_dual_ashrrev_i32 v29, 31, v28
	v_dual_ashrrev_i32 v33, 31, v32 :: v_dual_ashrrev_i32 v39, 31, v38
	v_ashrrev_i32_e32 v37, 31, v36
	v_ashrrev_i32_e32 v41, 31, v40
	v_add_nc_u32_e32 v45, 48, v12
	s_cmp_eq_u32 s12, 0x79
	ds_store_b32 v12, v13
	s_cbranch_scc1 .LBB9_7
; %bb.4:
	s_wait_loadcnt 0x0
	v_mov_b64_e32 v[20:21], v[10:11]
	v_mov_b64_e32 v[18:19], v[8:9]
	;; [unrolled: 1-line block ×5, first 2 shown]
	v_cmp_eq_u32_e64 s0, 9, v0
	ds_store_b32 v45, v10
	s_wait_dscnt 0x0
	s_barrier_signal -1
	s_barrier_wait -1
	s_and_saveexec_b32 s1, s0
	s_cbranch_execz .LBB9_11
; %bb.5:
	s_and_b32 vcc_lo, exec_lo, s14
	s_cbranch_vccz .LBB9_8
; %bb.6:
	v_cmp_eq_u32_e32 vcc_lo, 1, v0
	ds_load_b32 v13, v45
	v_cndmask_b32_e32 v12, v2, v3, vcc_lo
	v_cmp_eq_u32_e32 vcc_lo, 2, v0
	s_delay_alu instid0(VALU_DEP_2) | instskip(SKIP_1) | instid1(VALU_DEP_2)
	v_cndmask_b32_e32 v12, v12, v4, vcc_lo
	v_cmp_eq_u32_e32 vcc_lo, 3, v0
	v_cndmask_b32_e32 v12, v12, v5, vcc_lo
	v_cmp_eq_u32_e32 vcc_lo, 4, v0
	s_delay_alu instid0(VALU_DEP_2) | instskip(SKIP_1) | instid1(VALU_DEP_2)
	v_cndmask_b32_e32 v12, v12, v6, vcc_lo
	v_cmp_eq_u32_e32 vcc_lo, 5, v0
	v_cndmask_b32_e32 v12, v12, v7, vcc_lo
	v_cmp_eq_u32_e32 vcc_lo, 6, v0
	s_delay_alu instid0(VALU_DEP_2) | instskip(SKIP_1) | instid1(VALU_DEP_2)
	v_cndmask_b32_e32 v12, v12, v8, vcc_lo
	v_cmp_eq_u32_e32 vcc_lo, 7, v0
	v_cndmask_b32_e32 v12, v12, v9, vcc_lo
	v_cmp_eq_u32_e32 vcc_lo, 8, v0
	s_delay_alu instid0(VALU_DEP_2) | instskip(SKIP_1) | instid1(VALU_DEP_2)
	v_cndmask_b32_e32 v12, v12, v10, vcc_lo
	v_cmp_eq_u32_e32 vcc_lo, 9, v0
	v_cndmask_b32_e32 v12, v12, v11, vcc_lo
	s_wait_dscnt 0x0
	s_delay_alu instid0(VALU_DEP_1)
	v_mul_f32_e32 v12, v12, v13
	s_cbranch_execz .LBB9_9
	s_branch .LBB9_10
.LBB9_7:
                                        ; implicit-def: $vgpr12_vgpr13_vgpr14_vgpr15_vgpr16_vgpr17_vgpr18_vgpr19_vgpr20_vgpr21
	s_cbranch_execnz .LBB9_130
	s_branch .LBB9_223
.LBB9_8:
                                        ; implicit-def: $vgpr12
.LBB9_9:
	ds_load_b32 v12, v45
.LBB9_10:
	v_mov_b32_e32 v13, 0
	ds_load_b32 v13, v13 offset:32
	s_wait_dscnt 0x0
	v_mul_f32_e32 v42, v12, v13
	v_mov_b64_e32 v[20:21], v[10:11]
	v_mov_b64_e32 v[18:19], v[8:9]
	;; [unrolled: 1-line block ×5, first 2 shown]
	v_mov_b32_e32 v20, v42
.LBB9_11:
	s_or_b32 exec_lo, exec_lo, s1
	v_cmp_lt_u32_e64 s1, 7, v0
	ds_store_b32 v45, v19
	s_wait_dscnt 0x0
	s_barrier_signal -1
	s_barrier_wait -1
	s_and_saveexec_b32 s2, s1
	s_cbranch_execz .LBB9_17
; %bb.12:
	s_and_not1_b32 vcc_lo, exec_lo, s14
	s_cbranch_vccnz .LBB9_14
; %bb.13:
	v_cmp_eq_u32_e32 vcc_lo, 1, v0
	ds_load_b32 v43, v45
	v_cndmask_b32_e32 v42, v12, v13, vcc_lo
	v_cmp_eq_u32_e32 vcc_lo, 2, v0
	s_delay_alu instid0(VALU_DEP_2) | instskip(SKIP_1) | instid1(VALU_DEP_2)
	v_cndmask_b32_e32 v42, v42, v14, vcc_lo
	v_cmp_eq_u32_e32 vcc_lo, 3, v0
	v_cndmask_b32_e32 v42, v42, v15, vcc_lo
	v_cmp_eq_u32_e32 vcc_lo, 4, v0
	s_delay_alu instid0(VALU_DEP_2) | instskip(SKIP_1) | instid1(VALU_DEP_2)
	v_cndmask_b32_e32 v42, v42, v16, vcc_lo
	v_cmp_eq_u32_e32 vcc_lo, 5, v0
	;; [unrolled: 5-line block ×4, first 2 shown]
	v_cndmask_b32_e32 v19, v19, v21, vcc_lo
	s_wait_dscnt 0x0
	s_delay_alu instid0(VALU_DEP_1)
	v_mul_f32_e32 v19, v19, v43
	s_cbranch_execz .LBB9_15
	s_branch .LBB9_16
.LBB9_14:
                                        ; implicit-def: $vgpr19
.LBB9_15:
	ds_load_b32 v19, v45
.LBB9_16:
	v_mov_b32_e32 v42, 0
	ds_load_2addr_b32 v[42:43], v42 offset0:7 offset1:20
	s_wait_dscnt 0x0
	v_fma_f32 v43, v20, v43, v19
	s_delay_alu instid0(VALU_DEP_1) | instskip(NEXT) | instid1(VALU_DEP_1)
	v_cndmask_b32_e64 v19, v19, v43, s0
	v_mul_f32_e32 v19, v19, v42
.LBB9_17:
	s_or_b32 exec_lo, exec_lo, s2
	v_cmp_lt_u32_e64 s0, 6, v0
	ds_store_b32 v45, v18
	s_wait_dscnt 0x0
	s_barrier_signal -1
	s_barrier_wait -1
	s_and_saveexec_b32 s4, s0
	s_cbranch_execz .LBB9_33
; %bb.18:
	s_and_not1_b32 vcc_lo, exec_lo, s14
	s_cbranch_vccnz .LBB9_20
; %bb.19:
	v_cmp_eq_u32_e32 vcc_lo, 1, v0
	ds_load_b32 v43, v45
	v_cndmask_b32_e32 v42, v12, v13, vcc_lo
	v_cmp_eq_u32_e32 vcc_lo, 2, v0
	s_delay_alu instid0(VALU_DEP_2) | instskip(SKIP_1) | instid1(VALU_DEP_2)
	v_cndmask_b32_e32 v42, v42, v14, vcc_lo
	v_cmp_eq_u32_e32 vcc_lo, 3, v0
	v_cndmask_b32_e32 v42, v42, v15, vcc_lo
	v_cmp_eq_u32_e32 vcc_lo, 4, v0
	s_delay_alu instid0(VALU_DEP_2) | instskip(SKIP_1) | instid1(VALU_DEP_2)
	v_cndmask_b32_e32 v42, v42, v16, vcc_lo
	v_cmp_eq_u32_e32 vcc_lo, 5, v0
	;; [unrolled: 5-line block ×4, first 2 shown]
	v_cndmask_b32_e32 v42, v42, v21, vcc_lo
	s_wait_dscnt 0x0
	s_delay_alu instid0(VALU_DEP_1)
	v_mul_f32_e32 v46, v42, v43
	s_cbranch_execz .LBB9_21
	s_branch .LBB9_22
.LBB9_20:
                                        ; implicit-def: $vgpr46
.LBB9_21:
	ds_load_b32 v46, v45
.LBB9_22:
	s_and_saveexec_b32 s5, s1
	s_cbranch_execz .LBB9_32
; %bb.23:
	v_dual_add_nc_u32 v42, -8, v0 :: v_dual_add_nc_u32 v43, -7, v0
	s_delay_alu instid0(VALU_DEP_1)
	v_cmp_lt_u32_e32 vcc_lo, 6, v42
	v_mov_b32_e32 v42, 7
	s_and_saveexec_b32 s1, vcc_lo
	s_cbranch_execz .LBB9_27
; %bb.24:
	v_and_b32_e32 v42, -8, v43
	s_mov_b32 s6, 0
	s_mov_b64 s[2:3], 14
	s_movk_i32 s7, 0x4c
	s_delay_alu instid0(VALU_DEP_1)
	v_sub_nc_u32_e32 v44, 0, v42
.LBB9_25:                               ; =>This Inner Loop Header: Depth=1
	s_add_co_i32 m0, s2, -7
	v_movrels_b32_e32 v47, v12
	v_mov_b32_e32 v42, s7
	s_add_co_i32 m0, s2, -6
	s_add_co_i32 s7, s7, 32
	v_movrels_b32_e32 v56, v12
	ds_load_2addr_b32 v[48:49], v42 offset1:1
	ds_load_2addr_b32 v[50:51], v42 offset0:2 offset1:3
	s_add_co_i32 m0, s2, -5
	s_wait_dscnt 0x1
	v_fmac_f32_e32 v46, v47, v48
	ds_load_2addr_b32 v[52:53], v42 offset0:4 offset1:5
	ds_load_2addr_b32 v[54:55], v42 offset0:6 offset1:7
	v_movrels_b32_e32 v42, v12
	s_add_co_i32 m0, s2, -4
	v_fmac_f32_e32 v46, v56, v49
	v_movrels_b32_e32 v47, v12
	s_add_co_i32 m0, s2, -3
	s_wait_dscnt 0x2
	s_delay_alu instid0(VALU_DEP_2) | instskip(SKIP_2) | instid1(VALU_DEP_2)
	v_fmac_f32_e32 v46, v42, v50
	v_movrels_b32_e32 v42, v12
	s_add_co_i32 m0, s2, -2
	v_fmac_f32_e32 v46, v47, v51
	v_movrels_b32_e32 v47, v12
	s_add_co_i32 m0, s2, -1
	s_wait_dscnt 0x1
	s_delay_alu instid0(VALU_DEP_2)
	v_fmac_f32_e32 v46, v42, v52
	v_movrels_b32_e32 v42, v12
	s_mov_b32 m0, s2
	s_add_nc_u64 s[2:3], s[2:3], 8
	v_movrels_b32_e32 v48, v12
	v_dual_fmac_f32 v46, v47, v53 :: v_dual_add_nc_u32 v47, s2, v44
	s_add_co_i32 s8, s2, -7
	s_wait_dscnt 0x0
	s_delay_alu instid0(VALU_DEP_1) | instskip(NEXT) | instid1(VALU_DEP_2)
	v_fmac_f32_e32 v46, v42, v54
	v_cmp_eq_u32_e32 vcc_lo, 14, v47
	s_delay_alu instid0(VALU_DEP_2) | instskip(SKIP_1) | instid1(SALU_CYCLE_1)
	v_dual_mov_b32 v42, s8 :: v_dual_fmac_f32 v46, v48, v55
	s_or_b32 s6, vcc_lo, s6
	s_and_not1_b32 exec_lo, exec_lo, s6
	s_cbranch_execnz .LBB9_25
; %bb.26:
	s_or_b32 exec_lo, exec_lo, s6
.LBB9_27:
	s_delay_alu instid0(SALU_CYCLE_1) | instskip(SKIP_3) | instid1(VALU_DEP_1)
	s_or_b32 exec_lo, exec_lo, s1
	v_and_b32_e32 v44, 7, v43
	s_mov_b32 s2, 0
	s_mov_b32 s1, exec_lo
	v_cmpx_ne_u32_e32 0, v44
	s_cbranch_execz .LBB9_31
; %bb.28:
	v_lshl_add_u32 v47, v42, 2, 48
	v_mov_b32_e32 v43, 0
.LBB9_29:                               ; =>This Inner Loop Header: Depth=1
	v_cmp_eq_u32_e32 vcc_lo, 1, v42
	ds_load_b32 v49, v47
	v_dual_add_nc_u32 v44, -1, v44 :: v_dual_add_nc_u32 v47, 4, v47
	v_cndmask_b32_e32 v48, v12, v13, vcc_lo
	v_cmp_eq_u32_e32 vcc_lo, 2, v42
	s_delay_alu instid0(VALU_DEP_2) | instskip(SKIP_1) | instid1(VALU_DEP_2)
	v_cndmask_b32_e32 v48, v48, v14, vcc_lo
	v_cmp_eq_u32_e32 vcc_lo, 3, v42
	v_cndmask_b32_e32 v48, v48, v15, vcc_lo
	v_cmp_eq_u32_e32 vcc_lo, 4, v42
	s_delay_alu instid0(VALU_DEP_2) | instskip(SKIP_1) | instid1(VALU_DEP_2)
	v_cndmask_b32_e32 v48, v48, v16, vcc_lo
	v_cmp_eq_u32_e32 vcc_lo, 5, v42
	;; [unrolled: 5-line block ×3, first 2 shown]
	v_cndmask_b32_e32 v48, v48, v19, vcc_lo
	v_cmp_eq_u32_e32 vcc_lo, 8, v42
	s_delay_alu instid0(VALU_DEP_2) | instskip(SKIP_2) | instid1(VALU_DEP_3)
	v_cndmask_b32_e32 v48, v48, v20, vcc_lo
	v_cmp_eq_u32_e32 vcc_lo, 9, v42
	v_add_nc_u64_e32 v[42:43], 1, v[42:43]
	v_cndmask_b32_e32 v48, v48, v21, vcc_lo
	v_cmp_eq_u32_e32 vcc_lo, 0, v44
	s_wait_dscnt 0x0
	s_delay_alu instid0(VALU_DEP_2) | instskip(SKIP_1) | instid1(SALU_CYCLE_1)
	v_fmac_f32_e32 v46, v48, v49
	s_or_b32 s2, vcc_lo, s2
	s_and_not1_b32 exec_lo, exec_lo, s2
	s_cbranch_execnz .LBB9_29
; %bb.30:
	s_or_b32 exec_lo, exec_lo, s2
.LBB9_31:
	s_delay_alu instid0(SALU_CYCLE_1)
	s_or_b32 exec_lo, exec_lo, s1
.LBB9_32:
	s_delay_alu instid0(SALU_CYCLE_1)
	s_or_b32 exec_lo, exec_lo, s5
	v_mov_b32_e32 v18, 0
	ds_load_b32 v18, v18 offset:24
	s_wait_dscnt 0x0
	v_mul_f32_e32 v18, v46, v18
.LBB9_33:
	s_or_b32 exec_lo, exec_lo, s4
	v_cmp_lt_u32_e64 s1, 5, v0
	ds_store_b32 v45, v17
	s_wait_dscnt 0x0
	s_barrier_signal -1
	s_barrier_wait -1
	s_and_saveexec_b32 s4, s1
	s_cbranch_execz .LBB9_49
; %bb.34:
	s_and_not1_b32 vcc_lo, exec_lo, s14
	s_cbranch_vccnz .LBB9_36
; %bb.35:
	v_cmp_eq_u32_e32 vcc_lo, 1, v0
	ds_load_b32 v43, v45
	v_cndmask_b32_e32 v42, v12, v13, vcc_lo
	v_cmp_eq_u32_e32 vcc_lo, 2, v0
	s_delay_alu instid0(VALU_DEP_2) | instskip(SKIP_1) | instid1(VALU_DEP_2)
	v_cndmask_b32_e32 v42, v42, v14, vcc_lo
	v_cmp_eq_u32_e32 vcc_lo, 3, v0
	v_cndmask_b32_e32 v42, v42, v15, vcc_lo
	v_cmp_eq_u32_e32 vcc_lo, 4, v0
	s_delay_alu instid0(VALU_DEP_2) | instskip(SKIP_1) | instid1(VALU_DEP_2)
	v_cndmask_b32_e32 v42, v42, v16, vcc_lo
	v_cmp_eq_u32_e32 vcc_lo, 5, v0
	;; [unrolled: 5-line block ×4, first 2 shown]
	v_cndmask_b32_e32 v42, v42, v21, vcc_lo
	s_wait_dscnt 0x0
	s_delay_alu instid0(VALU_DEP_1)
	v_mul_f32_e32 v46, v42, v43
	s_cbranch_execz .LBB9_37
	s_branch .LBB9_38
.LBB9_36:
                                        ; implicit-def: $vgpr46
.LBB9_37:
	ds_load_b32 v46, v45
.LBB9_38:
	s_and_saveexec_b32 s5, s0
	s_cbranch_execz .LBB9_48
; %bb.39:
	v_dual_add_nc_u32 v44, -7, v0 :: v_dual_add_nc_u32 v43, -6, v0
	v_mov_b32_e32 v42, 6
	s_mov_b32 s0, exec_lo
	s_delay_alu instid0(VALU_DEP_2)
	v_cmpx_lt_u32_e32 6, v44
	s_cbranch_execz .LBB9_43
; %bb.40:
	v_and_b32_e32 v42, -8, v43
	s_mov_b32 s6, 0
	s_mov_b64 s[2:3], 13
	s_movk_i32 s7, 0x48
	s_delay_alu instid0(VALU_DEP_1)
	v_sub_nc_u32_e32 v44, 0, v42
.LBB9_41:                               ; =>This Inner Loop Header: Depth=1
	s_add_co_i32 m0, s2, -7
	v_movrels_b32_e32 v47, v12
	v_mov_b32_e32 v42, s7
	s_add_co_i32 m0, s2, -6
	s_add_co_i32 s7, s7, 32
	v_movrels_b32_e32 v56, v12
	s_add_co_i32 m0, s2, -5
	ds_load_2addr_b64 v[48:51], v42 offset1:1
	ds_load_2addr_b64 v[52:55], v42 offset0:2 offset1:3
	v_movrels_b32_e32 v42, v12
	s_add_co_i32 m0, s2, -4
	s_wait_dscnt 0x1
	v_fmac_f32_e32 v46, v47, v48
	v_movrels_b32_e32 v47, v12
	s_add_co_i32 m0, s2, -3
	s_delay_alu instid0(VALU_DEP_2) | instskip(NEXT) | instid1(VALU_DEP_1)
	v_fmac_f32_e32 v46, v56, v49
	v_fmac_f32_e32 v46, v42, v50
	v_movrels_b32_e32 v42, v12
	s_add_co_i32 m0, s2, -2
	s_delay_alu instid0(VALU_DEP_2) | instskip(SKIP_3) | instid1(VALU_DEP_2)
	v_fmac_f32_e32 v46, v47, v51
	v_movrels_b32_e32 v47, v12
	s_add_co_i32 m0, s2, -1
	s_wait_dscnt 0x0
	v_fmac_f32_e32 v46, v42, v52
	v_movrels_b32_e32 v42, v12
	s_mov_b32 m0, s2
	s_add_nc_u64 s[2:3], s[2:3], 8
	v_movrels_b32_e32 v48, v12
	v_dual_fmac_f32 v46, v47, v53 :: v_dual_add_nc_u32 v47, s2, v44
	s_add_co_i32 s8, s2, -7
	s_delay_alu instid0(VALU_DEP_1) | instskip(NEXT) | instid1(VALU_DEP_2)
	v_fmac_f32_e32 v46, v42, v54
	v_cmp_eq_u32_e32 vcc_lo, 13, v47
	s_delay_alu instid0(VALU_DEP_2) | instskip(SKIP_1) | instid1(SALU_CYCLE_1)
	v_dual_mov_b32 v42, s8 :: v_dual_fmac_f32 v46, v48, v55
	s_or_b32 s6, vcc_lo, s6
	s_and_not1_b32 exec_lo, exec_lo, s6
	s_cbranch_execnz .LBB9_41
; %bb.42:
	s_or_b32 exec_lo, exec_lo, s6
.LBB9_43:
	s_delay_alu instid0(SALU_CYCLE_1) | instskip(SKIP_3) | instid1(VALU_DEP_1)
	s_or_b32 exec_lo, exec_lo, s0
	v_and_b32_e32 v44, 7, v43
	s_mov_b32 s2, 0
	s_mov_b32 s0, exec_lo
	v_cmpx_ne_u32_e32 0, v44
	s_cbranch_execz .LBB9_47
; %bb.44:
	v_lshl_add_u32 v47, v42, 2, 48
	v_mov_b32_e32 v43, 0
.LBB9_45:                               ; =>This Inner Loop Header: Depth=1
	v_cmp_eq_u32_e32 vcc_lo, 1, v42
	ds_load_b32 v49, v47
	v_dual_add_nc_u32 v44, -1, v44 :: v_dual_add_nc_u32 v47, 4, v47
	v_cndmask_b32_e32 v48, v12, v13, vcc_lo
	v_cmp_eq_u32_e32 vcc_lo, 2, v42
	s_delay_alu instid0(VALU_DEP_2) | instskip(SKIP_1) | instid1(VALU_DEP_2)
	v_cndmask_b32_e32 v48, v48, v14, vcc_lo
	v_cmp_eq_u32_e32 vcc_lo, 3, v42
	v_cndmask_b32_e32 v48, v48, v15, vcc_lo
	v_cmp_eq_u32_e32 vcc_lo, 4, v42
	s_delay_alu instid0(VALU_DEP_2) | instskip(SKIP_1) | instid1(VALU_DEP_2)
	v_cndmask_b32_e32 v48, v48, v16, vcc_lo
	v_cmp_eq_u32_e32 vcc_lo, 5, v42
	;; [unrolled: 5-line block ×3, first 2 shown]
	v_cndmask_b32_e32 v48, v48, v19, vcc_lo
	v_cmp_eq_u32_e32 vcc_lo, 8, v42
	s_delay_alu instid0(VALU_DEP_2) | instskip(SKIP_2) | instid1(VALU_DEP_3)
	v_cndmask_b32_e32 v48, v48, v20, vcc_lo
	v_cmp_eq_u32_e32 vcc_lo, 9, v42
	v_add_nc_u64_e32 v[42:43], 1, v[42:43]
	v_cndmask_b32_e32 v48, v48, v21, vcc_lo
	v_cmp_eq_u32_e32 vcc_lo, 0, v44
	s_wait_dscnt 0x0
	s_delay_alu instid0(VALU_DEP_2) | instskip(SKIP_1) | instid1(SALU_CYCLE_1)
	v_fmac_f32_e32 v46, v48, v49
	s_or_b32 s2, vcc_lo, s2
	s_and_not1_b32 exec_lo, exec_lo, s2
	s_cbranch_execnz .LBB9_45
; %bb.46:
	s_or_b32 exec_lo, exec_lo, s2
.LBB9_47:
	s_delay_alu instid0(SALU_CYCLE_1)
	s_or_b32 exec_lo, exec_lo, s0
.LBB9_48:
	s_delay_alu instid0(SALU_CYCLE_1)
	s_or_b32 exec_lo, exec_lo, s5
	v_mov_b32_e32 v17, 0
	ds_load_b32 v17, v17 offset:20
	s_wait_dscnt 0x0
	v_mul_f32_e32 v17, v46, v17
.LBB9_49:
	s_or_b32 exec_lo, exec_lo, s4
	v_cmp_lt_u32_e64 s0, 4, v0
	ds_store_b32 v45, v16
	s_wait_dscnt 0x0
	s_barrier_signal -1
	s_barrier_wait -1
	s_and_saveexec_b32 s4, s0
	s_cbranch_execz .LBB9_65
; %bb.50:
	s_and_not1_b32 vcc_lo, exec_lo, s14
	s_cbranch_vccnz .LBB9_52
; %bb.51:
	v_cmp_eq_u32_e32 vcc_lo, 1, v0
	ds_load_b32 v43, v45
	v_cndmask_b32_e32 v42, v12, v13, vcc_lo
	v_cmp_eq_u32_e32 vcc_lo, 2, v0
	s_delay_alu instid0(VALU_DEP_2) | instskip(SKIP_1) | instid1(VALU_DEP_2)
	v_cndmask_b32_e32 v42, v42, v14, vcc_lo
	v_cmp_eq_u32_e32 vcc_lo, 3, v0
	v_cndmask_b32_e32 v42, v42, v15, vcc_lo
	v_cmp_eq_u32_e32 vcc_lo, 4, v0
	s_delay_alu instid0(VALU_DEP_2) | instskip(SKIP_1) | instid1(VALU_DEP_2)
	v_cndmask_b32_e32 v42, v42, v16, vcc_lo
	v_cmp_eq_u32_e32 vcc_lo, 5, v0
	;; [unrolled: 5-line block ×4, first 2 shown]
	v_cndmask_b32_e32 v42, v42, v21, vcc_lo
	s_wait_dscnt 0x0
	s_delay_alu instid0(VALU_DEP_1)
	v_mul_f32_e32 v46, v42, v43
	s_cbranch_execz .LBB9_53
	s_branch .LBB9_54
.LBB9_52:
                                        ; implicit-def: $vgpr46
.LBB9_53:
	ds_load_b32 v46, v45
.LBB9_54:
	s_and_saveexec_b32 s5, s1
	s_cbranch_execz .LBB9_64
; %bb.55:
	v_dual_add_nc_u32 v42, -6, v0 :: v_dual_add_nc_u32 v43, -5, v0
	s_delay_alu instid0(VALU_DEP_1)
	v_cmp_lt_u32_e32 vcc_lo, 6, v42
	v_mov_b32_e32 v42, 5
	s_and_saveexec_b32 s1, vcc_lo
	s_cbranch_execz .LBB9_59
; %bb.56:
	v_and_b32_e32 v42, -8, v43
	s_mov_b32 s6, 0
	s_mov_b64 s[2:3], 12
	s_movk_i32 s7, 0x44
	s_delay_alu instid0(VALU_DEP_1)
	v_sub_nc_u32_e32 v44, 0, v42
.LBB9_57:                               ; =>This Inner Loop Header: Depth=1
	s_add_co_i32 m0, s2, -7
	v_movrels_b32_e32 v47, v12
	v_mov_b32_e32 v42, s7
	s_add_co_i32 m0, s2, -6
	s_add_co_i32 s7, s7, 32
	v_movrels_b32_e32 v56, v12
	ds_load_2addr_b32 v[48:49], v42 offset1:1
	ds_load_2addr_b32 v[50:51], v42 offset0:2 offset1:3
	s_add_co_i32 m0, s2, -5
	s_wait_dscnt 0x1
	v_fmac_f32_e32 v46, v47, v48
	ds_load_2addr_b32 v[52:53], v42 offset0:4 offset1:5
	ds_load_2addr_b32 v[54:55], v42 offset0:6 offset1:7
	v_movrels_b32_e32 v42, v12
	s_add_co_i32 m0, s2, -4
	v_fmac_f32_e32 v46, v56, v49
	v_movrels_b32_e32 v47, v12
	s_add_co_i32 m0, s2, -3
	s_wait_dscnt 0x2
	s_delay_alu instid0(VALU_DEP_2) | instskip(SKIP_2) | instid1(VALU_DEP_2)
	v_fmac_f32_e32 v46, v42, v50
	v_movrels_b32_e32 v42, v12
	s_add_co_i32 m0, s2, -2
	v_fmac_f32_e32 v46, v47, v51
	v_movrels_b32_e32 v47, v12
	s_add_co_i32 m0, s2, -1
	s_wait_dscnt 0x1
	s_delay_alu instid0(VALU_DEP_2)
	v_fmac_f32_e32 v46, v42, v52
	v_movrels_b32_e32 v42, v12
	s_mov_b32 m0, s2
	s_add_nc_u64 s[2:3], s[2:3], 8
	v_movrels_b32_e32 v48, v12
	v_dual_fmac_f32 v46, v47, v53 :: v_dual_add_nc_u32 v47, s2, v44
	s_add_co_i32 s8, s2, -7
	s_wait_dscnt 0x0
	s_delay_alu instid0(VALU_DEP_1) | instskip(NEXT) | instid1(VALU_DEP_2)
	v_fmac_f32_e32 v46, v42, v54
	v_cmp_eq_u32_e32 vcc_lo, 12, v47
	s_delay_alu instid0(VALU_DEP_2) | instskip(SKIP_1) | instid1(SALU_CYCLE_1)
	v_dual_mov_b32 v42, s8 :: v_dual_fmac_f32 v46, v48, v55
	s_or_b32 s6, vcc_lo, s6
	s_and_not1_b32 exec_lo, exec_lo, s6
	s_cbranch_execnz .LBB9_57
; %bb.58:
	s_or_b32 exec_lo, exec_lo, s6
.LBB9_59:
	s_delay_alu instid0(SALU_CYCLE_1) | instskip(SKIP_3) | instid1(VALU_DEP_1)
	s_or_b32 exec_lo, exec_lo, s1
	v_and_b32_e32 v44, 7, v43
	s_mov_b32 s2, 0
	s_mov_b32 s1, exec_lo
	v_cmpx_ne_u32_e32 0, v44
	s_cbranch_execz .LBB9_63
; %bb.60:
	v_lshl_add_u32 v47, v42, 2, 48
	v_mov_b32_e32 v43, 0
.LBB9_61:                               ; =>This Inner Loop Header: Depth=1
	v_cmp_eq_u32_e32 vcc_lo, 1, v42
	ds_load_b32 v49, v47
	v_dual_add_nc_u32 v44, -1, v44 :: v_dual_add_nc_u32 v47, 4, v47
	v_cndmask_b32_e32 v48, v12, v13, vcc_lo
	v_cmp_eq_u32_e32 vcc_lo, 2, v42
	s_delay_alu instid0(VALU_DEP_2) | instskip(SKIP_1) | instid1(VALU_DEP_2)
	v_cndmask_b32_e32 v48, v48, v14, vcc_lo
	v_cmp_eq_u32_e32 vcc_lo, 3, v42
	v_cndmask_b32_e32 v48, v48, v15, vcc_lo
	v_cmp_eq_u32_e32 vcc_lo, 4, v42
	s_delay_alu instid0(VALU_DEP_2) | instskip(SKIP_1) | instid1(VALU_DEP_2)
	v_cndmask_b32_e32 v48, v48, v16, vcc_lo
	v_cmp_eq_u32_e32 vcc_lo, 5, v42
	;; [unrolled: 5-line block ×3, first 2 shown]
	v_cndmask_b32_e32 v48, v48, v19, vcc_lo
	v_cmp_eq_u32_e32 vcc_lo, 8, v42
	s_delay_alu instid0(VALU_DEP_2) | instskip(SKIP_2) | instid1(VALU_DEP_3)
	v_cndmask_b32_e32 v48, v48, v20, vcc_lo
	v_cmp_eq_u32_e32 vcc_lo, 9, v42
	v_add_nc_u64_e32 v[42:43], 1, v[42:43]
	v_cndmask_b32_e32 v48, v48, v21, vcc_lo
	v_cmp_eq_u32_e32 vcc_lo, 0, v44
	s_wait_dscnt 0x0
	s_delay_alu instid0(VALU_DEP_2) | instskip(SKIP_1) | instid1(SALU_CYCLE_1)
	v_fmac_f32_e32 v46, v48, v49
	s_or_b32 s2, vcc_lo, s2
	s_and_not1_b32 exec_lo, exec_lo, s2
	s_cbranch_execnz .LBB9_61
; %bb.62:
	s_or_b32 exec_lo, exec_lo, s2
.LBB9_63:
	s_delay_alu instid0(SALU_CYCLE_1)
	s_or_b32 exec_lo, exec_lo, s1
.LBB9_64:
	s_delay_alu instid0(SALU_CYCLE_1)
	s_or_b32 exec_lo, exec_lo, s5
	v_mov_b32_e32 v16, 0
	ds_load_b32 v16, v16 offset:16
	s_wait_dscnt 0x0
	v_mul_f32_e32 v16, v46, v16
.LBB9_65:
	s_or_b32 exec_lo, exec_lo, s4
	v_cmp_lt_u32_e64 s1, 3, v0
	ds_store_b32 v45, v15
	s_wait_dscnt 0x0
	s_barrier_signal -1
	s_barrier_wait -1
	s_and_saveexec_b32 s4, s1
	s_cbranch_execz .LBB9_81
; %bb.66:
	s_and_not1_b32 vcc_lo, exec_lo, s14
	s_cbranch_vccnz .LBB9_68
; %bb.67:
	v_cmp_eq_u32_e32 vcc_lo, 1, v0
	ds_load_b32 v43, v45
	v_cndmask_b32_e32 v42, v12, v13, vcc_lo
	v_cmp_eq_u32_e32 vcc_lo, 2, v0
	s_delay_alu instid0(VALU_DEP_2) | instskip(SKIP_1) | instid1(VALU_DEP_2)
	v_cndmask_b32_e32 v42, v42, v14, vcc_lo
	v_cmp_eq_u32_e32 vcc_lo, 3, v0
	v_cndmask_b32_e32 v42, v42, v15, vcc_lo
	v_cmp_eq_u32_e32 vcc_lo, 4, v0
	s_delay_alu instid0(VALU_DEP_2) | instskip(SKIP_1) | instid1(VALU_DEP_2)
	v_cndmask_b32_e32 v42, v42, v16, vcc_lo
	v_cmp_eq_u32_e32 vcc_lo, 5, v0
	;; [unrolled: 5-line block ×4, first 2 shown]
	v_cndmask_b32_e32 v42, v42, v21, vcc_lo
	s_wait_dscnt 0x0
	s_delay_alu instid0(VALU_DEP_1)
	v_mul_f32_e32 v46, v42, v43
	s_cbranch_execz .LBB9_69
	s_branch .LBB9_70
.LBB9_68:
                                        ; implicit-def: $vgpr46
.LBB9_69:
	ds_load_b32 v46, v45
.LBB9_70:
	s_and_saveexec_b32 s5, s0
	s_cbranch_execz .LBB9_80
; %bb.71:
	v_dual_add_nc_u32 v42, -5, v0 :: v_dual_add_nc_u32 v43, -4, v0
	s_delay_alu instid0(VALU_DEP_1)
	v_cmp_lt_u32_e32 vcc_lo, 6, v42
	v_mov_b32_e32 v42, 4
	s_and_saveexec_b32 s0, vcc_lo
	s_cbranch_execz .LBB9_75
; %bb.72:
	v_and_b32_e32 v42, -8, v43
	s_mov_b32 s6, 0
	s_mov_b64 s[2:3], 5
	s_mov_b32 s7, 64
	s_delay_alu instid0(VALU_DEP_1)
	v_sub_nc_u32_e32 v44, 0, v42
.LBB9_73:                               ; =>This Inner Loop Header: Depth=1
	s_add_co_i32 m0, s2, -1
	v_movrels_b32_e32 v47, v12
	v_mov_b32_e32 v42, s7
	s_mov_b32 m0, s2
	s_add_co_i32 s7, s7, 32
	v_movrels_b32_e32 v56, v12
	s_add_co_i32 m0, s2, 1
	ds_load_b128 v[48:51], v42
	ds_load_b128 v[52:55], v42 offset:16
	v_movrels_b32_e32 v42, v12
	s_add_co_i32 m0, s2, 2
	s_wait_dscnt 0x1
	v_fmac_f32_e32 v46, v47, v48
	v_movrels_b32_e32 v47, v12
	s_add_co_i32 m0, s2, 3
	s_delay_alu instid0(VALU_DEP_2) | instskip(NEXT) | instid1(VALU_DEP_1)
	v_fmac_f32_e32 v46, v56, v49
	v_fmac_f32_e32 v46, v42, v50
	v_movrels_b32_e32 v42, v12
	s_add_co_i32 m0, s2, 4
	s_delay_alu instid0(VALU_DEP_2) | instskip(SKIP_3) | instid1(VALU_DEP_2)
	v_fmac_f32_e32 v46, v47, v51
	v_movrels_b32_e32 v47, v12
	s_add_co_i32 m0, s2, 5
	s_wait_dscnt 0x0
	v_fmac_f32_e32 v46, v42, v52
	v_movrels_b32_e32 v42, v12
	s_add_co_i32 m0, s2, 6
	s_add_nc_u64 s[2:3], s[2:3], 8
	v_movrels_b32_e32 v48, v12
	v_dual_fmac_f32 v46, v47, v53 :: v_dual_add_nc_u32 v47, s2, v44
	s_add_co_i32 s8, s2, -1
	s_delay_alu instid0(VALU_DEP_1) | instskip(NEXT) | instid1(VALU_DEP_2)
	v_fmac_f32_e32 v46, v42, v54
	v_cmp_eq_u32_e32 vcc_lo, 5, v47
	s_delay_alu instid0(VALU_DEP_2) | instskip(SKIP_1) | instid1(SALU_CYCLE_1)
	v_dual_mov_b32 v42, s8 :: v_dual_fmac_f32 v46, v48, v55
	s_or_b32 s6, vcc_lo, s6
	s_and_not1_b32 exec_lo, exec_lo, s6
	s_cbranch_execnz .LBB9_73
; %bb.74:
	s_or_b32 exec_lo, exec_lo, s6
.LBB9_75:
	s_delay_alu instid0(SALU_CYCLE_1) | instskip(SKIP_3) | instid1(VALU_DEP_1)
	s_or_b32 exec_lo, exec_lo, s0
	v_and_b32_e32 v44, 7, v43
	s_mov_b32 s2, 0
	s_mov_b32 s0, exec_lo
	v_cmpx_ne_u32_e32 0, v44
	s_cbranch_execz .LBB9_79
; %bb.76:
	v_lshl_add_u32 v47, v42, 2, 48
	v_mov_b32_e32 v43, 0
.LBB9_77:                               ; =>This Inner Loop Header: Depth=1
	v_cmp_eq_u32_e32 vcc_lo, 1, v42
	ds_load_b32 v49, v47
	v_dual_add_nc_u32 v44, -1, v44 :: v_dual_add_nc_u32 v47, 4, v47
	v_cndmask_b32_e32 v48, v12, v13, vcc_lo
	v_cmp_eq_u32_e32 vcc_lo, 2, v42
	s_delay_alu instid0(VALU_DEP_2) | instskip(SKIP_1) | instid1(VALU_DEP_2)
	v_cndmask_b32_e32 v48, v48, v14, vcc_lo
	v_cmp_eq_u32_e32 vcc_lo, 3, v42
	v_cndmask_b32_e32 v48, v48, v15, vcc_lo
	v_cmp_eq_u32_e32 vcc_lo, 4, v42
	s_delay_alu instid0(VALU_DEP_2) | instskip(SKIP_1) | instid1(VALU_DEP_2)
	v_cndmask_b32_e32 v48, v48, v16, vcc_lo
	v_cmp_eq_u32_e32 vcc_lo, 5, v42
	;; [unrolled: 5-line block ×3, first 2 shown]
	v_cndmask_b32_e32 v48, v48, v19, vcc_lo
	v_cmp_eq_u32_e32 vcc_lo, 8, v42
	s_delay_alu instid0(VALU_DEP_2) | instskip(SKIP_2) | instid1(VALU_DEP_3)
	v_cndmask_b32_e32 v48, v48, v20, vcc_lo
	v_cmp_eq_u32_e32 vcc_lo, 9, v42
	v_add_nc_u64_e32 v[42:43], 1, v[42:43]
	v_cndmask_b32_e32 v48, v48, v21, vcc_lo
	v_cmp_eq_u32_e32 vcc_lo, 0, v44
	s_wait_dscnt 0x0
	s_delay_alu instid0(VALU_DEP_2) | instskip(SKIP_1) | instid1(SALU_CYCLE_1)
	v_fmac_f32_e32 v46, v48, v49
	s_or_b32 s2, vcc_lo, s2
	s_and_not1_b32 exec_lo, exec_lo, s2
	s_cbranch_execnz .LBB9_77
; %bb.78:
	s_or_b32 exec_lo, exec_lo, s2
.LBB9_79:
	s_delay_alu instid0(SALU_CYCLE_1)
	s_or_b32 exec_lo, exec_lo, s0
.LBB9_80:
	s_delay_alu instid0(SALU_CYCLE_1)
	s_or_b32 exec_lo, exec_lo, s5
	v_mov_b32_e32 v15, 0
	ds_load_b32 v15, v15 offset:12
	s_wait_dscnt 0x0
	v_mul_f32_e32 v15, v46, v15
.LBB9_81:
	s_or_b32 exec_lo, exec_lo, s4
	v_cmp_lt_u32_e64 s0, 2, v0
	ds_store_b32 v45, v14
	s_wait_dscnt 0x0
	s_barrier_signal -1
	s_barrier_wait -1
	s_and_saveexec_b32 s4, s0
	s_cbranch_execz .LBB9_97
; %bb.82:
	s_and_not1_b32 vcc_lo, exec_lo, s14
	s_cbranch_vccnz .LBB9_84
; %bb.83:
	v_cmp_eq_u32_e32 vcc_lo, 1, v0
	ds_load_b32 v43, v45
	v_cndmask_b32_e32 v42, v12, v13, vcc_lo
	v_cmp_eq_u32_e32 vcc_lo, 2, v0
	s_delay_alu instid0(VALU_DEP_2) | instskip(SKIP_1) | instid1(VALU_DEP_2)
	v_cndmask_b32_e32 v42, v42, v14, vcc_lo
	v_cmp_eq_u32_e32 vcc_lo, 3, v0
	v_cndmask_b32_e32 v42, v42, v15, vcc_lo
	v_cmp_eq_u32_e32 vcc_lo, 4, v0
	s_delay_alu instid0(VALU_DEP_2) | instskip(SKIP_1) | instid1(VALU_DEP_2)
	v_cndmask_b32_e32 v42, v42, v16, vcc_lo
	v_cmp_eq_u32_e32 vcc_lo, 5, v0
	;; [unrolled: 5-line block ×4, first 2 shown]
	v_cndmask_b32_e32 v42, v42, v21, vcc_lo
	s_wait_dscnt 0x0
	s_delay_alu instid0(VALU_DEP_1)
	v_mul_f32_e32 v46, v42, v43
	s_cbranch_execz .LBB9_85
	s_branch .LBB9_86
.LBB9_84:
                                        ; implicit-def: $vgpr46
.LBB9_85:
	ds_load_b32 v46, v45
.LBB9_86:
	s_and_saveexec_b32 s5, s1
	s_cbranch_execz .LBB9_96
; %bb.87:
	v_dual_add_nc_u32 v42, -4, v0 :: v_dual_add_nc_u32 v43, -3, v0
	s_delay_alu instid0(VALU_DEP_1)
	v_cmp_lt_u32_e32 vcc_lo, 6, v42
	v_mov_b32_e32 v42, 3
	s_and_saveexec_b32 s1, vcc_lo
	s_cbranch_execz .LBB9_91
; %bb.88:
	v_and_b32_e32 v42, -8, v43
	s_mov_b32 s6, 0
	s_mov_b64 s[2:3], 10
	s_mov_b32 s7, 60
	s_delay_alu instid0(VALU_DEP_1)
	v_sub_nc_u32_e32 v44, 0, v42
.LBB9_89:                               ; =>This Inner Loop Header: Depth=1
	s_add_co_i32 m0, s2, -7
	v_movrels_b32_e32 v47, v12
	v_mov_b32_e32 v42, s7
	s_add_co_i32 m0, s2, -6
	s_add_co_i32 s7, s7, 32
	v_movrels_b32_e32 v56, v12
	ds_load_2addr_b32 v[48:49], v42 offset1:1
	ds_load_2addr_b32 v[50:51], v42 offset0:2 offset1:3
	s_add_co_i32 m0, s2, -5
	s_wait_dscnt 0x1
	v_fmac_f32_e32 v46, v47, v48
	ds_load_2addr_b32 v[52:53], v42 offset0:4 offset1:5
	ds_load_2addr_b32 v[54:55], v42 offset0:6 offset1:7
	v_movrels_b32_e32 v42, v12
	s_add_co_i32 m0, s2, -4
	v_fmac_f32_e32 v46, v56, v49
	v_movrels_b32_e32 v47, v12
	s_add_co_i32 m0, s2, -3
	s_wait_dscnt 0x2
	s_delay_alu instid0(VALU_DEP_2) | instskip(SKIP_2) | instid1(VALU_DEP_2)
	v_fmac_f32_e32 v46, v42, v50
	v_movrels_b32_e32 v42, v12
	s_add_co_i32 m0, s2, -2
	v_fmac_f32_e32 v46, v47, v51
	v_movrels_b32_e32 v47, v12
	s_add_co_i32 m0, s2, -1
	s_wait_dscnt 0x1
	s_delay_alu instid0(VALU_DEP_2)
	v_fmac_f32_e32 v46, v42, v52
	v_movrels_b32_e32 v42, v12
	s_mov_b32 m0, s2
	s_add_nc_u64 s[2:3], s[2:3], 8
	v_movrels_b32_e32 v48, v12
	v_dual_fmac_f32 v46, v47, v53 :: v_dual_add_nc_u32 v47, s2, v44
	s_add_co_i32 s8, s2, -7
	s_wait_dscnt 0x0
	s_delay_alu instid0(VALU_DEP_1) | instskip(NEXT) | instid1(VALU_DEP_2)
	v_fmac_f32_e32 v46, v42, v54
	v_cmp_eq_u32_e32 vcc_lo, 10, v47
	s_delay_alu instid0(VALU_DEP_2) | instskip(SKIP_1) | instid1(SALU_CYCLE_1)
	v_dual_mov_b32 v42, s8 :: v_dual_fmac_f32 v46, v48, v55
	s_or_b32 s6, vcc_lo, s6
	s_and_not1_b32 exec_lo, exec_lo, s6
	s_cbranch_execnz .LBB9_89
; %bb.90:
	s_or_b32 exec_lo, exec_lo, s6
.LBB9_91:
	s_delay_alu instid0(SALU_CYCLE_1) | instskip(SKIP_3) | instid1(VALU_DEP_1)
	s_or_b32 exec_lo, exec_lo, s1
	v_and_b32_e32 v44, 7, v43
	s_mov_b32 s2, 0
	s_mov_b32 s1, exec_lo
	v_cmpx_ne_u32_e32 0, v44
	s_cbranch_execz .LBB9_95
; %bb.92:
	v_lshl_add_u32 v47, v42, 2, 48
	v_mov_b32_e32 v43, 0
.LBB9_93:                               ; =>This Inner Loop Header: Depth=1
	v_cmp_eq_u32_e32 vcc_lo, 1, v42
	ds_load_b32 v49, v47
	v_dual_add_nc_u32 v44, -1, v44 :: v_dual_add_nc_u32 v47, 4, v47
	v_cndmask_b32_e32 v48, v12, v13, vcc_lo
	v_cmp_eq_u32_e32 vcc_lo, 2, v42
	s_delay_alu instid0(VALU_DEP_2) | instskip(SKIP_1) | instid1(VALU_DEP_2)
	v_cndmask_b32_e32 v48, v48, v14, vcc_lo
	v_cmp_eq_u32_e32 vcc_lo, 3, v42
	v_cndmask_b32_e32 v48, v48, v15, vcc_lo
	v_cmp_eq_u32_e32 vcc_lo, 4, v42
	s_delay_alu instid0(VALU_DEP_2) | instskip(SKIP_1) | instid1(VALU_DEP_2)
	v_cndmask_b32_e32 v48, v48, v16, vcc_lo
	v_cmp_eq_u32_e32 vcc_lo, 5, v42
	;; [unrolled: 5-line block ×3, first 2 shown]
	v_cndmask_b32_e32 v48, v48, v19, vcc_lo
	v_cmp_eq_u32_e32 vcc_lo, 8, v42
	s_delay_alu instid0(VALU_DEP_2) | instskip(SKIP_2) | instid1(VALU_DEP_3)
	v_cndmask_b32_e32 v48, v48, v20, vcc_lo
	v_cmp_eq_u32_e32 vcc_lo, 9, v42
	v_add_nc_u64_e32 v[42:43], 1, v[42:43]
	v_cndmask_b32_e32 v48, v48, v21, vcc_lo
	v_cmp_eq_u32_e32 vcc_lo, 0, v44
	s_wait_dscnt 0x0
	s_delay_alu instid0(VALU_DEP_2) | instskip(SKIP_1) | instid1(SALU_CYCLE_1)
	v_fmac_f32_e32 v46, v48, v49
	s_or_b32 s2, vcc_lo, s2
	s_and_not1_b32 exec_lo, exec_lo, s2
	s_cbranch_execnz .LBB9_93
; %bb.94:
	s_or_b32 exec_lo, exec_lo, s2
.LBB9_95:
	s_delay_alu instid0(SALU_CYCLE_1)
	s_or_b32 exec_lo, exec_lo, s1
.LBB9_96:
	s_delay_alu instid0(SALU_CYCLE_1)
	s_or_b32 exec_lo, exec_lo, s5
	v_mov_b32_e32 v14, 0
	ds_load_b32 v14, v14 offset:8
	s_wait_dscnt 0x0
	v_mul_f32_e32 v14, v46, v14
.LBB9_97:
	s_or_b32 exec_lo, exec_lo, s4
	v_cmp_lt_u32_e64 s1, 1, v0
	ds_store_b32 v45, v13
	s_wait_dscnt 0x0
	s_barrier_signal -1
	s_barrier_wait -1
	s_and_saveexec_b32 s4, s1
	s_cbranch_execz .LBB9_113
; %bb.98:
	s_and_not1_b32 vcc_lo, exec_lo, s14
	s_cbranch_vccnz .LBB9_100
; %bb.99:
	v_cmp_eq_u32_e32 vcc_lo, 1, v0
	ds_load_b32 v43, v45
	v_cndmask_b32_e32 v42, v12, v13, vcc_lo
	v_cmp_eq_u32_e32 vcc_lo, 2, v0
	s_delay_alu instid0(VALU_DEP_2) | instskip(SKIP_1) | instid1(VALU_DEP_2)
	v_cndmask_b32_e32 v42, v42, v14, vcc_lo
	v_cmp_eq_u32_e32 vcc_lo, 3, v0
	v_cndmask_b32_e32 v42, v42, v15, vcc_lo
	v_cmp_eq_u32_e32 vcc_lo, 4, v0
	s_delay_alu instid0(VALU_DEP_2) | instskip(SKIP_1) | instid1(VALU_DEP_2)
	v_cndmask_b32_e32 v42, v42, v16, vcc_lo
	v_cmp_eq_u32_e32 vcc_lo, 5, v0
	;; [unrolled: 5-line block ×4, first 2 shown]
	v_cndmask_b32_e32 v42, v42, v21, vcc_lo
	s_wait_dscnt 0x0
	s_delay_alu instid0(VALU_DEP_1)
	v_mul_f32_e32 v46, v42, v43
	s_cbranch_execz .LBB9_101
	s_branch .LBB9_102
.LBB9_100:
                                        ; implicit-def: $vgpr46
.LBB9_101:
	ds_load_b32 v46, v45
.LBB9_102:
	s_and_saveexec_b32 s5, s0
	s_cbranch_execz .LBB9_112
; %bb.103:
	v_dual_add_nc_u32 v42, -3, v0 :: v_dual_add_nc_u32 v43, -2, v0
	s_delay_alu instid0(VALU_DEP_1)
	v_cmp_lt_u32_e32 vcc_lo, 6, v42
	v_mov_b32_e32 v42, 2
	s_and_saveexec_b32 s0, vcc_lo
	s_cbranch_execz .LBB9_107
; %bb.104:
	v_and_b32_e32 v42, -8, v43
	s_mov_b32 s6, 0
	s_mov_b64 s[2:3], 9
	s_mov_b32 s7, 56
	s_delay_alu instid0(VALU_DEP_1)
	v_sub_nc_u32_e32 v44, 0, v42
.LBB9_105:                              ; =>This Inner Loop Header: Depth=1
	s_add_co_i32 m0, s2, -7
	v_movrels_b32_e32 v47, v12
	v_mov_b32_e32 v42, s7
	s_add_co_i32 m0, s2, -6
	s_add_co_i32 s7, s7, 32
	v_movrels_b32_e32 v56, v12
	s_add_co_i32 m0, s2, -5
	ds_load_2addr_b64 v[48:51], v42 offset1:1
	ds_load_2addr_b64 v[52:55], v42 offset0:2 offset1:3
	v_movrels_b32_e32 v42, v12
	s_add_co_i32 m0, s2, -4
	s_wait_dscnt 0x1
	v_fmac_f32_e32 v46, v47, v48
	v_movrels_b32_e32 v47, v12
	s_add_co_i32 m0, s2, -3
	s_delay_alu instid0(VALU_DEP_2) | instskip(NEXT) | instid1(VALU_DEP_1)
	v_fmac_f32_e32 v46, v56, v49
	v_fmac_f32_e32 v46, v42, v50
	v_movrels_b32_e32 v42, v12
	s_add_co_i32 m0, s2, -2
	s_delay_alu instid0(VALU_DEP_2) | instskip(SKIP_3) | instid1(VALU_DEP_2)
	v_fmac_f32_e32 v46, v47, v51
	v_movrels_b32_e32 v47, v12
	s_add_co_i32 m0, s2, -1
	s_wait_dscnt 0x0
	v_fmac_f32_e32 v46, v42, v52
	v_movrels_b32_e32 v42, v12
	s_mov_b32 m0, s2
	s_add_nc_u64 s[2:3], s[2:3], 8
	v_movrels_b32_e32 v48, v12
	v_dual_fmac_f32 v46, v47, v53 :: v_dual_add_nc_u32 v47, s2, v44
	s_add_co_i32 s8, s2, -7
	s_delay_alu instid0(VALU_DEP_1) | instskip(NEXT) | instid1(VALU_DEP_2)
	v_fmac_f32_e32 v46, v42, v54
	v_cmp_eq_u32_e32 vcc_lo, 9, v47
	s_delay_alu instid0(VALU_DEP_2) | instskip(SKIP_1) | instid1(SALU_CYCLE_1)
	v_dual_mov_b32 v42, s8 :: v_dual_fmac_f32 v46, v48, v55
	s_or_b32 s6, vcc_lo, s6
	s_and_not1_b32 exec_lo, exec_lo, s6
	s_cbranch_execnz .LBB9_105
; %bb.106:
	s_or_b32 exec_lo, exec_lo, s6
.LBB9_107:
	s_delay_alu instid0(SALU_CYCLE_1) | instskip(SKIP_3) | instid1(VALU_DEP_1)
	s_or_b32 exec_lo, exec_lo, s0
	v_and_b32_e32 v44, 7, v43
	s_mov_b32 s2, 0
	s_mov_b32 s0, exec_lo
	v_cmpx_ne_u32_e32 0, v44
	s_cbranch_execz .LBB9_111
; %bb.108:
	v_lshl_add_u32 v47, v42, 2, 48
	v_mov_b32_e32 v43, 0
.LBB9_109:                              ; =>This Inner Loop Header: Depth=1
	v_cmp_eq_u32_e32 vcc_lo, 1, v42
	ds_load_b32 v49, v47
	v_dual_add_nc_u32 v44, -1, v44 :: v_dual_add_nc_u32 v47, 4, v47
	v_cndmask_b32_e32 v48, v12, v13, vcc_lo
	v_cmp_eq_u32_e32 vcc_lo, 2, v42
	s_delay_alu instid0(VALU_DEP_2) | instskip(SKIP_1) | instid1(VALU_DEP_2)
	v_cndmask_b32_e32 v48, v48, v14, vcc_lo
	v_cmp_eq_u32_e32 vcc_lo, 3, v42
	v_cndmask_b32_e32 v48, v48, v15, vcc_lo
	v_cmp_eq_u32_e32 vcc_lo, 4, v42
	s_delay_alu instid0(VALU_DEP_2) | instskip(SKIP_1) | instid1(VALU_DEP_2)
	v_cndmask_b32_e32 v48, v48, v16, vcc_lo
	v_cmp_eq_u32_e32 vcc_lo, 5, v42
	;; [unrolled: 5-line block ×3, first 2 shown]
	v_cndmask_b32_e32 v48, v48, v19, vcc_lo
	v_cmp_eq_u32_e32 vcc_lo, 8, v42
	s_delay_alu instid0(VALU_DEP_2) | instskip(SKIP_2) | instid1(VALU_DEP_3)
	v_cndmask_b32_e32 v48, v48, v20, vcc_lo
	v_cmp_eq_u32_e32 vcc_lo, 9, v42
	v_add_nc_u64_e32 v[42:43], 1, v[42:43]
	v_cndmask_b32_e32 v48, v48, v21, vcc_lo
	v_cmp_eq_u32_e32 vcc_lo, 0, v44
	s_wait_dscnt 0x0
	s_delay_alu instid0(VALU_DEP_2) | instskip(SKIP_1) | instid1(SALU_CYCLE_1)
	v_fmac_f32_e32 v46, v48, v49
	s_or_b32 s2, vcc_lo, s2
	s_and_not1_b32 exec_lo, exec_lo, s2
	s_cbranch_execnz .LBB9_109
; %bb.110:
	s_or_b32 exec_lo, exec_lo, s2
.LBB9_111:
	s_delay_alu instid0(SALU_CYCLE_1)
	s_or_b32 exec_lo, exec_lo, s0
.LBB9_112:
	s_delay_alu instid0(SALU_CYCLE_1)
	s_or_b32 exec_lo, exec_lo, s5
	v_mov_b32_e32 v13, 0
	ds_load_b32 v13, v13 offset:4
	s_wait_dscnt 0x0
	v_mul_f32_e32 v13, v46, v13
.LBB9_113:
	s_or_b32 exec_lo, exec_lo, s4
	s_mov_b32 s2, 0
	s_mov_b32 s3, exec_lo
	ds_store_b32 v45, v12
	s_wait_dscnt 0x0
	s_barrier_signal -1
	s_barrier_wait -1
	v_cmpx_ne_u32_e32 0, v0
	s_cbranch_execz .LBB9_129
; %bb.114:
	s_and_not1_b32 vcc_lo, exec_lo, s14
	s_cbranch_vccnz .LBB9_116
; %bb.115:
	v_cmp_eq_u32_e32 vcc_lo, 1, v0
	ds_load_b32 v43, v45
	v_cndmask_b32_e32 v42, v12, v13, vcc_lo
	v_cmp_eq_u32_e32 vcc_lo, 2, v0
	s_delay_alu instid0(VALU_DEP_2) | instskip(SKIP_1) | instid1(VALU_DEP_2)
	v_cndmask_b32_e32 v42, v42, v14, vcc_lo
	v_cmp_eq_u32_e32 vcc_lo, 3, v0
	v_cndmask_b32_e32 v42, v42, v15, vcc_lo
	v_cmp_eq_u32_e32 vcc_lo, 4, v0
	s_delay_alu instid0(VALU_DEP_2) | instskip(SKIP_1) | instid1(VALU_DEP_2)
	v_cndmask_b32_e32 v42, v42, v16, vcc_lo
	v_cmp_eq_u32_e32 vcc_lo, 5, v0
	;; [unrolled: 5-line block ×4, first 2 shown]
	v_cndmask_b32_e32 v42, v42, v21, vcc_lo
	s_wait_dscnt 0x0
	s_delay_alu instid0(VALU_DEP_1)
	v_mul_f32_e32 v46, v42, v43
	s_cbranch_execz .LBB9_117
	s_branch .LBB9_118
.LBB9_116:
                                        ; implicit-def: $vgpr46
.LBB9_117:
	ds_load_b32 v46, v45
.LBB9_118:
	s_and_saveexec_b32 s4, s1
	s_cbranch_execz .LBB9_128
; %bb.119:
	v_dual_add_nc_u32 v42, -2, v0 :: v_dual_add_nc_u32 v43, -1, v0
	s_delay_alu instid0(VALU_DEP_1)
	v_cmp_lt_u32_e32 vcc_lo, 6, v42
	v_mov_b32_e32 v42, 1
	s_and_saveexec_b32 s5, vcc_lo
	s_cbranch_execz .LBB9_123
; %bb.120:
	v_and_b32_e32 v42, -8, v43
	s_mov_b32 s6, 0
	s_mov_b64 s[0:1], 8
	s_mov_b32 s7, 52
	s_delay_alu instid0(VALU_DEP_1)
	v_sub_nc_u32_e32 v44, 0, v42
.LBB9_121:                              ; =>This Inner Loop Header: Depth=1
	s_add_co_i32 m0, s0, -7
	v_movrels_b32_e32 v47, v12
	v_mov_b32_e32 v42, s7
	s_add_co_i32 m0, s0, -6
	s_add_co_i32 s7, s7, 32
	v_movrels_b32_e32 v56, v12
	ds_load_2addr_b32 v[48:49], v42 offset1:1
	ds_load_2addr_b32 v[50:51], v42 offset0:2 offset1:3
	s_add_co_i32 m0, s0, -5
	s_wait_dscnt 0x1
	v_fmac_f32_e32 v46, v47, v48
	ds_load_2addr_b32 v[52:53], v42 offset0:4 offset1:5
	ds_load_2addr_b32 v[54:55], v42 offset0:6 offset1:7
	v_movrels_b32_e32 v42, v12
	s_add_co_i32 m0, s0, -4
	v_fmac_f32_e32 v46, v56, v49
	v_movrels_b32_e32 v47, v12
	s_add_co_i32 m0, s0, -3
	s_wait_dscnt 0x2
	s_delay_alu instid0(VALU_DEP_2) | instskip(SKIP_2) | instid1(VALU_DEP_2)
	v_fmac_f32_e32 v46, v42, v50
	v_movrels_b32_e32 v42, v12
	s_add_co_i32 m0, s0, -2
	v_fmac_f32_e32 v46, v47, v51
	v_movrels_b32_e32 v47, v12
	s_add_co_i32 m0, s0, -1
	s_wait_dscnt 0x1
	s_delay_alu instid0(VALU_DEP_2)
	v_fmac_f32_e32 v46, v42, v52
	v_movrels_b32_e32 v42, v12
	s_mov_b32 m0, s0
	s_add_nc_u64 s[0:1], s[0:1], 8
	v_movrels_b32_e32 v48, v12
	v_dual_fmac_f32 v46, v47, v53 :: v_dual_add_nc_u32 v47, s0, v44
	s_add_co_i32 s8, s0, -7
	s_wait_dscnt 0x0
	s_delay_alu instid0(VALU_DEP_1) | instskip(NEXT) | instid1(VALU_DEP_2)
	v_fmac_f32_e32 v46, v42, v54
	v_cmp_eq_u32_e32 vcc_lo, 8, v47
	s_delay_alu instid0(VALU_DEP_2) | instskip(SKIP_1) | instid1(SALU_CYCLE_1)
	v_dual_mov_b32 v42, s8 :: v_dual_fmac_f32 v46, v48, v55
	s_or_b32 s6, vcc_lo, s6
	s_and_not1_b32 exec_lo, exec_lo, s6
	s_cbranch_execnz .LBB9_121
; %bb.122:
	s_or_b32 exec_lo, exec_lo, s6
.LBB9_123:
	s_delay_alu instid0(SALU_CYCLE_1) | instskip(SKIP_3) | instid1(VALU_DEP_1)
	s_or_b32 exec_lo, exec_lo, s5
	v_and_b32_e32 v44, 7, v43
	s_mov_b32 s1, 0
	s_mov_b32 s0, exec_lo
	v_cmpx_ne_u32_e32 0, v44
	s_cbranch_execz .LBB9_127
; %bb.124:
	v_lshl_add_u32 v47, v42, 2, 48
	v_mov_b32_e32 v43, 0
.LBB9_125:                              ; =>This Inner Loop Header: Depth=1
	v_cmp_eq_u32_e32 vcc_lo, 1, v42
	ds_load_b32 v49, v47
	v_dual_add_nc_u32 v44, -1, v44 :: v_dual_add_nc_u32 v47, 4, v47
	v_cndmask_b32_e32 v48, v12, v13, vcc_lo
	v_cmp_eq_u32_e32 vcc_lo, 2, v42
	s_delay_alu instid0(VALU_DEP_2) | instskip(SKIP_1) | instid1(VALU_DEP_2)
	v_cndmask_b32_e32 v48, v48, v14, vcc_lo
	v_cmp_eq_u32_e32 vcc_lo, 3, v42
	v_cndmask_b32_e32 v48, v48, v15, vcc_lo
	v_cmp_eq_u32_e32 vcc_lo, 4, v42
	s_delay_alu instid0(VALU_DEP_2) | instskip(SKIP_1) | instid1(VALU_DEP_2)
	v_cndmask_b32_e32 v48, v48, v16, vcc_lo
	v_cmp_eq_u32_e32 vcc_lo, 5, v42
	;; [unrolled: 5-line block ×3, first 2 shown]
	v_cndmask_b32_e32 v48, v48, v19, vcc_lo
	v_cmp_eq_u32_e32 vcc_lo, 8, v42
	s_delay_alu instid0(VALU_DEP_2) | instskip(SKIP_2) | instid1(VALU_DEP_3)
	v_cndmask_b32_e32 v48, v48, v20, vcc_lo
	v_cmp_eq_u32_e32 vcc_lo, 9, v42
	v_add_nc_u64_e32 v[42:43], 1, v[42:43]
	v_cndmask_b32_e32 v48, v48, v21, vcc_lo
	v_cmp_eq_u32_e32 vcc_lo, 0, v44
	s_wait_dscnt 0x0
	s_delay_alu instid0(VALU_DEP_2) | instskip(SKIP_1) | instid1(SALU_CYCLE_1)
	v_fmac_f32_e32 v46, v48, v49
	s_or_b32 s1, vcc_lo, s1
	s_and_not1_b32 exec_lo, exec_lo, s1
	s_cbranch_execnz .LBB9_125
; %bb.126:
	s_or_b32 exec_lo, exec_lo, s1
.LBB9_127:
	s_delay_alu instid0(SALU_CYCLE_1)
	s_or_b32 exec_lo, exec_lo, s0
.LBB9_128:
	s_delay_alu instid0(SALU_CYCLE_1)
	s_or_b32 exec_lo, exec_lo, s4
	v_mov_b32_e32 v12, 0
	ds_load_b32 v12, v12
	s_wait_dscnt 0x0
	v_mul_f32_e32 v12, v46, v12
.LBB9_129:
	s_or_b32 exec_lo, exec_lo, s3
	s_delay_alu instid0(SALU_CYCLE_1)
	s_and_b32 vcc_lo, exec_lo, s2
	s_cbranch_vccz .LBB9_223
.LBB9_130:
	v_cmp_eq_u32_e64 s0, 0, v0
	s_wait_loadcnt 0x9
	ds_store_b32 v45, v3
	s_wait_loadcnt_dscnt 0x0
	s_barrier_signal -1
	s_barrier_wait -1
	s_and_saveexec_b32 s1, s0
	s_cbranch_execz .LBB9_136
; %bb.131:
	s_and_b32 vcc_lo, exec_lo, s14
	s_cbranch_vccz .LBB9_133
; %bb.132:
	v_cmp_eq_u32_e32 vcc_lo, 1, v0
	ds_load_b32 v12, v45
	v_cndmask_b32_e32 v3, v2, v3, vcc_lo
	v_cmp_eq_u32_e32 vcc_lo, 2, v0
	s_delay_alu instid0(VALU_DEP_2) | instskip(SKIP_1) | instid1(VALU_DEP_2)
	v_cndmask_b32_e32 v3, v3, v4, vcc_lo
	v_cmp_eq_u32_e32 vcc_lo, 3, v0
	v_cndmask_b32_e32 v3, v3, v5, vcc_lo
	v_cmp_eq_u32_e32 vcc_lo, 4, v0
	s_delay_alu instid0(VALU_DEP_2) | instskip(SKIP_1) | instid1(VALU_DEP_2)
	v_cndmask_b32_e32 v3, v3, v6, vcc_lo
	v_cmp_eq_u32_e32 vcc_lo, 5, v0
	v_cndmask_b32_e32 v3, v3, v7, vcc_lo
	v_cmp_eq_u32_e32 vcc_lo, 6, v0
	s_delay_alu instid0(VALU_DEP_2) | instskip(SKIP_1) | instid1(VALU_DEP_2)
	v_cndmask_b32_e32 v3, v3, v8, vcc_lo
	v_cmp_eq_u32_e32 vcc_lo, 7, v0
	v_cndmask_b32_e32 v3, v3, v9, vcc_lo
	v_cmp_eq_u32_e32 vcc_lo, 8, v0
	s_delay_alu instid0(VALU_DEP_2) | instskip(SKIP_1) | instid1(VALU_DEP_2)
	v_cndmask_b32_e32 v3, v3, v10, vcc_lo
	v_cmp_eq_u32_e32 vcc_lo, 9, v0
	v_cndmask_b32_e32 v3, v3, v11, vcc_lo
	s_wait_dscnt 0x0
	s_delay_alu instid0(VALU_DEP_1)
	v_mul_f32_e32 v3, v3, v12
	s_cbranch_execz .LBB9_134
	s_branch .LBB9_135
.LBB9_133:
                                        ; implicit-def: $vgpr3
.LBB9_134:
	ds_load_b32 v3, v45
.LBB9_135:
	v_mov_b32_e32 v12, 0
	ds_load_b32 v12, v12 offset:4
	s_wait_dscnt 0x0
	v_mul_f32_e32 v3, v3, v12
.LBB9_136:
	s_or_b32 exec_lo, exec_lo, s1
	v_cmp_gt_u32_e64 s1, 2, v0
	v_cndmask_b32_e64 v15, 0, 1, s14
	ds_store_b32 v45, v4
	s_wait_dscnt 0x0
	s_barrier_signal -1
	s_barrier_wait -1
	s_and_saveexec_b32 s2, s1
	s_cbranch_execz .LBB9_142
; %bb.137:
	s_and_not1_b32 vcc_lo, exec_lo, s14
	s_cbranch_vccnz .LBB9_139
; %bb.138:
	v_cmp_eq_u32_e32 vcc_lo, 1, v0
	v_cndmask_b32_e32 v12, v2, v3, vcc_lo
	v_cmp_eq_u32_e32 vcc_lo, 2, v0
	s_delay_alu instid0(VALU_DEP_2) | instskip(SKIP_4) | instid1(VALU_DEP_2)
	v_cndmask_b32_e32 v4, v12, v4, vcc_lo
	v_cmp_eq_u32_e32 vcc_lo, 3, v0
	ds_load_b32 v12, v45
	v_cndmask_b32_e32 v4, v4, v5, vcc_lo
	v_cmp_eq_u32_e32 vcc_lo, 4, v0
	v_cndmask_b32_e32 v4, v4, v6, vcc_lo
	v_cmp_eq_u32_e32 vcc_lo, 5, v0
	s_delay_alu instid0(VALU_DEP_2) | instskip(SKIP_1) | instid1(VALU_DEP_2)
	v_cndmask_b32_e32 v4, v4, v7, vcc_lo
	v_cmp_eq_u32_e32 vcc_lo, 6, v0
	v_cndmask_b32_e32 v4, v4, v8, vcc_lo
	v_cmp_eq_u32_e32 vcc_lo, 7, v0
	s_delay_alu instid0(VALU_DEP_2) | instskip(SKIP_1) | instid1(VALU_DEP_2)
	v_cndmask_b32_e32 v4, v4, v9, vcc_lo
	v_cmp_eq_u32_e32 vcc_lo, 8, v0
	v_cndmask_b32_e32 v4, v4, v10, vcc_lo
	v_cmp_eq_u32_e32 vcc_lo, 9, v0
	s_delay_alu instid0(VALU_DEP_2) | instskip(SKIP_1) | instid1(VALU_DEP_1)
	v_cndmask_b32_e32 v4, v4, v11, vcc_lo
	s_wait_dscnt 0x0
	v_mul_f32_e32 v4, v4, v12
	s_cbranch_execz .LBB9_140
	s_branch .LBB9_141
.LBB9_139:
                                        ; implicit-def: $vgpr4
.LBB9_140:
	ds_load_b32 v4, v45
.LBB9_141:
	v_mov_b32_e32 v12, 0
	ds_load_2addr_b32 v[12:13], v12 offset0:2 offset1:13
	s_wait_dscnt 0x0
	v_fma_f32 v13, v3, v13, v4
	s_delay_alu instid0(VALU_DEP_1) | instskip(NEXT) | instid1(VALU_DEP_1)
	v_cndmask_b32_e64 v4, v4, v13, s0
	v_mul_f32_e32 v4, v4, v12
.LBB9_142:
	s_or_b32 exec_lo, exec_lo, s2
	v_add_nc_u32_e32 v14, 1, v0
	s_mov_b32 s2, exec_lo
	ds_store_b32 v45, v5
	s_wait_dscnt 0x0
	s_barrier_signal -1
	s_barrier_wait -1
	v_cmpx_gt_u32_e32 3, v0
	s_cbranch_execz .LBB9_150
; %bb.143:
	v_cmp_ne_u32_e32 vcc_lo, 1, v15
	s_cbranch_vccnz .LBB9_145
; %bb.144:
	v_cmp_eq_u32_e32 vcc_lo, 1, v0
	ds_load_b32 v13, v45
	v_cndmask_b32_e32 v12, v2, v3, vcc_lo
	v_cmp_eq_u32_e32 vcc_lo, 2, v0
	s_delay_alu instid0(VALU_DEP_2) | instskip(SKIP_1) | instid1(VALU_DEP_2)
	v_cndmask_b32_e32 v12, v12, v4, vcc_lo
	v_cmp_eq_u32_e32 vcc_lo, 3, v0
	v_cndmask_b32_e32 v12, v12, v5, vcc_lo
	v_cmp_eq_u32_e32 vcc_lo, 4, v0
	s_delay_alu instid0(VALU_DEP_2) | instskip(SKIP_1) | instid1(VALU_DEP_2)
	v_cndmask_b32_e32 v12, v12, v6, vcc_lo
	v_cmp_eq_u32_e32 vcc_lo, 5, v0
	;; [unrolled: 5-line block ×4, first 2 shown]
	v_cndmask_b32_e32 v12, v12, v11, vcc_lo
	s_wait_dscnt 0x0
	s_delay_alu instid0(VALU_DEP_1)
	v_mul_f32_e32 v12, v12, v13
	s_cbranch_execz .LBB9_146
	s_branch .LBB9_147
.LBB9_145:
                                        ; implicit-def: $vgpr12
.LBB9_146:
	ds_load_b32 v12, v45
.LBB9_147:
	s_mov_b32 s3, exec_lo
	v_cmpx_ne_u32_e32 2, v0
	s_cbranch_execz .LBB9_149
; %bb.148:
	v_cmp_eq_u32_e32 vcc_lo, 1, v14
	v_dual_mov_b32 v16, 0 :: v_dual_cndmask_b32 v13, v2, v3
	v_cmp_eq_u32_e32 vcc_lo, 2, v14
	ds_load_b32 v16, v16 offset:56
	v_cndmask_b32_e32 v13, v13, v4, vcc_lo
	v_cmp_eq_u32_e32 vcc_lo, 3, v14
	s_delay_alu instid0(VALU_DEP_2) | instskip(SKIP_4) | instid1(VALU_DEP_2)
	v_cndmask_b32_e32 v5, v13, v5, vcc_lo
	v_cmp_eq_u32_e32 vcc_lo, 4, v14
	ds_load_b32 v13, v45 offset:4
	v_cndmask_b32_e32 v5, v5, v6, vcc_lo
	v_cmp_eq_u32_e32 vcc_lo, 5, v14
	v_cndmask_b32_e32 v5, v5, v7, vcc_lo
	v_cmp_eq_u32_e32 vcc_lo, 6, v14
	s_delay_alu instid0(VALU_DEP_2) | instskip(SKIP_1) | instid1(VALU_DEP_2)
	v_cndmask_b32_e32 v5, v5, v8, vcc_lo
	v_cmp_eq_u32_e32 vcc_lo, 7, v14
	v_cndmask_b32_e32 v5, v5, v9, vcc_lo
	v_cmp_eq_u32_e32 vcc_lo, 8, v14
	s_delay_alu instid0(VALU_DEP_2) | instskip(SKIP_1) | instid1(VALU_DEP_2)
	v_cndmask_b32_e32 v5, v5, v10, vcc_lo
	v_cmp_eq_u32_e32 vcc_lo, 9, v14
	v_cndmask_b32_e32 v5, v5, v11, vcc_lo
	s_wait_dscnt 0x0
	s_delay_alu instid0(VALU_DEP_1) | instskip(NEXT) | instid1(VALU_DEP_1)
	v_fmac_f32_e32 v12, v5, v13
	v_fma_f32 v5, v4, v16, v12
	s_delay_alu instid0(VALU_DEP_1)
	v_cndmask_b32_e64 v12, v12, v5, s0
.LBB9_149:
	s_or_b32 exec_lo, exec_lo, s3
	v_mov_b32_e32 v5, 0
	ds_load_b32 v5, v5 offset:12
	s_wait_dscnt 0x0
	v_mul_f32_e32 v5, v12, v5
.LBB9_150:
	s_or_b32 exec_lo, exec_lo, s2
	v_cmp_gt_u32_e64 s2, 4, v0
	ds_store_b32 v45, v6
	s_wait_dscnt 0x0
	s_barrier_signal -1
	s_barrier_wait -1
	s_and_saveexec_b32 s3, s2
	s_cbranch_execz .LBB9_160
; %bb.151:
	v_cmp_ne_u32_e32 vcc_lo, 1, v15
	s_cbranch_vccnz .LBB9_153
; %bb.152:
	v_cmp_eq_u32_e32 vcc_lo, 1, v0
	ds_load_b32 v13, v45
	v_cndmask_b32_e32 v12, v2, v3, vcc_lo
	v_cmp_eq_u32_e32 vcc_lo, 2, v0
	s_delay_alu instid0(VALU_DEP_2) | instskip(SKIP_1) | instid1(VALU_DEP_2)
	v_cndmask_b32_e32 v12, v12, v4, vcc_lo
	v_cmp_eq_u32_e32 vcc_lo, 3, v0
	v_cndmask_b32_e32 v12, v12, v5, vcc_lo
	v_cmp_eq_u32_e32 vcc_lo, 4, v0
	s_delay_alu instid0(VALU_DEP_2) | instskip(SKIP_1) | instid1(VALU_DEP_2)
	v_cndmask_b32_e32 v12, v12, v6, vcc_lo
	v_cmp_eq_u32_e32 vcc_lo, 5, v0
	;; [unrolled: 5-line block ×4, first 2 shown]
	v_cndmask_b32_e32 v12, v12, v11, vcc_lo
	s_wait_dscnt 0x0
	s_delay_alu instid0(VALU_DEP_1)
	v_mul_f32_e32 v16, v12, v13
	s_cbranch_execz .LBB9_154
	s_branch .LBB9_155
.LBB9_153:
                                        ; implicit-def: $vgpr16
.LBB9_154:
	ds_load_b32 v16, v45
.LBB9_155:
	s_mov_b32 s4, exec_lo
	v_cmpx_ne_u32_e32 3, v0
	s_cbranch_execz .LBB9_159
; %bb.156:
	v_mov_b64_e32 v[12:13], v[0:1]
	v_lshl_add_u32 v17, v0, 2, 52
	s_mov_b32 s5, 0
.LBB9_157:                              ; =>This Inner Loop Header: Depth=1
	s_delay_alu instid0(VALU_DEP_2)
	v_add_nc_u64_e32 v[12:13], 1, v[12:13]
	ds_load_b32 v19, v17
	v_add_nc_u32_e32 v17, 4, v17
	v_cmp_eq_u32_e32 vcc_lo, 1, v12
	v_cndmask_b32_e32 v18, v2, v3, vcc_lo
	v_cmp_eq_u32_e32 vcc_lo, 2, v12
	s_delay_alu instid0(VALU_DEP_2) | instskip(SKIP_1) | instid1(VALU_DEP_2)
	v_cndmask_b32_e32 v18, v18, v4, vcc_lo
	v_cmp_eq_u32_e32 vcc_lo, 3, v12
	v_cndmask_b32_e32 v18, v18, v5, vcc_lo
	v_cmp_eq_u32_e32 vcc_lo, 4, v12
	s_delay_alu instid0(VALU_DEP_2) | instskip(SKIP_1) | instid1(VALU_DEP_2)
	v_cndmask_b32_e32 v18, v18, v6, vcc_lo
	;; [unrolled: 5-line block ×4, first 2 shown]
	v_cmp_eq_u32_e32 vcc_lo, 9, v12
	v_cndmask_b32_e32 v18, v18, v11, vcc_lo
	v_cmp_lt_u32_e32 vcc_lo, 2, v12
	s_wait_dscnt 0x0
	s_delay_alu instid0(VALU_DEP_2) | instskip(SKIP_1) | instid1(SALU_CYCLE_1)
	v_fmac_f32_e32 v16, v18, v19
	s_or_b32 s5, vcc_lo, s5
	s_and_not1_b32 exec_lo, exec_lo, s5
	s_cbranch_execnz .LBB9_157
; %bb.158:
	s_or_b32 exec_lo, exec_lo, s5
.LBB9_159:
	s_delay_alu instid0(SALU_CYCLE_1)
	s_or_b32 exec_lo, exec_lo, s4
	v_mov_b32_e32 v6, 0
	ds_load_b32 v6, v6 offset:16
	s_wait_dscnt 0x0
	v_mul_f32_e32 v6, v16, v6
.LBB9_160:
	s_or_b32 exec_lo, exec_lo, s3
	s_delay_alu instid0(SALU_CYCLE_1)
	s_mov_b32 s3, exec_lo
	ds_store_b32 v45, v7
	s_wait_dscnt 0x0
	s_barrier_signal -1
	s_barrier_wait -1
	v_cmpx_gt_u32_e32 5, v0
	s_cbranch_execz .LBB9_170
; %bb.161:
	v_cmp_ne_u32_e32 vcc_lo, 1, v15
	s_cbranch_vccnz .LBB9_163
; %bb.162:
	v_cmp_eq_u32_e32 vcc_lo, 1, v0
	ds_load_b32 v13, v45
	v_cndmask_b32_e32 v12, v2, v3, vcc_lo
	v_cmp_eq_u32_e32 vcc_lo, 2, v0
	s_delay_alu instid0(VALU_DEP_2) | instskip(SKIP_1) | instid1(VALU_DEP_2)
	v_cndmask_b32_e32 v12, v12, v4, vcc_lo
	v_cmp_eq_u32_e32 vcc_lo, 3, v0
	v_cndmask_b32_e32 v12, v12, v5, vcc_lo
	v_cmp_eq_u32_e32 vcc_lo, 4, v0
	s_delay_alu instid0(VALU_DEP_2) | instskip(SKIP_1) | instid1(VALU_DEP_2)
	v_cndmask_b32_e32 v12, v12, v6, vcc_lo
	v_cmp_eq_u32_e32 vcc_lo, 5, v0
	;; [unrolled: 5-line block ×4, first 2 shown]
	v_cndmask_b32_e32 v12, v12, v11, vcc_lo
	s_wait_dscnt 0x0
	s_delay_alu instid0(VALU_DEP_1)
	v_mul_f32_e32 v16, v12, v13
	s_cbranch_execz .LBB9_164
	s_branch .LBB9_165
.LBB9_163:
                                        ; implicit-def: $vgpr16
.LBB9_164:
	ds_load_b32 v16, v45
.LBB9_165:
	s_mov_b32 s4, exec_lo
	v_cmpx_ne_u32_e32 4, v0
	s_cbranch_execz .LBB9_169
; %bb.166:
	v_mov_b64_e32 v[12:13], v[0:1]
	v_lshl_add_u32 v17, v0, 2, 52
	s_mov_b32 s5, 0
.LBB9_167:                              ; =>This Inner Loop Header: Depth=1
	s_delay_alu instid0(VALU_DEP_2)
	v_add_nc_u64_e32 v[12:13], 1, v[12:13]
	ds_load_b32 v19, v17
	v_add_nc_u32_e32 v17, 4, v17
	v_cmp_eq_u32_e32 vcc_lo, 1, v12
	v_cndmask_b32_e32 v18, v2, v3, vcc_lo
	v_cmp_eq_u32_e32 vcc_lo, 2, v12
	s_delay_alu instid0(VALU_DEP_2) | instskip(SKIP_1) | instid1(VALU_DEP_2)
	v_cndmask_b32_e32 v18, v18, v4, vcc_lo
	v_cmp_eq_u32_e32 vcc_lo, 3, v12
	v_cndmask_b32_e32 v18, v18, v5, vcc_lo
	v_cmp_eq_u32_e32 vcc_lo, 4, v12
	s_delay_alu instid0(VALU_DEP_2) | instskip(SKIP_1) | instid1(VALU_DEP_2)
	v_cndmask_b32_e32 v18, v18, v6, vcc_lo
	;; [unrolled: 5-line block ×4, first 2 shown]
	v_cmp_eq_u32_e32 vcc_lo, 9, v12
	v_cndmask_b32_e32 v18, v18, v11, vcc_lo
	v_cmp_lt_u32_e32 vcc_lo, 3, v12
	s_wait_dscnt 0x0
	s_delay_alu instid0(VALU_DEP_2) | instskip(SKIP_1) | instid1(SALU_CYCLE_1)
	v_fmac_f32_e32 v16, v18, v19
	s_or_b32 s5, vcc_lo, s5
	s_and_not1_b32 exec_lo, exec_lo, s5
	s_cbranch_execnz .LBB9_167
; %bb.168:
	s_or_b32 exec_lo, exec_lo, s5
.LBB9_169:
	s_delay_alu instid0(SALU_CYCLE_1)
	s_or_b32 exec_lo, exec_lo, s4
	v_mov_b32_e32 v7, 0
	ds_load_b32 v7, v7 offset:20
	s_wait_dscnt 0x0
	v_mul_f32_e32 v7, v16, v7
.LBB9_170:
	s_or_b32 exec_lo, exec_lo, s3
	v_cmp_gt_u32_e64 s3, 6, v0
	ds_store_b32 v45, v8
	s_wait_dscnt 0x0
	s_barrier_signal -1
	s_barrier_wait -1
	s_and_saveexec_b32 s4, s3
	s_cbranch_execz .LBB9_180
; %bb.171:
	v_cmp_ne_u32_e32 vcc_lo, 1, v15
	s_cbranch_vccnz .LBB9_173
; %bb.172:
	v_cmp_eq_u32_e32 vcc_lo, 1, v0
	ds_load_b32 v13, v45
	v_cndmask_b32_e32 v12, v2, v3, vcc_lo
	v_cmp_eq_u32_e32 vcc_lo, 2, v0
	s_delay_alu instid0(VALU_DEP_2) | instskip(SKIP_1) | instid1(VALU_DEP_2)
	v_cndmask_b32_e32 v12, v12, v4, vcc_lo
	v_cmp_eq_u32_e32 vcc_lo, 3, v0
	v_cndmask_b32_e32 v12, v12, v5, vcc_lo
	v_cmp_eq_u32_e32 vcc_lo, 4, v0
	s_delay_alu instid0(VALU_DEP_2) | instskip(SKIP_1) | instid1(VALU_DEP_2)
	v_cndmask_b32_e32 v12, v12, v6, vcc_lo
	v_cmp_eq_u32_e32 vcc_lo, 5, v0
	;; [unrolled: 5-line block ×4, first 2 shown]
	v_cndmask_b32_e32 v12, v12, v11, vcc_lo
	s_wait_dscnt 0x0
	s_delay_alu instid0(VALU_DEP_1)
	v_mul_f32_e32 v16, v12, v13
	s_cbranch_execz .LBB9_174
	s_branch .LBB9_175
.LBB9_173:
                                        ; implicit-def: $vgpr16
.LBB9_174:
	ds_load_b32 v16, v45
.LBB9_175:
	s_mov_b32 s5, exec_lo
	v_cmpx_ne_u32_e32 5, v0
	s_cbranch_execz .LBB9_179
; %bb.176:
	v_mov_b64_e32 v[12:13], v[0:1]
	v_lshl_add_u32 v17, v0, 2, 52
	s_mov_b32 s6, 0
.LBB9_177:                              ; =>This Inner Loop Header: Depth=1
	s_delay_alu instid0(VALU_DEP_2)
	v_add_nc_u64_e32 v[12:13], 1, v[12:13]
	ds_load_b32 v19, v17
	v_add_nc_u32_e32 v17, 4, v17
	v_cmp_eq_u32_e32 vcc_lo, 1, v12
	v_cndmask_b32_e32 v18, v2, v3, vcc_lo
	v_cmp_eq_u32_e32 vcc_lo, 2, v12
	s_delay_alu instid0(VALU_DEP_2) | instskip(SKIP_1) | instid1(VALU_DEP_2)
	v_cndmask_b32_e32 v18, v18, v4, vcc_lo
	v_cmp_eq_u32_e32 vcc_lo, 3, v12
	v_cndmask_b32_e32 v18, v18, v5, vcc_lo
	v_cmp_eq_u32_e32 vcc_lo, 4, v12
	s_delay_alu instid0(VALU_DEP_2) | instskip(SKIP_1) | instid1(VALU_DEP_2)
	v_cndmask_b32_e32 v18, v18, v6, vcc_lo
	;; [unrolled: 5-line block ×4, first 2 shown]
	v_cmp_eq_u32_e32 vcc_lo, 9, v12
	v_cndmask_b32_e32 v18, v18, v11, vcc_lo
	v_cmp_lt_u32_e32 vcc_lo, 4, v12
	s_wait_dscnt 0x0
	s_delay_alu instid0(VALU_DEP_2) | instskip(SKIP_1) | instid1(SALU_CYCLE_1)
	v_fmac_f32_e32 v16, v18, v19
	s_or_b32 s6, vcc_lo, s6
	s_and_not1_b32 exec_lo, exec_lo, s6
	s_cbranch_execnz .LBB9_177
; %bb.178:
	s_or_b32 exec_lo, exec_lo, s6
.LBB9_179:
	s_delay_alu instid0(SALU_CYCLE_1)
	s_or_b32 exec_lo, exec_lo, s5
	v_mov_b32_e32 v8, 0
	ds_load_b32 v8, v8 offset:24
	s_wait_dscnt 0x0
	v_mul_f32_e32 v8, v16, v8
.LBB9_180:
	s_or_b32 exec_lo, exec_lo, s4
	s_delay_alu instid0(SALU_CYCLE_1)
	s_mov_b32 s4, exec_lo
	ds_store_b32 v45, v9
	s_wait_dscnt 0x0
	s_barrier_signal -1
	s_barrier_wait -1
	v_cmpx_gt_u32_e32 7, v0
	s_cbranch_execz .LBB9_190
; %bb.181:
	v_cmp_ne_u32_e32 vcc_lo, 1, v15
	s_cbranch_vccnz .LBB9_183
; %bb.182:
	v_cmp_eq_u32_e32 vcc_lo, 1, v0
	ds_load_b32 v13, v45
	v_cndmask_b32_e32 v12, v2, v3, vcc_lo
	v_cmp_eq_u32_e32 vcc_lo, 2, v0
	s_delay_alu instid0(VALU_DEP_2) | instskip(SKIP_1) | instid1(VALU_DEP_2)
	v_cndmask_b32_e32 v12, v12, v4, vcc_lo
	v_cmp_eq_u32_e32 vcc_lo, 3, v0
	v_cndmask_b32_e32 v12, v12, v5, vcc_lo
	v_cmp_eq_u32_e32 vcc_lo, 4, v0
	s_delay_alu instid0(VALU_DEP_2) | instskip(SKIP_1) | instid1(VALU_DEP_2)
	v_cndmask_b32_e32 v12, v12, v6, vcc_lo
	v_cmp_eq_u32_e32 vcc_lo, 5, v0
	;; [unrolled: 5-line block ×4, first 2 shown]
	v_cndmask_b32_e32 v12, v12, v11, vcc_lo
	s_wait_dscnt 0x0
	s_delay_alu instid0(VALU_DEP_1)
	v_mul_f32_e32 v16, v12, v13
	s_cbranch_execz .LBB9_184
	s_branch .LBB9_185
.LBB9_183:
                                        ; implicit-def: $vgpr16
.LBB9_184:
	ds_load_b32 v16, v45
.LBB9_185:
	s_mov_b32 s5, exec_lo
	v_cmpx_ne_u32_e32 6, v0
	s_cbranch_execz .LBB9_189
; %bb.186:
	v_mov_b64_e32 v[12:13], v[0:1]
	v_lshl_add_u32 v17, v0, 2, 52
	s_mov_b32 s6, 0
.LBB9_187:                              ; =>This Inner Loop Header: Depth=1
	s_delay_alu instid0(VALU_DEP_2)
	v_add_nc_u64_e32 v[12:13], 1, v[12:13]
	ds_load_b32 v19, v17
	v_add_nc_u32_e32 v17, 4, v17
	v_cmp_eq_u32_e32 vcc_lo, 1, v12
	v_cndmask_b32_e32 v18, v2, v3, vcc_lo
	v_cmp_eq_u32_e32 vcc_lo, 2, v12
	s_delay_alu instid0(VALU_DEP_2) | instskip(SKIP_1) | instid1(VALU_DEP_2)
	v_cndmask_b32_e32 v18, v18, v4, vcc_lo
	v_cmp_eq_u32_e32 vcc_lo, 3, v12
	v_cndmask_b32_e32 v18, v18, v5, vcc_lo
	v_cmp_eq_u32_e32 vcc_lo, 4, v12
	s_delay_alu instid0(VALU_DEP_2) | instskip(SKIP_1) | instid1(VALU_DEP_2)
	v_cndmask_b32_e32 v18, v18, v6, vcc_lo
	;; [unrolled: 5-line block ×4, first 2 shown]
	v_cmp_eq_u32_e32 vcc_lo, 9, v12
	v_cndmask_b32_e32 v18, v18, v11, vcc_lo
	v_cmp_lt_u32_e32 vcc_lo, 5, v12
	s_wait_dscnt 0x0
	s_delay_alu instid0(VALU_DEP_2) | instskip(SKIP_1) | instid1(SALU_CYCLE_1)
	v_fmac_f32_e32 v16, v18, v19
	s_or_b32 s6, vcc_lo, s6
	s_and_not1_b32 exec_lo, exec_lo, s6
	s_cbranch_execnz .LBB9_187
; %bb.188:
	s_or_b32 exec_lo, exec_lo, s6
.LBB9_189:
	s_delay_alu instid0(SALU_CYCLE_1)
	s_or_b32 exec_lo, exec_lo, s5
	v_mov_b32_e32 v9, 0
	ds_load_b32 v9, v9 offset:28
	s_wait_dscnt 0x0
	v_mul_f32_e32 v9, v16, v9
.LBB9_190:
	s_or_b32 exec_lo, exec_lo, s4
	v_cmp_gt_u32_e64 s4, 8, v0
	ds_store_b32 v45, v10
	s_wait_dscnt 0x0
	s_barrier_signal -1
	s_barrier_wait -1
	s_and_saveexec_b32 s5, s4
	s_cbranch_execz .LBB9_200
; %bb.191:
	v_cmp_ne_u32_e32 vcc_lo, 1, v15
	s_cbranch_vccnz .LBB9_193
; %bb.192:
	v_cmp_eq_u32_e32 vcc_lo, 1, v0
	ds_load_b32 v13, v45
	v_cndmask_b32_e32 v12, v2, v3, vcc_lo
	v_cmp_eq_u32_e32 vcc_lo, 2, v0
	s_delay_alu instid0(VALU_DEP_2) | instskip(SKIP_1) | instid1(VALU_DEP_2)
	v_cndmask_b32_e32 v12, v12, v4, vcc_lo
	v_cmp_eq_u32_e32 vcc_lo, 3, v0
	v_cndmask_b32_e32 v12, v12, v5, vcc_lo
	v_cmp_eq_u32_e32 vcc_lo, 4, v0
	s_delay_alu instid0(VALU_DEP_2) | instskip(SKIP_1) | instid1(VALU_DEP_2)
	v_cndmask_b32_e32 v12, v12, v6, vcc_lo
	v_cmp_eq_u32_e32 vcc_lo, 5, v0
	;; [unrolled: 5-line block ×4, first 2 shown]
	v_cndmask_b32_e32 v12, v12, v11, vcc_lo
	s_wait_dscnt 0x0
	s_delay_alu instid0(VALU_DEP_1)
	v_mul_f32_e32 v16, v12, v13
	s_cbranch_execz .LBB9_194
	s_branch .LBB9_195
.LBB9_193:
                                        ; implicit-def: $vgpr16
.LBB9_194:
	ds_load_b32 v16, v45
.LBB9_195:
	s_mov_b32 s6, exec_lo
	v_cmpx_ne_u32_e32 7, v0
	s_cbranch_execz .LBB9_199
; %bb.196:
	v_mov_b64_e32 v[12:13], v[0:1]
	v_lshl_add_u32 v17, v0, 2, 52
	s_mov_b32 s7, 0
.LBB9_197:                              ; =>This Inner Loop Header: Depth=1
	s_delay_alu instid0(VALU_DEP_2)
	v_add_nc_u64_e32 v[12:13], 1, v[12:13]
	ds_load_b32 v18, v17
	v_add_nc_u32_e32 v17, 4, v17
	v_cmp_eq_u32_e32 vcc_lo, 1, v12
	v_cndmask_b32_e32 v1, v2, v3, vcc_lo
	v_cmp_eq_u32_e32 vcc_lo, 2, v12
	s_delay_alu instid0(VALU_DEP_2) | instskip(SKIP_1) | instid1(VALU_DEP_2)
	v_cndmask_b32_e32 v1, v1, v4, vcc_lo
	v_cmp_eq_u32_e32 vcc_lo, 3, v12
	v_cndmask_b32_e32 v1, v1, v5, vcc_lo
	v_cmp_eq_u32_e32 vcc_lo, 4, v12
	s_delay_alu instid0(VALU_DEP_2) | instskip(SKIP_1) | instid1(VALU_DEP_2)
	v_cndmask_b32_e32 v1, v1, v6, vcc_lo
	v_cmp_eq_u32_e32 vcc_lo, 5, v12
	v_cndmask_b32_e32 v1, v1, v7, vcc_lo
	v_cmp_eq_u32_e32 vcc_lo, 6, v12
	s_delay_alu instid0(VALU_DEP_2) | instskip(SKIP_1) | instid1(VALU_DEP_2)
	v_cndmask_b32_e32 v1, v1, v8, vcc_lo
	v_cmp_eq_u32_e32 vcc_lo, 7, v12
	v_cndmask_b32_e32 v1, v1, v9, vcc_lo
	v_cmp_eq_u32_e32 vcc_lo, 8, v12
	s_delay_alu instid0(VALU_DEP_2) | instskip(SKIP_1) | instid1(VALU_DEP_2)
	v_cndmask_b32_e32 v1, v1, v10, vcc_lo
	v_cmp_eq_u32_e32 vcc_lo, 9, v12
	v_cndmask_b32_e32 v1, v1, v11, vcc_lo
	v_cmp_lt_u32_e32 vcc_lo, 6, v12
	s_wait_dscnt 0x0
	s_delay_alu instid0(VALU_DEP_2) | instskip(SKIP_1) | instid1(SALU_CYCLE_1)
	v_fmac_f32_e32 v16, v1, v18
	s_or_b32 s7, vcc_lo, s7
	s_and_not1_b32 exec_lo, exec_lo, s7
	s_cbranch_execnz .LBB9_197
; %bb.198:
	s_or_b32 exec_lo, exec_lo, s7
.LBB9_199:
	s_delay_alu instid0(SALU_CYCLE_1)
	s_or_b32 exec_lo, exec_lo, s6
	v_mov_b32_e32 v1, 0
	ds_load_b32 v1, v1 offset:32
	s_wait_dscnt 0x0
	v_mul_f32_e32 v10, v16, v1
.LBB9_200:
	s_or_b32 exec_lo, exec_lo, s5
	s_delay_alu instid0(SALU_CYCLE_1)
	s_mov_b32 s5, exec_lo
	ds_store_b32 v45, v11
	s_wait_dscnt 0x0
	s_barrier_signal -1
	s_barrier_wait -1
	v_cmpx_ne_u32_e32 9, v0
	s_cbranch_execz .LBB9_222
; %bb.201:
	v_cmp_ne_u32_e32 vcc_lo, 1, v15
	s_cbranch_vccnz .LBB9_203
; %bb.202:
	v_cmp_eq_u32_e32 vcc_lo, 1, v0
	ds_load_b32 v12, v45
	v_cndmask_b32_e32 v1, v2, v3, vcc_lo
	v_cmp_eq_u32_e32 vcc_lo, 2, v0
	s_delay_alu instid0(VALU_DEP_2) | instskip(SKIP_1) | instid1(VALU_DEP_2)
	v_cndmask_b32_e32 v1, v1, v4, vcc_lo
	v_cmp_eq_u32_e32 vcc_lo, 3, v0
	v_cndmask_b32_e32 v1, v1, v5, vcc_lo
	v_cmp_eq_u32_e32 vcc_lo, 4, v0
	s_delay_alu instid0(VALU_DEP_2) | instskip(SKIP_1) | instid1(VALU_DEP_2)
	v_cndmask_b32_e32 v1, v1, v6, vcc_lo
	v_cmp_eq_u32_e32 vcc_lo, 5, v0
	;; [unrolled: 5-line block ×4, first 2 shown]
	v_cndmask_b32_e32 v1, v1, v11, vcc_lo
	s_wait_dscnt 0x0
	s_delay_alu instid0(VALU_DEP_1)
	v_mul_f32_e32 v1, v1, v12
	s_cbranch_execz .LBB9_204
	s_branch .LBB9_205
.LBB9_203:
                                        ; implicit-def: $vgpr1
.LBB9_204:
	ds_load_b32 v1, v45
.LBB9_205:
	s_and_saveexec_b32 s6, s4
	s_cbranch_execz .LBB9_221
; %bb.206:
	v_cmp_eq_u32_e32 vcc_lo, 1, v14
	ds_load_b32 v13, v45 offset:4
	s_mov_b32 s4, exec_lo
	v_cndmask_b32_e32 v12, v2, v3, vcc_lo
	v_cmp_eq_u32_e32 vcc_lo, 2, v14
	s_delay_alu instid0(VALU_DEP_2) | instskip(SKIP_1) | instid1(VALU_DEP_2)
	v_cndmask_b32_e32 v12, v12, v4, vcc_lo
	v_cmp_eq_u32_e32 vcc_lo, 3, v14
	v_cndmask_b32_e32 v12, v12, v5, vcc_lo
	v_cmp_eq_u32_e32 vcc_lo, 4, v14
	s_delay_alu instid0(VALU_DEP_2) | instskip(SKIP_1) | instid1(VALU_DEP_2)
	v_cndmask_b32_e32 v12, v12, v6, vcc_lo
	v_cmp_eq_u32_e32 vcc_lo, 5, v14
	;; [unrolled: 5-line block ×4, first 2 shown]
	v_cndmask_b32_e32 v12, v12, v11, vcc_lo
	s_wait_dscnt 0x0
	s_delay_alu instid0(VALU_DEP_1)
	v_fmac_f32_e32 v1, v12, v13
	v_cmpx_ne_u32_e32 7, v0
	s_cbranch_execz .LBB9_220
; %bb.207:
	v_add_nc_u32_e32 v12, 2, v0
	ds_load_b32 v14, v45 offset:8
	v_cmp_eq_u32_e32 vcc_lo, 1, v12
	v_cndmask_b32_e32 v13, v2, v3, vcc_lo
	v_cmp_eq_u32_e32 vcc_lo, 2, v12
	s_delay_alu instid0(VALU_DEP_2) | instskip(SKIP_1) | instid1(VALU_DEP_2)
	v_cndmask_b32_e32 v13, v13, v4, vcc_lo
	v_cmp_eq_u32_e32 vcc_lo, 3, v12
	v_cndmask_b32_e32 v13, v13, v5, vcc_lo
	v_cmp_eq_u32_e32 vcc_lo, 4, v12
	s_delay_alu instid0(VALU_DEP_2) | instskip(SKIP_1) | instid1(VALU_DEP_2)
	v_cndmask_b32_e32 v13, v13, v6, vcc_lo
	;; [unrolled: 5-line block ×4, first 2 shown]
	v_cmp_eq_u32_e32 vcc_lo, 9, v12
	v_cndmask_b32_e32 v12, v13, v11, vcc_lo
	s_wait_dscnt 0x0
	s_delay_alu instid0(VALU_DEP_1)
	v_fmac_f32_e32 v1, v12, v14
	s_and_saveexec_b32 s7, s3
	s_cbranch_execz .LBB9_219
; %bb.208:
	v_add_nc_u32_e32 v12, 3, v0
	ds_load_b32 v14, v45 offset:12
	s_mov_b32 s3, exec_lo
	v_cmp_eq_u32_e32 vcc_lo, 1, v12
	v_cndmask_b32_e32 v13, v2, v3, vcc_lo
	v_cmp_eq_u32_e32 vcc_lo, 2, v12
	s_delay_alu instid0(VALU_DEP_2) | instskip(SKIP_1) | instid1(VALU_DEP_2)
	v_cndmask_b32_e32 v13, v13, v4, vcc_lo
	v_cmp_eq_u32_e32 vcc_lo, 3, v12
	v_cndmask_b32_e32 v13, v13, v5, vcc_lo
	v_cmp_eq_u32_e32 vcc_lo, 4, v12
	s_delay_alu instid0(VALU_DEP_2) | instskip(SKIP_1) | instid1(VALU_DEP_2)
	v_cndmask_b32_e32 v13, v13, v6, vcc_lo
	;; [unrolled: 5-line block ×4, first 2 shown]
	v_cmp_eq_u32_e32 vcc_lo, 9, v12
	v_cndmask_b32_e32 v12, v13, v11, vcc_lo
	s_wait_dscnt 0x0
	s_delay_alu instid0(VALU_DEP_1)
	v_fmac_f32_e32 v1, v12, v14
	v_cmpx_ne_u32_e32 5, v0
	s_cbranch_execz .LBB9_218
; %bb.209:
	v_add_nc_u32_e32 v12, 4, v0
	ds_load_b32 v14, v45 offset:16
	v_cmp_eq_u32_e32 vcc_lo, 1, v12
	v_cndmask_b32_e32 v13, v2, v3, vcc_lo
	v_cmp_eq_u32_e32 vcc_lo, 2, v12
	s_delay_alu instid0(VALU_DEP_2) | instskip(SKIP_1) | instid1(VALU_DEP_2)
	v_cndmask_b32_e32 v13, v13, v4, vcc_lo
	v_cmp_eq_u32_e32 vcc_lo, 3, v12
	v_cndmask_b32_e32 v13, v13, v5, vcc_lo
	v_cmp_eq_u32_e32 vcc_lo, 4, v12
	s_delay_alu instid0(VALU_DEP_2) | instskip(SKIP_1) | instid1(VALU_DEP_2)
	v_cndmask_b32_e32 v13, v13, v6, vcc_lo
	;; [unrolled: 5-line block ×4, first 2 shown]
	v_cmp_eq_u32_e32 vcc_lo, 9, v12
	v_cndmask_b32_e32 v12, v13, v11, vcc_lo
	s_wait_dscnt 0x0
	s_delay_alu instid0(VALU_DEP_1)
	v_fmac_f32_e32 v1, v12, v14
	s_and_saveexec_b32 s8, s2
	s_cbranch_execz .LBB9_217
; %bb.210:
	v_add_nc_u32_e32 v12, 5, v0
	ds_load_b32 v14, v45 offset:20
	s_mov_b32 s2, exec_lo
	v_cmp_eq_u32_e32 vcc_lo, 1, v12
	v_cndmask_b32_e32 v13, v2, v3, vcc_lo
	v_cmp_eq_u32_e32 vcc_lo, 2, v12
	s_delay_alu instid0(VALU_DEP_2) | instskip(SKIP_1) | instid1(VALU_DEP_2)
	v_cndmask_b32_e32 v13, v13, v4, vcc_lo
	v_cmp_eq_u32_e32 vcc_lo, 3, v12
	v_cndmask_b32_e32 v13, v13, v5, vcc_lo
	v_cmp_eq_u32_e32 vcc_lo, 4, v12
	s_delay_alu instid0(VALU_DEP_2) | instskip(SKIP_1) | instid1(VALU_DEP_2)
	v_cndmask_b32_e32 v13, v13, v6, vcc_lo
	;; [unrolled: 5-line block ×4, first 2 shown]
	v_cmp_eq_u32_e32 vcc_lo, 9, v12
	v_cndmask_b32_e32 v12, v13, v11, vcc_lo
	s_wait_dscnt 0x0
	s_delay_alu instid0(VALU_DEP_1)
	v_fmac_f32_e32 v1, v12, v14
	v_cmpx_ne_u32_e32 3, v0
	s_cbranch_execz .LBB9_216
; %bb.211:
	v_add_nc_u32_e32 v12, 6, v0
	ds_load_b32 v14, v45 offset:24
	v_cmp_eq_u32_e32 vcc_lo, 1, v12
	v_cndmask_b32_e32 v13, v2, v3, vcc_lo
	v_cmp_eq_u32_e32 vcc_lo, 2, v12
	s_delay_alu instid0(VALU_DEP_2) | instskip(SKIP_1) | instid1(VALU_DEP_2)
	v_cndmask_b32_e32 v13, v13, v4, vcc_lo
	v_cmp_eq_u32_e32 vcc_lo, 3, v12
	v_cndmask_b32_e32 v13, v13, v5, vcc_lo
	v_cmp_eq_u32_e32 vcc_lo, 4, v12
	s_delay_alu instid0(VALU_DEP_2) | instskip(SKIP_1) | instid1(VALU_DEP_2)
	v_cndmask_b32_e32 v13, v13, v6, vcc_lo
	;; [unrolled: 5-line block ×4, first 2 shown]
	v_cmp_eq_u32_e32 vcc_lo, 9, v12
	v_cndmask_b32_e32 v12, v13, v11, vcc_lo
	s_wait_dscnt 0x0
	s_delay_alu instid0(VALU_DEP_1)
	v_fmac_f32_e32 v1, v12, v14
	s_and_saveexec_b32 s9, s1
	s_cbranch_execz .LBB9_215
; %bb.212:
	v_add_nc_u32_e32 v0, 7, v0
	ds_load_b32 v13, v45 offset:28
	v_cmp_eq_u32_e32 vcc_lo, 1, v0
	v_cndmask_b32_e32 v12, v2, v3, vcc_lo
	v_cmp_eq_u32_e32 vcc_lo, 2, v0
	s_delay_alu instid0(VALU_DEP_2) | instskip(SKIP_1) | instid1(VALU_DEP_2)
	v_cndmask_b32_e32 v12, v12, v4, vcc_lo
	v_cmp_eq_u32_e32 vcc_lo, 3, v0
	v_cndmask_b32_e32 v12, v12, v5, vcc_lo
	v_cmp_eq_u32_e32 vcc_lo, 4, v0
	s_delay_alu instid0(VALU_DEP_2) | instskip(SKIP_1) | instid1(VALU_DEP_2)
	v_cndmask_b32_e32 v12, v12, v6, vcc_lo
	;; [unrolled: 5-line block ×4, first 2 shown]
	v_cmp_eq_u32_e32 vcc_lo, 9, v0
	v_cndmask_b32_e32 v0, v12, v11, vcc_lo
	s_wait_dscnt 0x0
	s_delay_alu instid0(VALU_DEP_1)
	v_fmac_f32_e32 v1, v0, v13
	s_and_saveexec_b32 s1, s0
	s_cbranch_execz .LBB9_214
; %bb.213:
	ds_load_b32 v0, v45 offset:32
	s_wait_dscnt 0x0
	v_fmac_f32_e32 v1, v10, v0
.LBB9_214:
	s_or_b32 exec_lo, exec_lo, s1
.LBB9_215:
	s_delay_alu instid0(SALU_CYCLE_1)
	s_or_b32 exec_lo, exec_lo, s9
.LBB9_216:
	s_delay_alu instid0(SALU_CYCLE_1)
	s_or_b32 exec_lo, exec_lo, s2
.LBB9_217:
	s_delay_alu instid0(SALU_CYCLE_1)
	s_or_b32 exec_lo, exec_lo, s8
.LBB9_218:
	s_delay_alu instid0(SALU_CYCLE_1)
	s_or_b32 exec_lo, exec_lo, s3
.LBB9_219:
	s_delay_alu instid0(SALU_CYCLE_1)
	s_or_b32 exec_lo, exec_lo, s7
.LBB9_220:
	s_delay_alu instid0(SALU_CYCLE_1)
	s_or_b32 exec_lo, exec_lo, s4
.LBB9_221:
	s_delay_alu instid0(SALU_CYCLE_1)
	s_or_b32 exec_lo, exec_lo, s6
	v_mov_b32_e32 v0, 0
	ds_load_b32 v0, v0 offset:36
	s_wait_dscnt 0x0
	v_mul_f32_e32 v11, v1, v0
.LBB9_222:
	s_or_b32 exec_lo, exec_lo, s5
	s_delay_alu instid0(VALU_DEP_1)
	v_mov_b64_e32 v[20:21], v[10:11]
	v_mov_b64_e32 v[18:19], v[8:9]
	;; [unrolled: 1-line block ×5, first 2 shown]
.LBB9_223:
	s_wait_xcnt 0x1
	v_lshl_add_u64 v[0:1], v[22:23], 2, s[10:11]
	s_wait_loadcnt 0x1
	v_lshl_add_u64 v[2:3], v[24:25], 2, s[10:11]
	v_lshl_add_u64 v[4:5], v[26:27], 2, s[10:11]
	;; [unrolled: 1-line block ×4, first 2 shown]
	s_wait_loadcnt 0x0
	v_lshl_add_u64 v[10:11], v[36:37], 2, s[10:11]
	v_lshl_add_u64 v[22:23], v[38:39], 2, s[10:11]
	;; [unrolled: 1-line block ×3, first 2 shown]
	s_clause 0x9
	global_store_b32 v[30:31], v12, off
	global_store_b32 v[34:35], v13, off
	;; [unrolled: 1-line block ×10, first 2 shown]
.LBB9_224:
	s_endpgm
	.section	.rodata,"a",@progbits
	.p2align	6, 0x0
	.amdhsa_kernel _ZN9rocsolver6v33100L18trti2_kernel_smallILi10EfPfEEv13rocblas_fill_17rocblas_diagonal_T1_iil
		.amdhsa_group_segment_fixed_size 88
		.amdhsa_private_segment_fixed_size 0
		.amdhsa_kernarg_size 32
		.amdhsa_user_sgpr_count 2
		.amdhsa_user_sgpr_dispatch_ptr 0
		.amdhsa_user_sgpr_queue_ptr 0
		.amdhsa_user_sgpr_kernarg_segment_ptr 1
		.amdhsa_user_sgpr_dispatch_id 0
		.amdhsa_user_sgpr_kernarg_preload_length 0
		.amdhsa_user_sgpr_kernarg_preload_offset 0
		.amdhsa_user_sgpr_private_segment_size 0
		.amdhsa_wavefront_size32 1
		.amdhsa_uses_dynamic_stack 0
		.amdhsa_enable_private_segment 0
		.amdhsa_system_sgpr_workgroup_id_x 1
		.amdhsa_system_sgpr_workgroup_id_y 0
		.amdhsa_system_sgpr_workgroup_id_z 0
		.amdhsa_system_sgpr_workgroup_info 0
		.amdhsa_system_vgpr_workitem_id 0
		.amdhsa_next_free_vgpr 57
		.amdhsa_next_free_sgpr 20
		.amdhsa_named_barrier_count 0
		.amdhsa_reserve_vcc 1
		.amdhsa_float_round_mode_32 0
		.amdhsa_float_round_mode_16_64 0
		.amdhsa_float_denorm_mode_32 3
		.amdhsa_float_denorm_mode_16_64 3
		.amdhsa_fp16_overflow 0
		.amdhsa_memory_ordered 1
		.amdhsa_forward_progress 1
		.amdhsa_inst_pref_size 77
		.amdhsa_round_robin_scheduling 0
		.amdhsa_exception_fp_ieee_invalid_op 0
		.amdhsa_exception_fp_denorm_src 0
		.amdhsa_exception_fp_ieee_div_zero 0
		.amdhsa_exception_fp_ieee_overflow 0
		.amdhsa_exception_fp_ieee_underflow 0
		.amdhsa_exception_fp_ieee_inexact 0
		.amdhsa_exception_int_div_zero 0
	.end_amdhsa_kernel
	.section	.text._ZN9rocsolver6v33100L18trti2_kernel_smallILi10EfPfEEv13rocblas_fill_17rocblas_diagonal_T1_iil,"axG",@progbits,_ZN9rocsolver6v33100L18trti2_kernel_smallILi10EfPfEEv13rocblas_fill_17rocblas_diagonal_T1_iil,comdat
.Lfunc_end9:
	.size	_ZN9rocsolver6v33100L18trti2_kernel_smallILi10EfPfEEv13rocblas_fill_17rocblas_diagonal_T1_iil, .Lfunc_end9-_ZN9rocsolver6v33100L18trti2_kernel_smallILi10EfPfEEv13rocblas_fill_17rocblas_diagonal_T1_iil
                                        ; -- End function
	.set _ZN9rocsolver6v33100L18trti2_kernel_smallILi10EfPfEEv13rocblas_fill_17rocblas_diagonal_T1_iil.num_vgpr, 57
	.set _ZN9rocsolver6v33100L18trti2_kernel_smallILi10EfPfEEv13rocblas_fill_17rocblas_diagonal_T1_iil.num_agpr, 0
	.set _ZN9rocsolver6v33100L18trti2_kernel_smallILi10EfPfEEv13rocblas_fill_17rocblas_diagonal_T1_iil.numbered_sgpr, 20
	.set _ZN9rocsolver6v33100L18trti2_kernel_smallILi10EfPfEEv13rocblas_fill_17rocblas_diagonal_T1_iil.num_named_barrier, 0
	.set _ZN9rocsolver6v33100L18trti2_kernel_smallILi10EfPfEEv13rocblas_fill_17rocblas_diagonal_T1_iil.private_seg_size, 0
	.set _ZN9rocsolver6v33100L18trti2_kernel_smallILi10EfPfEEv13rocblas_fill_17rocblas_diagonal_T1_iil.uses_vcc, 1
	.set _ZN9rocsolver6v33100L18trti2_kernel_smallILi10EfPfEEv13rocblas_fill_17rocblas_diagonal_T1_iil.uses_flat_scratch, 0
	.set _ZN9rocsolver6v33100L18trti2_kernel_smallILi10EfPfEEv13rocblas_fill_17rocblas_diagonal_T1_iil.has_dyn_sized_stack, 0
	.set _ZN9rocsolver6v33100L18trti2_kernel_smallILi10EfPfEEv13rocblas_fill_17rocblas_diagonal_T1_iil.has_recursion, 0
	.set _ZN9rocsolver6v33100L18trti2_kernel_smallILi10EfPfEEv13rocblas_fill_17rocblas_diagonal_T1_iil.has_indirect_call, 0
	.section	.AMDGPU.csdata,"",@progbits
; Kernel info:
; codeLenInByte = 9736
; TotalNumSgprs: 22
; NumVgprs: 57
; ScratchSize: 0
; MemoryBound: 0
; FloatMode: 240
; IeeeMode: 1
; LDSByteSize: 88 bytes/workgroup (compile time only)
; SGPRBlocks: 0
; VGPRBlocks: 3
; NumSGPRsForWavesPerEU: 22
; NumVGPRsForWavesPerEU: 57
; NamedBarCnt: 0
; Occupancy: 16
; WaveLimiterHint : 0
; COMPUTE_PGM_RSRC2:SCRATCH_EN: 0
; COMPUTE_PGM_RSRC2:USER_SGPR: 2
; COMPUTE_PGM_RSRC2:TRAP_HANDLER: 0
; COMPUTE_PGM_RSRC2:TGID_X_EN: 1
; COMPUTE_PGM_RSRC2:TGID_Y_EN: 0
; COMPUTE_PGM_RSRC2:TGID_Z_EN: 0
; COMPUTE_PGM_RSRC2:TIDIG_COMP_CNT: 0
	.section	.text._ZN9rocsolver6v33100L18trti2_kernel_smallILi11EfPfEEv13rocblas_fill_17rocblas_diagonal_T1_iil,"axG",@progbits,_ZN9rocsolver6v33100L18trti2_kernel_smallILi11EfPfEEv13rocblas_fill_17rocblas_diagonal_T1_iil,comdat
	.globl	_ZN9rocsolver6v33100L18trti2_kernel_smallILi11EfPfEEv13rocblas_fill_17rocblas_diagonal_T1_iil ; -- Begin function _ZN9rocsolver6v33100L18trti2_kernel_smallILi11EfPfEEv13rocblas_fill_17rocblas_diagonal_T1_iil
	.p2align	8
	.type	_ZN9rocsolver6v33100L18trti2_kernel_smallILi11EfPfEEv13rocblas_fill_17rocblas_diagonal_T1_iil,@function
_ZN9rocsolver6v33100L18trti2_kernel_smallILi11EfPfEEv13rocblas_fill_17rocblas_diagonal_T1_iil: ; @_ZN9rocsolver6v33100L18trti2_kernel_smallILi11EfPfEEv13rocblas_fill_17rocblas_diagonal_T1_iil
; %bb.0:
	s_mov_b32 s2, exec_lo
	v_cmpx_gt_u32_e32 11, v0
	s_cbranch_execz .LBB10_250
; %bb.1:
	s_load_b256 s[12:19], s[0:1], 0x0
	s_wait_xcnt 0x0
	s_bfe_u32 s0, ttmp6, 0x4000c
	s_and_b32 s1, ttmp6, 15
	s_add_co_i32 s0, s0, 1
	s_getreg_b32 s2, hwreg(HW_REG_IB_STS2, 6, 4)
	s_mul_i32 s0, ttmp9, s0
	v_mov_b32_e32 v1, 0
	s_add_co_i32 s0, s1, s0
	s_delay_alu instid0(VALU_DEP_1)
	v_dual_mov_b32 v15, v1 :: v_dual_lshlrev_b32 v14, 2, v0
	s_wait_kmcnt 0x0
	v_add3_u32 v26, s17, s17, v0
	s_ashr_i32 s1, s16, 31
	s_cmp_eq_u32 s2, 0
	s_cselect_b32 s2, ttmp9, s0
	s_delay_alu instid0(VALU_DEP_1)
	v_add_nc_u32_e32 v28, s17, v26
	s_ashr_i32 s3, s2, 31
	s_mov_b32 s0, s16
	s_mul_u64 s[2:3], s[18:19], s[2:3]
	s_lshl_b64 s[0:1], s[0:1], 2
	v_add_nc_u32_e32 v30, s17, v28
	s_lshl_b64 s[2:3], s[2:3], 2
	s_delay_alu instid0(SALU_CYCLE_1) | instskip(NEXT) | instid1(VALU_DEP_1)
	s_add_nc_u64 s[2:3], s[14:15], s[2:3]
	v_add_nc_u32_e32 v32, s17, v30
	s_add_nc_u64 s[14:15], s[2:3], s[0:1]
	s_mov_b32 s0, s17
	s_ashr_i32 s1, s17, 31
	s_cmp_lg_u32 s13, 0x84
	v_add_nc_u32_e32 v34, s17, v32
	v_add_nc_u64_e32 v[36:37], s[14:15], v[14:15]
	s_cselect_b32 s11, -1, 0
	s_cmp_eq_u32 s13, 0x84
	s_delay_alu instid0(VALU_DEP_2) | instskip(NEXT) | instid1(VALU_DEP_2)
	v_dual_mov_b32 v15, -1.0 :: v_dual_add_nc_u32 v38, s17, v34
	v_lshl_add_u64 v[40:41], s[0:1], 2, v[36:37]
	v_cmp_eq_u32_e64 s0, 0, v0
	s_delay_alu instid0(VALU_DEP_3) | instskip(NEXT) | instid1(VALU_DEP_1)
	v_add_nc_u32_e32 v42, s17, v38
	v_add_nc_u32_e32 v44, s17, v42
	s_delay_alu instid0(VALU_DEP_1)
	v_add_nc_u32_e32 v46, s17, v44
	s_clause 0xa
	global_load_b32 v3, v[40:41], off
	global_load_b32 v4, v26, s[14:15] scale_offset
	global_load_b32 v5, v28, s[14:15] scale_offset
	;; [unrolled: 1-line block ×10, first 2 shown]
	s_cbranch_scc1 .LBB10_3
; %bb.2:
	v_cmp_eq_u32_e64 s1, 1, v0
	v_cmp_eq_u32_e64 s2, 2, v0
	;; [unrolled: 1-line block ×5, first 2 shown]
	s_wait_loadcnt 0x2
	v_cndmask_b32_e64 v13, v2, v3, s1
	v_cmp_eq_u32_e64 s6, 6, v0
	v_cmp_eq_u32_e64 s7, 7, v0
	v_cmp_eq_u32_e64 s8, 8, v0
	v_cmp_eq_u32_e64 s9, 9, v0
	v_cndmask_b32_e64 v13, v13, v4, s2
	v_cmp_eq_u32_e64 s10, 10, v0
	s_delay_alu instid0(VALU_DEP_2) | instskip(NEXT) | instid1(VALU_DEP_1)
	v_cndmask_b32_e64 v13, v13, v5, s3
	v_cndmask_b32_e64 v13, v13, v6, s4
	s_delay_alu instid0(VALU_DEP_1) | instskip(NEXT) | instid1(VALU_DEP_1)
	v_cndmask_b32_e64 v13, v13, v7, s5
	v_cndmask_b32_e64 v13, v13, v8, s6
	s_delay_alu instid0(VALU_DEP_1) | instskip(NEXT) | instid1(VALU_DEP_1)
	v_cndmask_b32_e64 v13, v13, v9, s7
	v_cndmask_b32_e64 v13, v13, v10, s8
	s_wait_loadcnt 0x1
	s_delay_alu instid0(VALU_DEP_1) | instskip(SKIP_1) | instid1(VALU_DEP_1)
	v_cndmask_b32_e64 v13, v13, v11, s9
	s_wait_loadcnt 0x0
	v_cndmask_b32_e64 v13, v13, v12, s10
	s_delay_alu instid0(VALU_DEP_1) | instskip(SKIP_1) | instid1(VALU_DEP_2)
	v_div_scale_f32 v15, null, v13, v13, 1.0
	v_div_scale_f32 v18, vcc_lo, 1.0, v13, 1.0
	v_rcp_f32_e32 v16, v15
	v_nop
	s_delay_alu instid0(TRANS32_DEP_1) | instskip(NEXT) | instid1(VALU_DEP_1)
	v_fma_f32 v17, -v15, v16, 1.0
	v_fmac_f32_e32 v16, v17, v16
	s_delay_alu instid0(VALU_DEP_1) | instskip(NEXT) | instid1(VALU_DEP_1)
	v_mul_f32_e32 v17, v18, v16
	v_fma_f32 v19, -v15, v17, v18
	s_delay_alu instid0(VALU_DEP_1) | instskip(NEXT) | instid1(VALU_DEP_1)
	v_fmac_f32_e32 v17, v19, v16
	v_fma_f32 v15, -v15, v17, v18
	s_delay_alu instid0(VALU_DEP_1) | instskip(NEXT) | instid1(VALU_DEP_1)
	v_div_fmas_f32 v15, v15, v16, v17
	v_div_fixup_f32 v13, v15, v13, 1.0
	s_delay_alu instid0(VALU_DEP_1)
	v_dual_cndmask_b32 v12, v12, v13, s10 :: v_dual_cndmask_b32 v11, v11, v13, s9
	v_dual_cndmask_b32 v10, v10, v13, s8 :: v_dual_cndmask_b32 v9, v9, v13, s7
	;; [unrolled: 1-line block ×5, first 2 shown]
	v_cndmask_b32_e64 v2, v2, v13, s0
	v_xor_b32_e32 v15, 0x80000000, v13
.LBB10_3:
	v_dual_ashrrev_i32 v27, 31, v26 :: v_dual_ashrrev_i32 v29, 31, v28
	v_dual_ashrrev_i32 v31, 31, v30 :: v_dual_ashrrev_i32 v33, 31, v32
	;; [unrolled: 1-line block ×3, first 2 shown]
	v_ashrrev_i32_e32 v39, 31, v38
	v_ashrrev_i32_e32 v43, 31, v42
	v_ashrrev_i32_e32 v47, 31, v46
	v_add_nc_u32_e32 v13, 48, v14
	s_cmp_eq_u32 s12, 0x79
	ds_store_b32 v14, v15
	s_cbranch_scc1 .LBB10_7
; %bb.4:
	s_wait_loadcnt 0x0
	v_dual_mov_b32 v24, v12 :: v_dual_mov_b32 v23, v11
	v_dual_mov_b32 v22, v10 :: v_dual_mov_b32 v21, v9
	;; [unrolled: 1-line block ×5, first 2 shown]
	v_mov_b32_e32 v14, v2
	v_cmp_eq_u32_e64 s1, 10, v0
	ds_store_b32 v13, v11
	s_wait_dscnt 0x0
	s_barrier_signal -1
	s_barrier_wait -1
	s_and_saveexec_b32 s0, s1
	s_cbranch_execz .LBB10_11
; %bb.5:
	s_and_b32 vcc_lo, exec_lo, s11
	s_cbranch_vccz .LBB10_8
; %bb.6:
	v_cmp_eq_u32_e32 vcc_lo, 1, v0
	ds_load_b32 v15, v13
	v_cndmask_b32_e32 v14, v2, v3, vcc_lo
	v_cmp_eq_u32_e32 vcc_lo, 2, v0
	s_delay_alu instid0(VALU_DEP_2) | instskip(SKIP_1) | instid1(VALU_DEP_2)
	v_cndmask_b32_e32 v14, v14, v4, vcc_lo
	v_cmp_eq_u32_e32 vcc_lo, 3, v0
	v_cndmask_b32_e32 v14, v14, v5, vcc_lo
	v_cmp_eq_u32_e32 vcc_lo, 4, v0
	s_delay_alu instid0(VALU_DEP_2) | instskip(SKIP_1) | instid1(VALU_DEP_2)
	v_cndmask_b32_e32 v14, v14, v6, vcc_lo
	v_cmp_eq_u32_e32 vcc_lo, 5, v0
	;; [unrolled: 5-line block ×4, first 2 shown]
	v_cndmask_b32_e32 v14, v14, v11, vcc_lo
	v_cmp_eq_u32_e32 vcc_lo, 10, v0
	s_delay_alu instid0(VALU_DEP_2) | instskip(SKIP_1) | instid1(VALU_DEP_1)
	v_cndmask_b32_e32 v14, v14, v12, vcc_lo
	s_wait_dscnt 0x0
	v_mul_f32_e32 v14, v14, v15
	s_cbranch_execz .LBB10_9
	s_branch .LBB10_10
.LBB10_7:
                                        ; implicit-def: $vgpr14_vgpr15_vgpr16_vgpr17_vgpr18_vgpr19_vgpr20_vgpr21_vgpr22_vgpr23_vgpr24
	s_cbranch_execnz .LBB10_146
	s_branch .LBB10_249
.LBB10_8:
                                        ; implicit-def: $vgpr14
.LBB10_9:
	ds_load_b32 v14, v13
.LBB10_10:
	v_mov_b32_e32 v15, 0
	ds_load_b32 v15, v15 offset:36
	s_wait_dscnt 0x0
	v_dual_mul_f32 v25, v14, v15 :: v_dual_mov_b32 v24, v12
	v_dual_mov_b32 v23, v11 :: v_dual_mov_b32 v22, v10
	v_dual_mov_b32 v21, v9 :: v_dual_mov_b32 v20, v8
	;; [unrolled: 1-line block ×5, first 2 shown]
	v_mov_b32_e32 v23, v25
.LBB10_11:
	s_or_b32 exec_lo, exec_lo, s0
	v_cmp_lt_u32_e64 s0, 8, v0
	ds_store_b32 v13, v22
	s_wait_dscnt 0x0
	s_barrier_signal -1
	s_barrier_wait -1
	s_and_saveexec_b32 s2, s0
	s_cbranch_execz .LBB10_17
; %bb.12:
	s_and_not1_b32 vcc_lo, exec_lo, s11
	s_cbranch_vccnz .LBB10_14
; %bb.13:
	v_cmp_eq_u32_e32 vcc_lo, 1, v0
	ds_load_b32 v48, v13
	v_cndmask_b32_e32 v25, v14, v15, vcc_lo
	v_cmp_eq_u32_e32 vcc_lo, 2, v0
	s_delay_alu instid0(VALU_DEP_2) | instskip(SKIP_1) | instid1(VALU_DEP_2)
	v_cndmask_b32_e32 v25, v25, v16, vcc_lo
	v_cmp_eq_u32_e32 vcc_lo, 3, v0
	v_cndmask_b32_e32 v25, v25, v17, vcc_lo
	v_cmp_eq_u32_e32 vcc_lo, 4, v0
	s_delay_alu instid0(VALU_DEP_2) | instskip(SKIP_1) | instid1(VALU_DEP_2)
	v_cndmask_b32_e32 v25, v25, v18, vcc_lo
	v_cmp_eq_u32_e32 vcc_lo, 5, v0
	;; [unrolled: 5-line block ×4, first 2 shown]
	v_cndmask_b32_e32 v22, v22, v23, vcc_lo
	v_cmp_eq_u32_e32 vcc_lo, 10, v0
	s_delay_alu instid0(VALU_DEP_2) | instskip(SKIP_1) | instid1(VALU_DEP_1)
	v_cndmask_b32_e32 v22, v22, v24, vcc_lo
	s_wait_dscnt 0x0
	v_mul_f32_e32 v22, v22, v48
	s_cbranch_execz .LBB10_15
	s_branch .LBB10_16
.LBB10_14:
                                        ; implicit-def: $vgpr22
.LBB10_15:
	ds_load_b32 v22, v13
.LBB10_16:
	v_mov_b32_e32 v25, 0
	ds_load_2addr_b32 v[48:49], v25 offset0:8 offset1:21
	s_wait_dscnt 0x0
	v_fma_f32 v25, v23, v49, v22
	s_delay_alu instid0(VALU_DEP_1) | instskip(NEXT) | instid1(VALU_DEP_1)
	v_cndmask_b32_e64 v22, v22, v25, s1
	v_mul_f32_e32 v22, v22, v48
.LBB10_17:
	s_or_b32 exec_lo, exec_lo, s2
	v_cmp_lt_u32_e64 s1, 7, v0
	ds_store_b32 v13, v21
	s_wait_dscnt 0x0
	s_barrier_signal -1
	s_barrier_wait -1
	s_and_saveexec_b32 s4, s1
	s_cbranch_execz .LBB10_33
; %bb.18:
	s_and_not1_b32 vcc_lo, exec_lo, s11
	s_cbranch_vccnz .LBB10_20
; %bb.19:
	v_cmp_eq_u32_e32 vcc_lo, 1, v0
	ds_load_b32 v48, v13
	v_cndmask_b32_e32 v25, v14, v15, vcc_lo
	v_cmp_eq_u32_e32 vcc_lo, 2, v0
	s_delay_alu instid0(VALU_DEP_2) | instskip(SKIP_1) | instid1(VALU_DEP_2)
	v_cndmask_b32_e32 v25, v25, v16, vcc_lo
	v_cmp_eq_u32_e32 vcc_lo, 3, v0
	v_cndmask_b32_e32 v25, v25, v17, vcc_lo
	v_cmp_eq_u32_e32 vcc_lo, 4, v0
	s_delay_alu instid0(VALU_DEP_2) | instskip(SKIP_1) | instid1(VALU_DEP_2)
	v_cndmask_b32_e32 v25, v25, v18, vcc_lo
	v_cmp_eq_u32_e32 vcc_lo, 5, v0
	v_cndmask_b32_e32 v25, v25, v19, vcc_lo
	v_cmp_eq_u32_e32 vcc_lo, 6, v0
	s_delay_alu instid0(VALU_DEP_2) | instskip(SKIP_1) | instid1(VALU_DEP_2)
	v_cndmask_b32_e32 v25, v25, v20, vcc_lo
	v_cmp_eq_u32_e32 vcc_lo, 7, v0
	v_cndmask_b32_e32 v25, v25, v21, vcc_lo
	v_cmp_eq_u32_e32 vcc_lo, 8, v0
	s_delay_alu instid0(VALU_DEP_2) | instskip(SKIP_1) | instid1(VALU_DEP_2)
	v_cndmask_b32_e32 v25, v25, v22, vcc_lo
	v_cmp_eq_u32_e32 vcc_lo, 9, v0
	v_cndmask_b32_e32 v25, v25, v23, vcc_lo
	v_cmp_eq_u32_e32 vcc_lo, 10, v0
	s_delay_alu instid0(VALU_DEP_2) | instskip(SKIP_1) | instid1(VALU_DEP_1)
	v_cndmask_b32_e32 v25, v25, v24, vcc_lo
	s_wait_dscnt 0x0
	v_mul_f32_e32 v25, v25, v48
	s_cbranch_execz .LBB10_21
	s_branch .LBB10_22
.LBB10_20:
                                        ; implicit-def: $vgpr25
.LBB10_21:
	ds_load_b32 v25, v13
.LBB10_22:
	s_and_saveexec_b32 s5, s0
	s_cbranch_execz .LBB10_32
; %bb.23:
	v_add_nc_u32_e32 v48, -9, v0
	s_delay_alu instid0(VALU_DEP_1)
	v_cmp_lt_u32_e32 vcc_lo, 6, v48
	v_mov_b32_e32 v48, 8
	s_and_saveexec_b32 s0, vcc_lo
	s_cbranch_execz .LBB10_27
; %bb.24:
	v_bfe_u32 v48, v0, 3, 1
	v_mov_b32_e32 v49, 0
	s_mov_b64 s[2:3], 0xfffffff8
	s_movk_i32 s7, 0x50
	s_mov_b32 s6, 0
	s_delay_alu instid0(VALU_DEP_1)
	v_mul_u64_e32 v[50:51], s[2:3], v[48:49]
	s_mov_b64 s[2:3], 15
.LBB10_25:                              ; =>This Inner Loop Header: Depth=1
	s_delay_alu instid0(SALU_CYCLE_1)
	s_add_co_i32 m0, s2, -7
	v_movrels_b32_e32 v49, v14
	v_mov_b32_e32 v48, s7
	s_add_co_i32 m0, s2, -6
	s_add_co_i32 s7, s7, 32
	v_movrels_b32_e32 v51, v14
	s_add_co_i32 m0, s2, -5
	ds_load_b128 v[52:55], v48
	ds_load_b128 v[56:59], v48 offset:16
	v_movrels_b32_e32 v48, v14
	s_add_co_i32 m0, s2, -4
	s_wait_dscnt 0x1
	v_fmac_f32_e32 v25, v49, v52
	v_movrels_b32_e32 v49, v14
	s_add_co_i32 m0, s2, -3
	s_delay_alu instid0(VALU_DEP_2) | instskip(NEXT) | instid1(VALU_DEP_1)
	v_fmac_f32_e32 v25, v51, v53
	v_fmac_f32_e32 v25, v48, v54
	v_movrels_b32_e32 v48, v14
	s_add_co_i32 m0, s2, -2
	s_delay_alu instid0(VALU_DEP_2) | instskip(SKIP_3) | instid1(VALU_DEP_2)
	v_fmac_f32_e32 v25, v49, v55
	v_movrels_b32_e32 v49, v14
	s_add_co_i32 m0, s2, -1
	s_wait_dscnt 0x0
	v_fmac_f32_e32 v25, v48, v56
	v_movrels_b32_e32 v48, v14
	s_mov_b32 m0, s2
	s_add_nc_u64 s[2:3], s[2:3], 8
	v_movrels_b32_e32 v51, v14
	v_dual_fmac_f32 v25, v49, v57 :: v_dual_add_nc_u32 v49, s2, v50
	s_add_co_i32 s8, s2, -7
	s_delay_alu instid0(VALU_DEP_1) | instskip(NEXT) | instid1(VALU_DEP_2)
	v_fmac_f32_e32 v25, v48, v58
	v_cmp_eq_u32_e32 vcc_lo, 7, v49
	s_delay_alu instid0(VALU_DEP_2) | instskip(SKIP_1) | instid1(SALU_CYCLE_1)
	v_dual_mov_b32 v48, s8 :: v_dual_fmac_f32 v25, v51, v59
	s_or_b32 s6, vcc_lo, s6
	s_and_not1_b32 exec_lo, exec_lo, s6
	s_cbranch_execnz .LBB10_25
; %bb.26:
	s_or_b32 exec_lo, exec_lo, s6
.LBB10_27:
	s_delay_alu instid0(SALU_CYCLE_1) | instskip(SKIP_3) | instid1(VALU_DEP_1)
	s_or_b32 exec_lo, exec_lo, s0
	v_and_b32_e32 v50, 7, v0
	s_mov_b32 s2, 0
	s_mov_b32 s0, exec_lo
	v_cmpx_ne_u32_e32 0, v50
	s_cbranch_execz .LBB10_31
; %bb.28:
	v_lshl_add_u32 v51, v48, 2, 48
	v_mov_b32_e32 v49, 0
.LBB10_29:                              ; =>This Inner Loop Header: Depth=1
	v_cmp_eq_u32_e32 vcc_lo, 1, v48
	ds_load_b32 v53, v51
	v_dual_add_nc_u32 v50, -1, v50 :: v_dual_add_nc_u32 v51, 4, v51
	v_cndmask_b32_e32 v52, v14, v15, vcc_lo
	v_cmp_eq_u32_e32 vcc_lo, 2, v48
	s_delay_alu instid0(VALU_DEP_2) | instskip(SKIP_1) | instid1(VALU_DEP_2)
	v_cndmask_b32_e32 v52, v52, v16, vcc_lo
	v_cmp_eq_u32_e32 vcc_lo, 3, v48
	v_cndmask_b32_e32 v52, v52, v17, vcc_lo
	v_cmp_eq_u32_e32 vcc_lo, 4, v48
	s_delay_alu instid0(VALU_DEP_2) | instskip(SKIP_1) | instid1(VALU_DEP_2)
	v_cndmask_b32_e32 v52, v52, v18, vcc_lo
	v_cmp_eq_u32_e32 vcc_lo, 5, v48
	v_cndmask_b32_e32 v52, v52, v19, vcc_lo
	v_cmp_eq_u32_e32 vcc_lo, 6, v48
	s_delay_alu instid0(VALU_DEP_2) | instskip(SKIP_1) | instid1(VALU_DEP_2)
	v_cndmask_b32_e32 v52, v52, v20, vcc_lo
	v_cmp_eq_u32_e32 vcc_lo, 7, v48
	v_cndmask_b32_e32 v52, v52, v21, vcc_lo
	v_cmp_eq_u32_e32 vcc_lo, 8, v48
	s_delay_alu instid0(VALU_DEP_2) | instskip(SKIP_1) | instid1(VALU_DEP_2)
	v_cndmask_b32_e32 v52, v52, v22, vcc_lo
	v_cmp_eq_u32_e32 vcc_lo, 9, v48
	v_cndmask_b32_e32 v52, v52, v23, vcc_lo
	v_cmp_eq_u32_e32 vcc_lo, 10, v48
	v_add_nc_u64_e32 v[48:49], 1, v[48:49]
	s_delay_alu instid0(VALU_DEP_3) | instskip(SKIP_2) | instid1(VALU_DEP_2)
	v_cndmask_b32_e32 v52, v52, v24, vcc_lo
	v_cmp_eq_u32_e32 vcc_lo, 0, v50
	s_wait_dscnt 0x0
	v_fmac_f32_e32 v25, v52, v53
	s_or_b32 s2, vcc_lo, s2
	s_delay_alu instid0(SALU_CYCLE_1)
	s_and_not1_b32 exec_lo, exec_lo, s2
	s_cbranch_execnz .LBB10_29
; %bb.30:
	s_or_b32 exec_lo, exec_lo, s2
.LBB10_31:
	s_delay_alu instid0(SALU_CYCLE_1)
	s_or_b32 exec_lo, exec_lo, s0
.LBB10_32:
	s_delay_alu instid0(SALU_CYCLE_1)
	s_or_b32 exec_lo, exec_lo, s5
	v_mov_b32_e32 v21, 0
	ds_load_b32 v21, v21 offset:28
	s_wait_dscnt 0x0
	v_mul_f32_e32 v21, v25, v21
.LBB10_33:
	s_or_b32 exec_lo, exec_lo, s4
	v_cmp_lt_u32_e64 s0, 6, v0
	ds_store_b32 v13, v20
	s_wait_dscnt 0x0
	s_barrier_signal -1
	s_barrier_wait -1
	s_and_saveexec_b32 s4, s0
	s_cbranch_execz .LBB10_49
; %bb.34:
	s_and_not1_b32 vcc_lo, exec_lo, s11
	s_cbranch_vccnz .LBB10_36
; %bb.35:
	v_cmp_eq_u32_e32 vcc_lo, 1, v0
	ds_load_b32 v48, v13
	v_cndmask_b32_e32 v25, v14, v15, vcc_lo
	v_cmp_eq_u32_e32 vcc_lo, 2, v0
	s_delay_alu instid0(VALU_DEP_2) | instskip(SKIP_1) | instid1(VALU_DEP_2)
	v_cndmask_b32_e32 v25, v25, v16, vcc_lo
	v_cmp_eq_u32_e32 vcc_lo, 3, v0
	v_cndmask_b32_e32 v25, v25, v17, vcc_lo
	v_cmp_eq_u32_e32 vcc_lo, 4, v0
	s_delay_alu instid0(VALU_DEP_2) | instskip(SKIP_1) | instid1(VALU_DEP_2)
	v_cndmask_b32_e32 v25, v25, v18, vcc_lo
	v_cmp_eq_u32_e32 vcc_lo, 5, v0
	;; [unrolled: 5-line block ×4, first 2 shown]
	v_cndmask_b32_e32 v25, v25, v23, vcc_lo
	v_cmp_eq_u32_e32 vcc_lo, 10, v0
	s_delay_alu instid0(VALU_DEP_2) | instskip(SKIP_1) | instid1(VALU_DEP_1)
	v_cndmask_b32_e32 v25, v25, v24, vcc_lo
	s_wait_dscnt 0x0
	v_mul_f32_e32 v25, v25, v48
	s_cbranch_execz .LBB10_37
	s_branch .LBB10_38
.LBB10_36:
                                        ; implicit-def: $vgpr25
.LBB10_37:
	ds_load_b32 v25, v13
.LBB10_38:
	s_and_saveexec_b32 s5, s1
	s_cbranch_execz .LBB10_48
; %bb.39:
	v_dual_add_nc_u32 v48, -8, v0 :: v_dual_add_nc_u32 v49, -7, v0
	s_delay_alu instid0(VALU_DEP_1)
	v_cmp_lt_u32_e32 vcc_lo, 6, v48
	v_mov_b32_e32 v48, 7
	s_and_saveexec_b32 s1, vcc_lo
	s_cbranch_execz .LBB10_43
; %bb.40:
	v_and_b32_e32 v48, -8, v49
	s_mov_b32 s6, 0
	s_mov_b64 s[2:3], 14
	s_movk_i32 s7, 0x4c
	s_delay_alu instid0(VALU_DEP_1)
	v_sub_nc_u32_e32 v50, 0, v48
.LBB10_41:                              ; =>This Inner Loop Header: Depth=1
	s_add_co_i32 m0, s2, -7
	v_movrels_b32_e32 v51, v14
	v_mov_b32_e32 v48, s7
	s_add_co_i32 m0, s2, -6
	s_add_co_i32 s7, s7, 32
	v_movrels_b32_e32 v60, v14
	ds_load_2addr_b32 v[52:53], v48 offset1:1
	ds_load_2addr_b32 v[54:55], v48 offset0:2 offset1:3
	s_add_co_i32 m0, s2, -5
	s_wait_dscnt 0x1
	v_fmac_f32_e32 v25, v51, v52
	ds_load_2addr_b32 v[56:57], v48 offset0:4 offset1:5
	ds_load_2addr_b32 v[58:59], v48 offset0:6 offset1:7
	v_movrels_b32_e32 v48, v14
	s_add_co_i32 m0, s2, -4
	v_fmac_f32_e32 v25, v60, v53
	v_movrels_b32_e32 v51, v14
	s_add_co_i32 m0, s2, -3
	s_wait_dscnt 0x2
	s_delay_alu instid0(VALU_DEP_2) | instskip(SKIP_2) | instid1(VALU_DEP_2)
	v_fmac_f32_e32 v25, v48, v54
	v_movrels_b32_e32 v48, v14
	s_add_co_i32 m0, s2, -2
	v_fmac_f32_e32 v25, v51, v55
	v_movrels_b32_e32 v51, v14
	s_add_co_i32 m0, s2, -1
	s_wait_dscnt 0x1
	s_delay_alu instid0(VALU_DEP_2)
	v_fmac_f32_e32 v25, v48, v56
	v_movrels_b32_e32 v48, v14
	s_mov_b32 m0, s2
	s_add_nc_u64 s[2:3], s[2:3], 8
	v_movrels_b32_e32 v52, v14
	v_dual_fmac_f32 v25, v51, v57 :: v_dual_add_nc_u32 v51, s2, v50
	s_add_co_i32 s8, s2, -7
	s_wait_dscnt 0x0
	s_delay_alu instid0(VALU_DEP_1) | instskip(NEXT) | instid1(VALU_DEP_2)
	v_fmac_f32_e32 v25, v48, v58
	v_cmp_eq_u32_e32 vcc_lo, 14, v51
	s_delay_alu instid0(VALU_DEP_2) | instskip(SKIP_1) | instid1(SALU_CYCLE_1)
	v_dual_mov_b32 v48, s8 :: v_dual_fmac_f32 v25, v52, v59
	s_or_b32 s6, vcc_lo, s6
	s_and_not1_b32 exec_lo, exec_lo, s6
	s_cbranch_execnz .LBB10_41
; %bb.42:
	s_or_b32 exec_lo, exec_lo, s6
.LBB10_43:
	s_delay_alu instid0(SALU_CYCLE_1) | instskip(SKIP_3) | instid1(VALU_DEP_1)
	s_or_b32 exec_lo, exec_lo, s1
	v_and_b32_e32 v50, 7, v49
	s_mov_b32 s2, 0
	s_mov_b32 s1, exec_lo
	v_cmpx_ne_u32_e32 0, v50
	s_cbranch_execz .LBB10_47
; %bb.44:
	v_lshl_add_u32 v51, v48, 2, 48
	v_mov_b32_e32 v49, 0
.LBB10_45:                              ; =>This Inner Loop Header: Depth=1
	v_cmp_eq_u32_e32 vcc_lo, 1, v48
	ds_load_b32 v53, v51
	v_dual_add_nc_u32 v50, -1, v50 :: v_dual_add_nc_u32 v51, 4, v51
	v_cndmask_b32_e32 v52, v14, v15, vcc_lo
	v_cmp_eq_u32_e32 vcc_lo, 2, v48
	s_delay_alu instid0(VALU_DEP_2) | instskip(SKIP_1) | instid1(VALU_DEP_2)
	v_cndmask_b32_e32 v52, v52, v16, vcc_lo
	v_cmp_eq_u32_e32 vcc_lo, 3, v48
	v_cndmask_b32_e32 v52, v52, v17, vcc_lo
	v_cmp_eq_u32_e32 vcc_lo, 4, v48
	s_delay_alu instid0(VALU_DEP_2) | instskip(SKIP_1) | instid1(VALU_DEP_2)
	v_cndmask_b32_e32 v52, v52, v18, vcc_lo
	v_cmp_eq_u32_e32 vcc_lo, 5, v48
	v_cndmask_b32_e32 v52, v52, v19, vcc_lo
	v_cmp_eq_u32_e32 vcc_lo, 6, v48
	s_delay_alu instid0(VALU_DEP_2) | instskip(SKIP_1) | instid1(VALU_DEP_2)
	v_cndmask_b32_e32 v52, v52, v20, vcc_lo
	v_cmp_eq_u32_e32 vcc_lo, 7, v48
	v_cndmask_b32_e32 v52, v52, v21, vcc_lo
	v_cmp_eq_u32_e32 vcc_lo, 8, v48
	s_delay_alu instid0(VALU_DEP_2) | instskip(SKIP_1) | instid1(VALU_DEP_2)
	v_cndmask_b32_e32 v52, v52, v22, vcc_lo
	v_cmp_eq_u32_e32 vcc_lo, 9, v48
	v_cndmask_b32_e32 v52, v52, v23, vcc_lo
	v_cmp_eq_u32_e32 vcc_lo, 10, v48
	v_add_nc_u64_e32 v[48:49], 1, v[48:49]
	s_delay_alu instid0(VALU_DEP_3) | instskip(SKIP_2) | instid1(VALU_DEP_2)
	v_cndmask_b32_e32 v52, v52, v24, vcc_lo
	v_cmp_eq_u32_e32 vcc_lo, 0, v50
	s_wait_dscnt 0x0
	v_fmac_f32_e32 v25, v52, v53
	s_or_b32 s2, vcc_lo, s2
	s_delay_alu instid0(SALU_CYCLE_1)
	s_and_not1_b32 exec_lo, exec_lo, s2
	s_cbranch_execnz .LBB10_45
; %bb.46:
	s_or_b32 exec_lo, exec_lo, s2
.LBB10_47:
	s_delay_alu instid0(SALU_CYCLE_1)
	s_or_b32 exec_lo, exec_lo, s1
.LBB10_48:
	s_delay_alu instid0(SALU_CYCLE_1)
	s_or_b32 exec_lo, exec_lo, s5
	v_mov_b32_e32 v20, 0
	ds_load_b32 v20, v20 offset:24
	s_wait_dscnt 0x0
	v_mul_f32_e32 v20, v25, v20
.LBB10_49:
	s_or_b32 exec_lo, exec_lo, s4
	v_cmp_lt_u32_e64 s1, 5, v0
	ds_store_b32 v13, v19
	s_wait_dscnt 0x0
	s_barrier_signal -1
	s_barrier_wait -1
	s_and_saveexec_b32 s4, s1
	s_cbranch_execz .LBB10_65
; %bb.50:
	s_and_not1_b32 vcc_lo, exec_lo, s11
	s_cbranch_vccnz .LBB10_52
; %bb.51:
	v_cmp_eq_u32_e32 vcc_lo, 1, v0
	ds_load_b32 v48, v13
	v_cndmask_b32_e32 v25, v14, v15, vcc_lo
	v_cmp_eq_u32_e32 vcc_lo, 2, v0
	s_delay_alu instid0(VALU_DEP_2) | instskip(SKIP_1) | instid1(VALU_DEP_2)
	v_cndmask_b32_e32 v25, v25, v16, vcc_lo
	v_cmp_eq_u32_e32 vcc_lo, 3, v0
	v_cndmask_b32_e32 v25, v25, v17, vcc_lo
	v_cmp_eq_u32_e32 vcc_lo, 4, v0
	s_delay_alu instid0(VALU_DEP_2) | instskip(SKIP_1) | instid1(VALU_DEP_2)
	v_cndmask_b32_e32 v25, v25, v18, vcc_lo
	v_cmp_eq_u32_e32 vcc_lo, 5, v0
	;; [unrolled: 5-line block ×4, first 2 shown]
	v_cndmask_b32_e32 v25, v25, v23, vcc_lo
	v_cmp_eq_u32_e32 vcc_lo, 10, v0
	s_delay_alu instid0(VALU_DEP_2) | instskip(SKIP_1) | instid1(VALU_DEP_1)
	v_cndmask_b32_e32 v25, v25, v24, vcc_lo
	s_wait_dscnt 0x0
	v_mul_f32_e32 v25, v25, v48
	s_cbranch_execz .LBB10_53
	s_branch .LBB10_54
.LBB10_52:
                                        ; implicit-def: $vgpr25
.LBB10_53:
	ds_load_b32 v25, v13
.LBB10_54:
	s_and_saveexec_b32 s5, s0
	s_cbranch_execz .LBB10_64
; %bb.55:
	v_dual_add_nc_u32 v50, -7, v0 :: v_dual_add_nc_u32 v49, -6, v0
	v_mov_b32_e32 v48, 6
	s_mov_b32 s0, exec_lo
	s_delay_alu instid0(VALU_DEP_2)
	v_cmpx_lt_u32_e32 6, v50
	s_cbranch_execz .LBB10_59
; %bb.56:
	v_and_b32_e32 v48, -8, v49
	s_mov_b32 s6, 0
	s_mov_b64 s[2:3], 13
	s_movk_i32 s7, 0x48
	s_delay_alu instid0(VALU_DEP_1)
	v_sub_nc_u32_e32 v50, 0, v48
.LBB10_57:                              ; =>This Inner Loop Header: Depth=1
	s_add_co_i32 m0, s2, -7
	v_movrels_b32_e32 v51, v14
	v_mov_b32_e32 v48, s7
	s_add_co_i32 m0, s2, -6
	s_add_co_i32 s7, s7, 32
	v_movrels_b32_e32 v60, v14
	s_add_co_i32 m0, s2, -5
	ds_load_2addr_b64 v[52:55], v48 offset1:1
	ds_load_2addr_b64 v[56:59], v48 offset0:2 offset1:3
	v_movrels_b32_e32 v48, v14
	s_add_co_i32 m0, s2, -4
	s_wait_dscnt 0x1
	v_fmac_f32_e32 v25, v51, v52
	v_movrels_b32_e32 v51, v14
	s_add_co_i32 m0, s2, -3
	s_delay_alu instid0(VALU_DEP_2) | instskip(NEXT) | instid1(VALU_DEP_1)
	v_fmac_f32_e32 v25, v60, v53
	v_fmac_f32_e32 v25, v48, v54
	v_movrels_b32_e32 v48, v14
	s_add_co_i32 m0, s2, -2
	s_delay_alu instid0(VALU_DEP_2) | instskip(SKIP_3) | instid1(VALU_DEP_2)
	v_fmac_f32_e32 v25, v51, v55
	v_movrels_b32_e32 v51, v14
	s_add_co_i32 m0, s2, -1
	s_wait_dscnt 0x0
	v_fmac_f32_e32 v25, v48, v56
	v_movrels_b32_e32 v48, v14
	s_mov_b32 m0, s2
	s_add_nc_u64 s[2:3], s[2:3], 8
	v_movrels_b32_e32 v52, v14
	v_dual_fmac_f32 v25, v51, v57 :: v_dual_add_nc_u32 v51, s2, v50
	s_add_co_i32 s8, s2, -7
	s_delay_alu instid0(VALU_DEP_1) | instskip(NEXT) | instid1(VALU_DEP_2)
	v_fmac_f32_e32 v25, v48, v58
	v_cmp_eq_u32_e32 vcc_lo, 13, v51
	s_delay_alu instid0(VALU_DEP_2) | instskip(SKIP_1) | instid1(SALU_CYCLE_1)
	v_dual_mov_b32 v48, s8 :: v_dual_fmac_f32 v25, v52, v59
	s_or_b32 s6, vcc_lo, s6
	s_and_not1_b32 exec_lo, exec_lo, s6
	s_cbranch_execnz .LBB10_57
; %bb.58:
	s_or_b32 exec_lo, exec_lo, s6
.LBB10_59:
	s_delay_alu instid0(SALU_CYCLE_1) | instskip(SKIP_3) | instid1(VALU_DEP_1)
	s_or_b32 exec_lo, exec_lo, s0
	v_and_b32_e32 v50, 7, v49
	s_mov_b32 s2, 0
	s_mov_b32 s0, exec_lo
	v_cmpx_ne_u32_e32 0, v50
	s_cbranch_execz .LBB10_63
; %bb.60:
	v_lshl_add_u32 v51, v48, 2, 48
	v_mov_b32_e32 v49, 0
.LBB10_61:                              ; =>This Inner Loop Header: Depth=1
	v_cmp_eq_u32_e32 vcc_lo, 1, v48
	ds_load_b32 v53, v51
	v_dual_add_nc_u32 v50, -1, v50 :: v_dual_add_nc_u32 v51, 4, v51
	v_cndmask_b32_e32 v52, v14, v15, vcc_lo
	v_cmp_eq_u32_e32 vcc_lo, 2, v48
	s_delay_alu instid0(VALU_DEP_2) | instskip(SKIP_1) | instid1(VALU_DEP_2)
	v_cndmask_b32_e32 v52, v52, v16, vcc_lo
	v_cmp_eq_u32_e32 vcc_lo, 3, v48
	v_cndmask_b32_e32 v52, v52, v17, vcc_lo
	v_cmp_eq_u32_e32 vcc_lo, 4, v48
	s_delay_alu instid0(VALU_DEP_2) | instskip(SKIP_1) | instid1(VALU_DEP_2)
	v_cndmask_b32_e32 v52, v52, v18, vcc_lo
	v_cmp_eq_u32_e32 vcc_lo, 5, v48
	;; [unrolled: 5-line block ×4, first 2 shown]
	v_cndmask_b32_e32 v52, v52, v23, vcc_lo
	v_cmp_eq_u32_e32 vcc_lo, 10, v48
	v_add_nc_u64_e32 v[48:49], 1, v[48:49]
	s_delay_alu instid0(VALU_DEP_3) | instskip(SKIP_2) | instid1(VALU_DEP_2)
	v_cndmask_b32_e32 v52, v52, v24, vcc_lo
	v_cmp_eq_u32_e32 vcc_lo, 0, v50
	s_wait_dscnt 0x0
	v_fmac_f32_e32 v25, v52, v53
	s_or_b32 s2, vcc_lo, s2
	s_delay_alu instid0(SALU_CYCLE_1)
	s_and_not1_b32 exec_lo, exec_lo, s2
	s_cbranch_execnz .LBB10_61
; %bb.62:
	s_or_b32 exec_lo, exec_lo, s2
.LBB10_63:
	s_delay_alu instid0(SALU_CYCLE_1)
	s_or_b32 exec_lo, exec_lo, s0
.LBB10_64:
	s_delay_alu instid0(SALU_CYCLE_1)
	s_or_b32 exec_lo, exec_lo, s5
	v_mov_b32_e32 v19, 0
	ds_load_b32 v19, v19 offset:20
	s_wait_dscnt 0x0
	v_mul_f32_e32 v19, v25, v19
.LBB10_65:
	s_or_b32 exec_lo, exec_lo, s4
	v_cmp_lt_u32_e64 s0, 4, v0
	ds_store_b32 v13, v18
	s_wait_dscnt 0x0
	s_barrier_signal -1
	s_barrier_wait -1
	s_and_saveexec_b32 s4, s0
	s_cbranch_execz .LBB10_81
; %bb.66:
	s_and_not1_b32 vcc_lo, exec_lo, s11
	s_cbranch_vccnz .LBB10_68
; %bb.67:
	v_cmp_eq_u32_e32 vcc_lo, 1, v0
	ds_load_b32 v48, v13
	v_cndmask_b32_e32 v25, v14, v15, vcc_lo
	v_cmp_eq_u32_e32 vcc_lo, 2, v0
	s_delay_alu instid0(VALU_DEP_2) | instskip(SKIP_1) | instid1(VALU_DEP_2)
	v_cndmask_b32_e32 v25, v25, v16, vcc_lo
	v_cmp_eq_u32_e32 vcc_lo, 3, v0
	v_cndmask_b32_e32 v25, v25, v17, vcc_lo
	v_cmp_eq_u32_e32 vcc_lo, 4, v0
	s_delay_alu instid0(VALU_DEP_2) | instskip(SKIP_1) | instid1(VALU_DEP_2)
	v_cndmask_b32_e32 v25, v25, v18, vcc_lo
	v_cmp_eq_u32_e32 vcc_lo, 5, v0
	;; [unrolled: 5-line block ×4, first 2 shown]
	v_cndmask_b32_e32 v25, v25, v23, vcc_lo
	v_cmp_eq_u32_e32 vcc_lo, 10, v0
	s_delay_alu instid0(VALU_DEP_2) | instskip(SKIP_1) | instid1(VALU_DEP_1)
	v_cndmask_b32_e32 v25, v25, v24, vcc_lo
	s_wait_dscnt 0x0
	v_mul_f32_e32 v25, v25, v48
	s_cbranch_execz .LBB10_69
	s_branch .LBB10_70
.LBB10_68:
                                        ; implicit-def: $vgpr25
.LBB10_69:
	ds_load_b32 v25, v13
.LBB10_70:
	s_and_saveexec_b32 s5, s1
	s_cbranch_execz .LBB10_80
; %bb.71:
	v_dual_add_nc_u32 v48, -6, v0 :: v_dual_add_nc_u32 v49, -5, v0
	s_delay_alu instid0(VALU_DEP_1)
	v_cmp_lt_u32_e32 vcc_lo, 6, v48
	v_mov_b32_e32 v48, 5
	s_and_saveexec_b32 s1, vcc_lo
	s_cbranch_execz .LBB10_75
; %bb.72:
	v_and_b32_e32 v48, -8, v49
	s_mov_b32 s6, 0
	s_mov_b64 s[2:3], 12
	s_movk_i32 s7, 0x44
	s_delay_alu instid0(VALU_DEP_1)
	v_sub_nc_u32_e32 v50, 0, v48
.LBB10_73:                              ; =>This Inner Loop Header: Depth=1
	s_add_co_i32 m0, s2, -7
	v_movrels_b32_e32 v51, v14
	v_mov_b32_e32 v48, s7
	s_add_co_i32 m0, s2, -6
	s_add_co_i32 s7, s7, 32
	v_movrels_b32_e32 v60, v14
	ds_load_2addr_b32 v[52:53], v48 offset1:1
	ds_load_2addr_b32 v[54:55], v48 offset0:2 offset1:3
	s_add_co_i32 m0, s2, -5
	s_wait_dscnt 0x1
	v_fmac_f32_e32 v25, v51, v52
	ds_load_2addr_b32 v[56:57], v48 offset0:4 offset1:5
	ds_load_2addr_b32 v[58:59], v48 offset0:6 offset1:7
	v_movrels_b32_e32 v48, v14
	s_add_co_i32 m0, s2, -4
	v_fmac_f32_e32 v25, v60, v53
	v_movrels_b32_e32 v51, v14
	s_add_co_i32 m0, s2, -3
	s_wait_dscnt 0x2
	s_delay_alu instid0(VALU_DEP_2) | instskip(SKIP_2) | instid1(VALU_DEP_2)
	v_fmac_f32_e32 v25, v48, v54
	v_movrels_b32_e32 v48, v14
	s_add_co_i32 m0, s2, -2
	v_fmac_f32_e32 v25, v51, v55
	v_movrels_b32_e32 v51, v14
	s_add_co_i32 m0, s2, -1
	s_wait_dscnt 0x1
	s_delay_alu instid0(VALU_DEP_2)
	v_fmac_f32_e32 v25, v48, v56
	v_movrels_b32_e32 v48, v14
	s_mov_b32 m0, s2
	s_add_nc_u64 s[2:3], s[2:3], 8
	v_movrels_b32_e32 v52, v14
	v_dual_fmac_f32 v25, v51, v57 :: v_dual_add_nc_u32 v51, s2, v50
	s_add_co_i32 s8, s2, -7
	s_wait_dscnt 0x0
	s_delay_alu instid0(VALU_DEP_1) | instskip(NEXT) | instid1(VALU_DEP_2)
	v_fmac_f32_e32 v25, v48, v58
	v_cmp_eq_u32_e32 vcc_lo, 12, v51
	s_delay_alu instid0(VALU_DEP_2) | instskip(SKIP_1) | instid1(SALU_CYCLE_1)
	v_dual_mov_b32 v48, s8 :: v_dual_fmac_f32 v25, v52, v59
	s_or_b32 s6, vcc_lo, s6
	s_and_not1_b32 exec_lo, exec_lo, s6
	s_cbranch_execnz .LBB10_73
; %bb.74:
	s_or_b32 exec_lo, exec_lo, s6
.LBB10_75:
	s_delay_alu instid0(SALU_CYCLE_1) | instskip(SKIP_3) | instid1(VALU_DEP_1)
	s_or_b32 exec_lo, exec_lo, s1
	v_and_b32_e32 v50, 7, v49
	s_mov_b32 s2, 0
	s_mov_b32 s1, exec_lo
	v_cmpx_ne_u32_e32 0, v50
	s_cbranch_execz .LBB10_79
; %bb.76:
	v_lshl_add_u32 v51, v48, 2, 48
	v_mov_b32_e32 v49, 0
.LBB10_77:                              ; =>This Inner Loop Header: Depth=1
	v_cmp_eq_u32_e32 vcc_lo, 1, v48
	ds_load_b32 v53, v51
	v_dual_add_nc_u32 v50, -1, v50 :: v_dual_add_nc_u32 v51, 4, v51
	v_cndmask_b32_e32 v52, v14, v15, vcc_lo
	v_cmp_eq_u32_e32 vcc_lo, 2, v48
	s_delay_alu instid0(VALU_DEP_2) | instskip(SKIP_1) | instid1(VALU_DEP_2)
	v_cndmask_b32_e32 v52, v52, v16, vcc_lo
	v_cmp_eq_u32_e32 vcc_lo, 3, v48
	v_cndmask_b32_e32 v52, v52, v17, vcc_lo
	v_cmp_eq_u32_e32 vcc_lo, 4, v48
	s_delay_alu instid0(VALU_DEP_2) | instskip(SKIP_1) | instid1(VALU_DEP_2)
	v_cndmask_b32_e32 v52, v52, v18, vcc_lo
	v_cmp_eq_u32_e32 vcc_lo, 5, v48
	;; [unrolled: 5-line block ×4, first 2 shown]
	v_cndmask_b32_e32 v52, v52, v23, vcc_lo
	v_cmp_eq_u32_e32 vcc_lo, 10, v48
	v_add_nc_u64_e32 v[48:49], 1, v[48:49]
	s_delay_alu instid0(VALU_DEP_3) | instskip(SKIP_2) | instid1(VALU_DEP_2)
	v_cndmask_b32_e32 v52, v52, v24, vcc_lo
	v_cmp_eq_u32_e32 vcc_lo, 0, v50
	s_wait_dscnt 0x0
	v_fmac_f32_e32 v25, v52, v53
	s_or_b32 s2, vcc_lo, s2
	s_delay_alu instid0(SALU_CYCLE_1)
	s_and_not1_b32 exec_lo, exec_lo, s2
	s_cbranch_execnz .LBB10_77
; %bb.78:
	s_or_b32 exec_lo, exec_lo, s2
.LBB10_79:
	s_delay_alu instid0(SALU_CYCLE_1)
	s_or_b32 exec_lo, exec_lo, s1
.LBB10_80:
	s_delay_alu instid0(SALU_CYCLE_1)
	s_or_b32 exec_lo, exec_lo, s5
	v_mov_b32_e32 v18, 0
	ds_load_b32 v18, v18 offset:16
	s_wait_dscnt 0x0
	v_mul_f32_e32 v18, v25, v18
.LBB10_81:
	s_or_b32 exec_lo, exec_lo, s4
	v_cmp_lt_u32_e64 s1, 3, v0
	ds_store_b32 v13, v17
	s_wait_dscnt 0x0
	s_barrier_signal -1
	s_barrier_wait -1
	s_and_saveexec_b32 s4, s1
	s_cbranch_execz .LBB10_97
; %bb.82:
	s_and_not1_b32 vcc_lo, exec_lo, s11
	s_cbranch_vccnz .LBB10_84
; %bb.83:
	v_cmp_eq_u32_e32 vcc_lo, 1, v0
	ds_load_b32 v48, v13
	v_cndmask_b32_e32 v25, v14, v15, vcc_lo
	v_cmp_eq_u32_e32 vcc_lo, 2, v0
	s_delay_alu instid0(VALU_DEP_2) | instskip(SKIP_1) | instid1(VALU_DEP_2)
	v_cndmask_b32_e32 v25, v25, v16, vcc_lo
	v_cmp_eq_u32_e32 vcc_lo, 3, v0
	v_cndmask_b32_e32 v25, v25, v17, vcc_lo
	v_cmp_eq_u32_e32 vcc_lo, 4, v0
	s_delay_alu instid0(VALU_DEP_2) | instskip(SKIP_1) | instid1(VALU_DEP_2)
	v_cndmask_b32_e32 v25, v25, v18, vcc_lo
	v_cmp_eq_u32_e32 vcc_lo, 5, v0
	;; [unrolled: 5-line block ×4, first 2 shown]
	v_cndmask_b32_e32 v25, v25, v23, vcc_lo
	v_cmp_eq_u32_e32 vcc_lo, 10, v0
	s_delay_alu instid0(VALU_DEP_2) | instskip(SKIP_1) | instid1(VALU_DEP_1)
	v_cndmask_b32_e32 v25, v25, v24, vcc_lo
	s_wait_dscnt 0x0
	v_mul_f32_e32 v25, v25, v48
	s_cbranch_execz .LBB10_85
	s_branch .LBB10_86
.LBB10_84:
                                        ; implicit-def: $vgpr25
.LBB10_85:
	ds_load_b32 v25, v13
.LBB10_86:
	s_and_saveexec_b32 s5, s0
	s_cbranch_execz .LBB10_96
; %bb.87:
	v_dual_add_nc_u32 v48, -5, v0 :: v_dual_add_nc_u32 v49, -4, v0
	s_delay_alu instid0(VALU_DEP_1)
	v_cmp_lt_u32_e32 vcc_lo, 6, v48
	v_mov_b32_e32 v48, 4
	s_and_saveexec_b32 s0, vcc_lo
	s_cbranch_execz .LBB10_91
; %bb.88:
	v_and_b32_e32 v48, -8, v49
	s_mov_b32 s6, 0
	s_mov_b64 s[2:3], 5
	s_mov_b32 s7, 64
	s_delay_alu instid0(VALU_DEP_1)
	v_sub_nc_u32_e32 v50, 0, v48
.LBB10_89:                              ; =>This Inner Loop Header: Depth=1
	s_add_co_i32 m0, s2, -1
	v_movrels_b32_e32 v51, v14
	v_mov_b32_e32 v48, s7
	s_mov_b32 m0, s2
	s_add_co_i32 s7, s7, 32
	v_movrels_b32_e32 v60, v14
	s_add_co_i32 m0, s2, 1
	ds_load_b128 v[52:55], v48
	ds_load_b128 v[56:59], v48 offset:16
	v_movrels_b32_e32 v48, v14
	s_add_co_i32 m0, s2, 2
	s_wait_dscnt 0x1
	v_fmac_f32_e32 v25, v51, v52
	v_movrels_b32_e32 v51, v14
	s_add_co_i32 m0, s2, 3
	s_delay_alu instid0(VALU_DEP_2) | instskip(NEXT) | instid1(VALU_DEP_1)
	v_fmac_f32_e32 v25, v60, v53
	v_fmac_f32_e32 v25, v48, v54
	v_movrels_b32_e32 v48, v14
	s_add_co_i32 m0, s2, 4
	s_delay_alu instid0(VALU_DEP_2) | instskip(SKIP_3) | instid1(VALU_DEP_2)
	v_fmac_f32_e32 v25, v51, v55
	v_movrels_b32_e32 v51, v14
	s_add_co_i32 m0, s2, 5
	s_wait_dscnt 0x0
	v_fmac_f32_e32 v25, v48, v56
	v_movrels_b32_e32 v48, v14
	s_add_co_i32 m0, s2, 6
	s_add_nc_u64 s[2:3], s[2:3], 8
	v_movrels_b32_e32 v52, v14
	v_dual_fmac_f32 v25, v51, v57 :: v_dual_add_nc_u32 v51, s2, v50
	s_add_co_i32 s8, s2, -1
	s_delay_alu instid0(VALU_DEP_1) | instskip(NEXT) | instid1(VALU_DEP_2)
	v_fmac_f32_e32 v25, v48, v58
	v_cmp_eq_u32_e32 vcc_lo, 5, v51
	s_delay_alu instid0(VALU_DEP_2) | instskip(SKIP_1) | instid1(SALU_CYCLE_1)
	v_dual_mov_b32 v48, s8 :: v_dual_fmac_f32 v25, v52, v59
	s_or_b32 s6, vcc_lo, s6
	s_and_not1_b32 exec_lo, exec_lo, s6
	s_cbranch_execnz .LBB10_89
; %bb.90:
	s_or_b32 exec_lo, exec_lo, s6
.LBB10_91:
	s_delay_alu instid0(SALU_CYCLE_1) | instskip(SKIP_3) | instid1(VALU_DEP_1)
	s_or_b32 exec_lo, exec_lo, s0
	v_and_b32_e32 v50, 7, v49
	s_mov_b32 s2, 0
	s_mov_b32 s0, exec_lo
	v_cmpx_ne_u32_e32 0, v50
	s_cbranch_execz .LBB10_95
; %bb.92:
	v_lshl_add_u32 v51, v48, 2, 48
	v_mov_b32_e32 v49, 0
.LBB10_93:                              ; =>This Inner Loop Header: Depth=1
	v_cmp_eq_u32_e32 vcc_lo, 1, v48
	ds_load_b32 v53, v51
	v_dual_add_nc_u32 v50, -1, v50 :: v_dual_add_nc_u32 v51, 4, v51
	v_cndmask_b32_e32 v52, v14, v15, vcc_lo
	v_cmp_eq_u32_e32 vcc_lo, 2, v48
	s_delay_alu instid0(VALU_DEP_2) | instskip(SKIP_1) | instid1(VALU_DEP_2)
	v_cndmask_b32_e32 v52, v52, v16, vcc_lo
	v_cmp_eq_u32_e32 vcc_lo, 3, v48
	v_cndmask_b32_e32 v52, v52, v17, vcc_lo
	v_cmp_eq_u32_e32 vcc_lo, 4, v48
	s_delay_alu instid0(VALU_DEP_2) | instskip(SKIP_1) | instid1(VALU_DEP_2)
	v_cndmask_b32_e32 v52, v52, v18, vcc_lo
	v_cmp_eq_u32_e32 vcc_lo, 5, v48
	;; [unrolled: 5-line block ×4, first 2 shown]
	v_cndmask_b32_e32 v52, v52, v23, vcc_lo
	v_cmp_eq_u32_e32 vcc_lo, 10, v48
	v_add_nc_u64_e32 v[48:49], 1, v[48:49]
	s_delay_alu instid0(VALU_DEP_3) | instskip(SKIP_2) | instid1(VALU_DEP_2)
	v_cndmask_b32_e32 v52, v52, v24, vcc_lo
	v_cmp_eq_u32_e32 vcc_lo, 0, v50
	s_wait_dscnt 0x0
	v_fmac_f32_e32 v25, v52, v53
	s_or_b32 s2, vcc_lo, s2
	s_delay_alu instid0(SALU_CYCLE_1)
	s_and_not1_b32 exec_lo, exec_lo, s2
	s_cbranch_execnz .LBB10_93
; %bb.94:
	s_or_b32 exec_lo, exec_lo, s2
.LBB10_95:
	s_delay_alu instid0(SALU_CYCLE_1)
	s_or_b32 exec_lo, exec_lo, s0
.LBB10_96:
	s_delay_alu instid0(SALU_CYCLE_1)
	s_or_b32 exec_lo, exec_lo, s5
	v_mov_b32_e32 v17, 0
	ds_load_b32 v17, v17 offset:12
	s_wait_dscnt 0x0
	v_mul_f32_e32 v17, v25, v17
.LBB10_97:
	s_or_b32 exec_lo, exec_lo, s4
	v_cmp_lt_u32_e64 s0, 2, v0
	ds_store_b32 v13, v16
	s_wait_dscnt 0x0
	s_barrier_signal -1
	s_barrier_wait -1
	s_and_saveexec_b32 s4, s0
	s_cbranch_execz .LBB10_113
; %bb.98:
	s_and_not1_b32 vcc_lo, exec_lo, s11
	s_cbranch_vccnz .LBB10_100
; %bb.99:
	v_cmp_eq_u32_e32 vcc_lo, 1, v0
	ds_load_b32 v48, v13
	v_cndmask_b32_e32 v25, v14, v15, vcc_lo
	v_cmp_eq_u32_e32 vcc_lo, 2, v0
	s_delay_alu instid0(VALU_DEP_2) | instskip(SKIP_1) | instid1(VALU_DEP_2)
	v_cndmask_b32_e32 v25, v25, v16, vcc_lo
	v_cmp_eq_u32_e32 vcc_lo, 3, v0
	v_cndmask_b32_e32 v25, v25, v17, vcc_lo
	v_cmp_eq_u32_e32 vcc_lo, 4, v0
	s_delay_alu instid0(VALU_DEP_2) | instskip(SKIP_1) | instid1(VALU_DEP_2)
	v_cndmask_b32_e32 v25, v25, v18, vcc_lo
	v_cmp_eq_u32_e32 vcc_lo, 5, v0
	;; [unrolled: 5-line block ×4, first 2 shown]
	v_cndmask_b32_e32 v25, v25, v23, vcc_lo
	v_cmp_eq_u32_e32 vcc_lo, 10, v0
	s_delay_alu instid0(VALU_DEP_2) | instskip(SKIP_1) | instid1(VALU_DEP_1)
	v_cndmask_b32_e32 v25, v25, v24, vcc_lo
	s_wait_dscnt 0x0
	v_mul_f32_e32 v25, v25, v48
	s_cbranch_execz .LBB10_101
	s_branch .LBB10_102
.LBB10_100:
                                        ; implicit-def: $vgpr25
.LBB10_101:
	ds_load_b32 v25, v13
.LBB10_102:
	s_and_saveexec_b32 s5, s1
	s_cbranch_execz .LBB10_112
; %bb.103:
	v_dual_add_nc_u32 v48, -4, v0 :: v_dual_add_nc_u32 v49, -3, v0
	s_delay_alu instid0(VALU_DEP_1)
	v_cmp_lt_u32_e32 vcc_lo, 6, v48
	v_mov_b32_e32 v48, 3
	s_and_saveexec_b32 s1, vcc_lo
	s_cbranch_execz .LBB10_107
; %bb.104:
	v_and_b32_e32 v48, -8, v49
	s_mov_b32 s6, 0
	s_mov_b64 s[2:3], 10
	s_mov_b32 s7, 60
	s_delay_alu instid0(VALU_DEP_1)
	v_sub_nc_u32_e32 v50, 0, v48
.LBB10_105:                             ; =>This Inner Loop Header: Depth=1
	s_add_co_i32 m0, s2, -7
	v_movrels_b32_e32 v51, v14
	v_mov_b32_e32 v48, s7
	s_add_co_i32 m0, s2, -6
	s_add_co_i32 s7, s7, 32
	v_movrels_b32_e32 v60, v14
	ds_load_2addr_b32 v[52:53], v48 offset1:1
	ds_load_2addr_b32 v[54:55], v48 offset0:2 offset1:3
	s_add_co_i32 m0, s2, -5
	s_wait_dscnt 0x1
	v_fmac_f32_e32 v25, v51, v52
	ds_load_2addr_b32 v[56:57], v48 offset0:4 offset1:5
	ds_load_2addr_b32 v[58:59], v48 offset0:6 offset1:7
	v_movrels_b32_e32 v48, v14
	s_add_co_i32 m0, s2, -4
	v_fmac_f32_e32 v25, v60, v53
	v_movrels_b32_e32 v51, v14
	s_add_co_i32 m0, s2, -3
	s_wait_dscnt 0x2
	s_delay_alu instid0(VALU_DEP_2) | instskip(SKIP_2) | instid1(VALU_DEP_2)
	v_fmac_f32_e32 v25, v48, v54
	v_movrels_b32_e32 v48, v14
	s_add_co_i32 m0, s2, -2
	v_fmac_f32_e32 v25, v51, v55
	v_movrels_b32_e32 v51, v14
	s_add_co_i32 m0, s2, -1
	s_wait_dscnt 0x1
	s_delay_alu instid0(VALU_DEP_2)
	v_fmac_f32_e32 v25, v48, v56
	v_movrels_b32_e32 v48, v14
	s_mov_b32 m0, s2
	s_add_nc_u64 s[2:3], s[2:3], 8
	v_movrels_b32_e32 v52, v14
	v_dual_fmac_f32 v25, v51, v57 :: v_dual_add_nc_u32 v51, s2, v50
	s_add_co_i32 s8, s2, -7
	s_wait_dscnt 0x0
	s_delay_alu instid0(VALU_DEP_1) | instskip(NEXT) | instid1(VALU_DEP_2)
	v_fmac_f32_e32 v25, v48, v58
	v_cmp_eq_u32_e32 vcc_lo, 10, v51
	s_delay_alu instid0(VALU_DEP_2) | instskip(SKIP_1) | instid1(SALU_CYCLE_1)
	v_dual_mov_b32 v48, s8 :: v_dual_fmac_f32 v25, v52, v59
	s_or_b32 s6, vcc_lo, s6
	s_and_not1_b32 exec_lo, exec_lo, s6
	s_cbranch_execnz .LBB10_105
; %bb.106:
	s_or_b32 exec_lo, exec_lo, s6
.LBB10_107:
	s_delay_alu instid0(SALU_CYCLE_1) | instskip(SKIP_3) | instid1(VALU_DEP_1)
	s_or_b32 exec_lo, exec_lo, s1
	v_and_b32_e32 v50, 7, v49
	s_mov_b32 s2, 0
	s_mov_b32 s1, exec_lo
	v_cmpx_ne_u32_e32 0, v50
	s_cbranch_execz .LBB10_111
; %bb.108:
	v_lshl_add_u32 v51, v48, 2, 48
	v_mov_b32_e32 v49, 0
.LBB10_109:                             ; =>This Inner Loop Header: Depth=1
	v_cmp_eq_u32_e32 vcc_lo, 1, v48
	ds_load_b32 v53, v51
	v_dual_add_nc_u32 v50, -1, v50 :: v_dual_add_nc_u32 v51, 4, v51
	v_cndmask_b32_e32 v52, v14, v15, vcc_lo
	v_cmp_eq_u32_e32 vcc_lo, 2, v48
	s_delay_alu instid0(VALU_DEP_2) | instskip(SKIP_1) | instid1(VALU_DEP_2)
	v_cndmask_b32_e32 v52, v52, v16, vcc_lo
	v_cmp_eq_u32_e32 vcc_lo, 3, v48
	v_cndmask_b32_e32 v52, v52, v17, vcc_lo
	v_cmp_eq_u32_e32 vcc_lo, 4, v48
	s_delay_alu instid0(VALU_DEP_2) | instskip(SKIP_1) | instid1(VALU_DEP_2)
	v_cndmask_b32_e32 v52, v52, v18, vcc_lo
	v_cmp_eq_u32_e32 vcc_lo, 5, v48
	;; [unrolled: 5-line block ×4, first 2 shown]
	v_cndmask_b32_e32 v52, v52, v23, vcc_lo
	v_cmp_eq_u32_e32 vcc_lo, 10, v48
	v_add_nc_u64_e32 v[48:49], 1, v[48:49]
	s_delay_alu instid0(VALU_DEP_3) | instskip(SKIP_2) | instid1(VALU_DEP_2)
	v_cndmask_b32_e32 v52, v52, v24, vcc_lo
	v_cmp_eq_u32_e32 vcc_lo, 0, v50
	s_wait_dscnt 0x0
	v_fmac_f32_e32 v25, v52, v53
	s_or_b32 s2, vcc_lo, s2
	s_delay_alu instid0(SALU_CYCLE_1)
	s_and_not1_b32 exec_lo, exec_lo, s2
	s_cbranch_execnz .LBB10_109
; %bb.110:
	s_or_b32 exec_lo, exec_lo, s2
.LBB10_111:
	s_delay_alu instid0(SALU_CYCLE_1)
	s_or_b32 exec_lo, exec_lo, s1
.LBB10_112:
	s_delay_alu instid0(SALU_CYCLE_1)
	s_or_b32 exec_lo, exec_lo, s5
	v_mov_b32_e32 v16, 0
	ds_load_b32 v16, v16 offset:8
	s_wait_dscnt 0x0
	v_mul_f32_e32 v16, v25, v16
.LBB10_113:
	s_or_b32 exec_lo, exec_lo, s4
	v_cmp_lt_u32_e64 s1, 1, v0
	ds_store_b32 v13, v15
	s_wait_dscnt 0x0
	s_barrier_signal -1
	s_barrier_wait -1
	s_and_saveexec_b32 s4, s1
	s_cbranch_execz .LBB10_129
; %bb.114:
	s_and_not1_b32 vcc_lo, exec_lo, s11
	s_cbranch_vccnz .LBB10_116
; %bb.115:
	v_cmp_eq_u32_e32 vcc_lo, 1, v0
	ds_load_b32 v48, v13
	v_cndmask_b32_e32 v25, v14, v15, vcc_lo
	v_cmp_eq_u32_e32 vcc_lo, 2, v0
	s_delay_alu instid0(VALU_DEP_2) | instskip(SKIP_1) | instid1(VALU_DEP_2)
	v_cndmask_b32_e32 v25, v25, v16, vcc_lo
	v_cmp_eq_u32_e32 vcc_lo, 3, v0
	v_cndmask_b32_e32 v25, v25, v17, vcc_lo
	v_cmp_eq_u32_e32 vcc_lo, 4, v0
	s_delay_alu instid0(VALU_DEP_2) | instskip(SKIP_1) | instid1(VALU_DEP_2)
	v_cndmask_b32_e32 v25, v25, v18, vcc_lo
	v_cmp_eq_u32_e32 vcc_lo, 5, v0
	;; [unrolled: 5-line block ×4, first 2 shown]
	v_cndmask_b32_e32 v25, v25, v23, vcc_lo
	v_cmp_eq_u32_e32 vcc_lo, 10, v0
	s_delay_alu instid0(VALU_DEP_2) | instskip(SKIP_1) | instid1(VALU_DEP_1)
	v_cndmask_b32_e32 v25, v25, v24, vcc_lo
	s_wait_dscnt 0x0
	v_mul_f32_e32 v25, v25, v48
	s_cbranch_execz .LBB10_117
	s_branch .LBB10_118
.LBB10_116:
                                        ; implicit-def: $vgpr25
.LBB10_117:
	ds_load_b32 v25, v13
.LBB10_118:
	s_and_saveexec_b32 s5, s0
	s_cbranch_execz .LBB10_128
; %bb.119:
	v_dual_add_nc_u32 v48, -3, v0 :: v_dual_add_nc_u32 v49, -2, v0
	s_delay_alu instid0(VALU_DEP_1)
	v_cmp_lt_u32_e32 vcc_lo, 6, v48
	v_mov_b32_e32 v48, 2
	s_and_saveexec_b32 s0, vcc_lo
	s_cbranch_execz .LBB10_123
; %bb.120:
	v_and_b32_e32 v48, -8, v49
	s_mov_b32 s6, 0
	s_mov_b64 s[2:3], 9
	s_mov_b32 s7, 56
	s_delay_alu instid0(VALU_DEP_1)
	v_sub_nc_u32_e32 v50, 0, v48
.LBB10_121:                             ; =>This Inner Loop Header: Depth=1
	s_add_co_i32 m0, s2, -7
	v_movrels_b32_e32 v51, v14
	v_mov_b32_e32 v48, s7
	s_add_co_i32 m0, s2, -6
	s_add_co_i32 s7, s7, 32
	v_movrels_b32_e32 v60, v14
	s_add_co_i32 m0, s2, -5
	ds_load_2addr_b64 v[52:55], v48 offset1:1
	ds_load_2addr_b64 v[56:59], v48 offset0:2 offset1:3
	v_movrels_b32_e32 v48, v14
	s_add_co_i32 m0, s2, -4
	s_wait_dscnt 0x1
	v_fmac_f32_e32 v25, v51, v52
	v_movrels_b32_e32 v51, v14
	s_add_co_i32 m0, s2, -3
	s_delay_alu instid0(VALU_DEP_2) | instskip(NEXT) | instid1(VALU_DEP_1)
	v_fmac_f32_e32 v25, v60, v53
	v_fmac_f32_e32 v25, v48, v54
	v_movrels_b32_e32 v48, v14
	s_add_co_i32 m0, s2, -2
	s_delay_alu instid0(VALU_DEP_2) | instskip(SKIP_3) | instid1(VALU_DEP_2)
	v_fmac_f32_e32 v25, v51, v55
	v_movrels_b32_e32 v51, v14
	s_add_co_i32 m0, s2, -1
	s_wait_dscnt 0x0
	v_fmac_f32_e32 v25, v48, v56
	v_movrels_b32_e32 v48, v14
	s_mov_b32 m0, s2
	s_add_nc_u64 s[2:3], s[2:3], 8
	v_movrels_b32_e32 v52, v14
	v_dual_fmac_f32 v25, v51, v57 :: v_dual_add_nc_u32 v51, s2, v50
	s_add_co_i32 s8, s2, -7
	s_delay_alu instid0(VALU_DEP_1) | instskip(NEXT) | instid1(VALU_DEP_2)
	v_fmac_f32_e32 v25, v48, v58
	v_cmp_eq_u32_e32 vcc_lo, 9, v51
	s_delay_alu instid0(VALU_DEP_2) | instskip(SKIP_1) | instid1(SALU_CYCLE_1)
	v_dual_mov_b32 v48, s8 :: v_dual_fmac_f32 v25, v52, v59
	s_or_b32 s6, vcc_lo, s6
	s_and_not1_b32 exec_lo, exec_lo, s6
	s_cbranch_execnz .LBB10_121
; %bb.122:
	s_or_b32 exec_lo, exec_lo, s6
.LBB10_123:
	s_delay_alu instid0(SALU_CYCLE_1) | instskip(SKIP_3) | instid1(VALU_DEP_1)
	s_or_b32 exec_lo, exec_lo, s0
	v_and_b32_e32 v50, 7, v49
	s_mov_b32 s2, 0
	s_mov_b32 s0, exec_lo
	v_cmpx_ne_u32_e32 0, v50
	s_cbranch_execz .LBB10_127
; %bb.124:
	v_lshl_add_u32 v51, v48, 2, 48
	v_mov_b32_e32 v49, 0
.LBB10_125:                             ; =>This Inner Loop Header: Depth=1
	v_cmp_eq_u32_e32 vcc_lo, 1, v48
	ds_load_b32 v53, v51
	v_dual_add_nc_u32 v50, -1, v50 :: v_dual_add_nc_u32 v51, 4, v51
	v_cndmask_b32_e32 v52, v14, v15, vcc_lo
	v_cmp_eq_u32_e32 vcc_lo, 2, v48
	s_delay_alu instid0(VALU_DEP_2) | instskip(SKIP_1) | instid1(VALU_DEP_2)
	v_cndmask_b32_e32 v52, v52, v16, vcc_lo
	v_cmp_eq_u32_e32 vcc_lo, 3, v48
	v_cndmask_b32_e32 v52, v52, v17, vcc_lo
	v_cmp_eq_u32_e32 vcc_lo, 4, v48
	s_delay_alu instid0(VALU_DEP_2) | instskip(SKIP_1) | instid1(VALU_DEP_2)
	v_cndmask_b32_e32 v52, v52, v18, vcc_lo
	v_cmp_eq_u32_e32 vcc_lo, 5, v48
	;; [unrolled: 5-line block ×4, first 2 shown]
	v_cndmask_b32_e32 v52, v52, v23, vcc_lo
	v_cmp_eq_u32_e32 vcc_lo, 10, v48
	v_add_nc_u64_e32 v[48:49], 1, v[48:49]
	s_delay_alu instid0(VALU_DEP_3) | instskip(SKIP_2) | instid1(VALU_DEP_2)
	v_cndmask_b32_e32 v52, v52, v24, vcc_lo
	v_cmp_eq_u32_e32 vcc_lo, 0, v50
	s_wait_dscnt 0x0
	v_fmac_f32_e32 v25, v52, v53
	s_or_b32 s2, vcc_lo, s2
	s_delay_alu instid0(SALU_CYCLE_1)
	s_and_not1_b32 exec_lo, exec_lo, s2
	s_cbranch_execnz .LBB10_125
; %bb.126:
	s_or_b32 exec_lo, exec_lo, s2
.LBB10_127:
	s_delay_alu instid0(SALU_CYCLE_1)
	s_or_b32 exec_lo, exec_lo, s0
.LBB10_128:
	s_delay_alu instid0(SALU_CYCLE_1)
	s_or_b32 exec_lo, exec_lo, s5
	v_mov_b32_e32 v15, 0
	ds_load_b32 v15, v15 offset:4
	s_wait_dscnt 0x0
	v_mul_f32_e32 v15, v25, v15
.LBB10_129:
	s_or_b32 exec_lo, exec_lo, s4
	s_mov_b32 s2, 0
	s_mov_b32 s3, exec_lo
	ds_store_b32 v13, v14
	s_wait_dscnt 0x0
	s_barrier_signal -1
	s_barrier_wait -1
	v_cmpx_ne_u32_e32 0, v0
	s_cbranch_execz .LBB10_145
; %bb.130:
	s_and_not1_b32 vcc_lo, exec_lo, s11
	s_cbranch_vccnz .LBB10_132
; %bb.131:
	v_cmp_eq_u32_e32 vcc_lo, 1, v0
	ds_load_b32 v48, v13
	v_cndmask_b32_e32 v25, v14, v15, vcc_lo
	v_cmp_eq_u32_e32 vcc_lo, 2, v0
	s_delay_alu instid0(VALU_DEP_2) | instskip(SKIP_1) | instid1(VALU_DEP_2)
	v_cndmask_b32_e32 v25, v25, v16, vcc_lo
	v_cmp_eq_u32_e32 vcc_lo, 3, v0
	v_cndmask_b32_e32 v25, v25, v17, vcc_lo
	v_cmp_eq_u32_e32 vcc_lo, 4, v0
	s_delay_alu instid0(VALU_DEP_2) | instskip(SKIP_1) | instid1(VALU_DEP_2)
	v_cndmask_b32_e32 v25, v25, v18, vcc_lo
	v_cmp_eq_u32_e32 vcc_lo, 5, v0
	;; [unrolled: 5-line block ×4, first 2 shown]
	v_cndmask_b32_e32 v25, v25, v23, vcc_lo
	v_cmp_eq_u32_e32 vcc_lo, 10, v0
	s_delay_alu instid0(VALU_DEP_2) | instskip(SKIP_1) | instid1(VALU_DEP_1)
	v_cndmask_b32_e32 v25, v25, v24, vcc_lo
	s_wait_dscnt 0x0
	v_mul_f32_e32 v25, v25, v48
	s_cbranch_execz .LBB10_133
	s_branch .LBB10_134
.LBB10_132:
                                        ; implicit-def: $vgpr25
.LBB10_133:
	ds_load_b32 v25, v13
.LBB10_134:
	s_and_saveexec_b32 s4, s1
	s_cbranch_execz .LBB10_144
; %bb.135:
	v_dual_add_nc_u32 v48, -2, v0 :: v_dual_add_nc_u32 v49, -1, v0
	s_delay_alu instid0(VALU_DEP_1)
	v_cmp_lt_u32_e32 vcc_lo, 6, v48
	v_mov_b32_e32 v48, 1
	s_and_saveexec_b32 s5, vcc_lo
	s_cbranch_execz .LBB10_139
; %bb.136:
	v_and_b32_e32 v48, -8, v49
	s_mov_b32 s6, 0
	s_mov_b64 s[0:1], 8
	s_mov_b32 s7, 52
	s_delay_alu instid0(VALU_DEP_1)
	v_sub_nc_u32_e32 v50, 0, v48
.LBB10_137:                             ; =>This Inner Loop Header: Depth=1
	s_add_co_i32 m0, s0, -7
	v_movrels_b32_e32 v51, v14
	v_mov_b32_e32 v48, s7
	s_add_co_i32 m0, s0, -6
	s_add_co_i32 s7, s7, 32
	v_movrels_b32_e32 v60, v14
	ds_load_2addr_b32 v[52:53], v48 offset1:1
	ds_load_2addr_b32 v[54:55], v48 offset0:2 offset1:3
	s_add_co_i32 m0, s0, -5
	s_wait_dscnt 0x1
	v_fmac_f32_e32 v25, v51, v52
	ds_load_2addr_b32 v[56:57], v48 offset0:4 offset1:5
	ds_load_2addr_b32 v[58:59], v48 offset0:6 offset1:7
	v_movrels_b32_e32 v48, v14
	s_add_co_i32 m0, s0, -4
	v_fmac_f32_e32 v25, v60, v53
	v_movrels_b32_e32 v51, v14
	s_add_co_i32 m0, s0, -3
	s_wait_dscnt 0x2
	s_delay_alu instid0(VALU_DEP_2) | instskip(SKIP_2) | instid1(VALU_DEP_2)
	v_fmac_f32_e32 v25, v48, v54
	v_movrels_b32_e32 v48, v14
	s_add_co_i32 m0, s0, -2
	v_fmac_f32_e32 v25, v51, v55
	v_movrels_b32_e32 v51, v14
	s_add_co_i32 m0, s0, -1
	s_wait_dscnt 0x1
	s_delay_alu instid0(VALU_DEP_2)
	v_fmac_f32_e32 v25, v48, v56
	v_movrels_b32_e32 v48, v14
	s_mov_b32 m0, s0
	s_add_nc_u64 s[0:1], s[0:1], 8
	v_movrels_b32_e32 v52, v14
	v_dual_fmac_f32 v25, v51, v57 :: v_dual_add_nc_u32 v51, s0, v50
	s_add_co_i32 s8, s0, -7
	s_wait_dscnt 0x0
	s_delay_alu instid0(VALU_DEP_1) | instskip(NEXT) | instid1(VALU_DEP_2)
	v_fmac_f32_e32 v25, v48, v58
	v_cmp_eq_u32_e32 vcc_lo, 8, v51
	s_delay_alu instid0(VALU_DEP_2) | instskip(SKIP_1) | instid1(SALU_CYCLE_1)
	v_dual_mov_b32 v48, s8 :: v_dual_fmac_f32 v25, v52, v59
	s_or_b32 s6, vcc_lo, s6
	s_and_not1_b32 exec_lo, exec_lo, s6
	s_cbranch_execnz .LBB10_137
; %bb.138:
	s_or_b32 exec_lo, exec_lo, s6
.LBB10_139:
	s_delay_alu instid0(SALU_CYCLE_1) | instskip(SKIP_3) | instid1(VALU_DEP_1)
	s_or_b32 exec_lo, exec_lo, s5
	v_and_b32_e32 v50, 7, v49
	s_mov_b32 s1, 0
	s_mov_b32 s0, exec_lo
	v_cmpx_ne_u32_e32 0, v50
	s_cbranch_execz .LBB10_143
; %bb.140:
	v_lshl_add_u32 v51, v48, 2, 48
	v_mov_b32_e32 v49, 0
.LBB10_141:                             ; =>This Inner Loop Header: Depth=1
	v_cmp_eq_u32_e32 vcc_lo, 1, v48
	ds_load_b32 v53, v51
	v_dual_add_nc_u32 v50, -1, v50 :: v_dual_add_nc_u32 v51, 4, v51
	v_cndmask_b32_e32 v52, v14, v15, vcc_lo
	v_cmp_eq_u32_e32 vcc_lo, 2, v48
	s_delay_alu instid0(VALU_DEP_2) | instskip(SKIP_1) | instid1(VALU_DEP_2)
	v_cndmask_b32_e32 v52, v52, v16, vcc_lo
	v_cmp_eq_u32_e32 vcc_lo, 3, v48
	v_cndmask_b32_e32 v52, v52, v17, vcc_lo
	v_cmp_eq_u32_e32 vcc_lo, 4, v48
	s_delay_alu instid0(VALU_DEP_2) | instskip(SKIP_1) | instid1(VALU_DEP_2)
	v_cndmask_b32_e32 v52, v52, v18, vcc_lo
	v_cmp_eq_u32_e32 vcc_lo, 5, v48
	;; [unrolled: 5-line block ×4, first 2 shown]
	v_cndmask_b32_e32 v52, v52, v23, vcc_lo
	v_cmp_eq_u32_e32 vcc_lo, 10, v48
	v_add_nc_u64_e32 v[48:49], 1, v[48:49]
	s_delay_alu instid0(VALU_DEP_3) | instskip(SKIP_2) | instid1(VALU_DEP_2)
	v_cndmask_b32_e32 v52, v52, v24, vcc_lo
	v_cmp_eq_u32_e32 vcc_lo, 0, v50
	s_wait_dscnt 0x0
	v_fmac_f32_e32 v25, v52, v53
	s_or_b32 s1, vcc_lo, s1
	s_delay_alu instid0(SALU_CYCLE_1)
	s_and_not1_b32 exec_lo, exec_lo, s1
	s_cbranch_execnz .LBB10_141
; %bb.142:
	s_or_b32 exec_lo, exec_lo, s1
.LBB10_143:
	s_delay_alu instid0(SALU_CYCLE_1)
	s_or_b32 exec_lo, exec_lo, s0
.LBB10_144:
	s_delay_alu instid0(SALU_CYCLE_1)
	s_or_b32 exec_lo, exec_lo, s4
	v_mov_b32_e32 v14, 0
	ds_load_b32 v14, v14
	s_wait_dscnt 0x0
	v_mul_f32_e32 v14, v25, v14
.LBB10_145:
	s_or_b32 exec_lo, exec_lo, s3
	s_delay_alu instid0(SALU_CYCLE_1)
	s_and_b32 vcc_lo, exec_lo, s2
	s_cbranch_vccz .LBB10_249
.LBB10_146:
	v_cmp_eq_u32_e64 s0, 0, v0
	s_wait_loadcnt 0xa
	ds_store_b32 v13, v3
	s_wait_loadcnt_dscnt 0x0
	s_barrier_signal -1
	s_barrier_wait -1
	s_and_saveexec_b32 s1, s0
	s_cbranch_execz .LBB10_152
; %bb.147:
	s_and_b32 vcc_lo, exec_lo, s11
	s_cbranch_vccz .LBB10_149
; %bb.148:
	v_cmp_eq_u32_e32 vcc_lo, 1, v0
	ds_load_b32 v14, v13
	v_cndmask_b32_e32 v3, v2, v3, vcc_lo
	v_cmp_eq_u32_e32 vcc_lo, 2, v0
	s_delay_alu instid0(VALU_DEP_2) | instskip(SKIP_1) | instid1(VALU_DEP_2)
	v_cndmask_b32_e32 v3, v3, v4, vcc_lo
	v_cmp_eq_u32_e32 vcc_lo, 3, v0
	v_cndmask_b32_e32 v3, v3, v5, vcc_lo
	v_cmp_eq_u32_e32 vcc_lo, 4, v0
	s_delay_alu instid0(VALU_DEP_2) | instskip(SKIP_1) | instid1(VALU_DEP_2)
	v_cndmask_b32_e32 v3, v3, v6, vcc_lo
	v_cmp_eq_u32_e32 vcc_lo, 5, v0
	v_cndmask_b32_e32 v3, v3, v7, vcc_lo
	v_cmp_eq_u32_e32 vcc_lo, 6, v0
	s_delay_alu instid0(VALU_DEP_2) | instskip(SKIP_1) | instid1(VALU_DEP_2)
	v_cndmask_b32_e32 v3, v3, v8, vcc_lo
	v_cmp_eq_u32_e32 vcc_lo, 7, v0
	v_cndmask_b32_e32 v3, v3, v9, vcc_lo
	v_cmp_eq_u32_e32 vcc_lo, 8, v0
	s_delay_alu instid0(VALU_DEP_2) | instskip(SKIP_1) | instid1(VALU_DEP_2)
	v_cndmask_b32_e32 v3, v3, v10, vcc_lo
	v_cmp_eq_u32_e32 vcc_lo, 9, v0
	v_cndmask_b32_e32 v3, v3, v11, vcc_lo
	v_cmp_eq_u32_e32 vcc_lo, 10, v0
	s_delay_alu instid0(VALU_DEP_2) | instskip(SKIP_1) | instid1(VALU_DEP_1)
	v_cndmask_b32_e32 v3, v3, v12, vcc_lo
	s_wait_dscnt 0x0
	v_mul_f32_e32 v3, v3, v14
	s_cbranch_execz .LBB10_150
	s_branch .LBB10_151
.LBB10_149:
                                        ; implicit-def: $vgpr3
.LBB10_150:
	ds_load_b32 v3, v13
.LBB10_151:
	v_mov_b32_e32 v14, 0
	ds_load_b32 v14, v14 offset:4
	s_wait_dscnt 0x0
	v_mul_f32_e32 v3, v3, v14
.LBB10_152:
	s_or_b32 exec_lo, exec_lo, s1
	v_cndmask_b32_e64 v16, 0, 1, s11
	s_mov_b32 s1, exec_lo
	ds_store_b32 v13, v4
	s_wait_dscnt 0x0
	s_barrier_signal -1
	s_barrier_wait -1
	v_cmpx_gt_u32_e32 2, v0
	s_cbranch_execz .LBB10_158
; %bb.153:
	s_and_not1_b32 vcc_lo, exec_lo, s11
	s_cbranch_vccnz .LBB10_155
; %bb.154:
	v_cmp_eq_u32_e32 vcc_lo, 1, v0
	v_cndmask_b32_e32 v14, v2, v3, vcc_lo
	v_cmp_eq_u32_e32 vcc_lo, 2, v0
	s_delay_alu instid0(VALU_DEP_2) | instskip(SKIP_4) | instid1(VALU_DEP_2)
	v_cndmask_b32_e32 v4, v14, v4, vcc_lo
	v_cmp_eq_u32_e32 vcc_lo, 3, v0
	ds_load_b32 v14, v13
	v_cndmask_b32_e32 v4, v4, v5, vcc_lo
	v_cmp_eq_u32_e32 vcc_lo, 4, v0
	v_cndmask_b32_e32 v4, v4, v6, vcc_lo
	v_cmp_eq_u32_e32 vcc_lo, 5, v0
	s_delay_alu instid0(VALU_DEP_2) | instskip(SKIP_1) | instid1(VALU_DEP_2)
	v_cndmask_b32_e32 v4, v4, v7, vcc_lo
	v_cmp_eq_u32_e32 vcc_lo, 6, v0
	v_cndmask_b32_e32 v4, v4, v8, vcc_lo
	v_cmp_eq_u32_e32 vcc_lo, 7, v0
	s_delay_alu instid0(VALU_DEP_2) | instskip(SKIP_1) | instid1(VALU_DEP_2)
	;; [unrolled: 5-line block ×3, first 2 shown]
	v_cndmask_b32_e32 v4, v4, v11, vcc_lo
	v_cmp_eq_u32_e32 vcc_lo, 10, v0
	v_cndmask_b32_e32 v4, v4, v12, vcc_lo
	s_wait_dscnt 0x0
	s_delay_alu instid0(VALU_DEP_1)
	v_mul_f32_e32 v4, v4, v14
	s_cbranch_execz .LBB10_156
	s_branch .LBB10_157
.LBB10_155:
                                        ; implicit-def: $vgpr4
.LBB10_156:
	ds_load_b32 v4, v13
.LBB10_157:
	v_mov_b32_e32 v14, 0
	ds_load_2addr_b32 v[14:15], v14 offset0:2 offset1:13
	s_wait_dscnt 0x0
	v_fma_f32 v15, v3, v15, v4
	s_delay_alu instid0(VALU_DEP_1) | instskip(NEXT) | instid1(VALU_DEP_1)
	v_cndmask_b32_e64 v4, v4, v15, s0
	v_mul_f32_e32 v4, v4, v14
.LBB10_158:
	s_or_b32 exec_lo, exec_lo, s1
	v_add_nc_u32_e32 v17, 1, v0
	v_cmp_gt_u32_e64 s1, 3, v0
	ds_store_b32 v13, v5
	s_wait_dscnt 0x0
	s_barrier_signal -1
	s_barrier_wait -1
	s_and_saveexec_b32 s2, s1
	s_cbranch_execz .LBB10_166
; %bb.159:
	v_cmp_ne_u32_e32 vcc_lo, 1, v16
	s_cbranch_vccnz .LBB10_161
; %bb.160:
	v_cmp_eq_u32_e32 vcc_lo, 1, v0
	ds_load_b32 v15, v13
	v_cndmask_b32_e32 v14, v2, v3, vcc_lo
	v_cmp_eq_u32_e32 vcc_lo, 2, v0
	s_delay_alu instid0(VALU_DEP_2) | instskip(SKIP_1) | instid1(VALU_DEP_2)
	v_cndmask_b32_e32 v14, v14, v4, vcc_lo
	v_cmp_eq_u32_e32 vcc_lo, 3, v0
	v_cndmask_b32_e32 v14, v14, v5, vcc_lo
	v_cmp_eq_u32_e32 vcc_lo, 4, v0
	s_delay_alu instid0(VALU_DEP_2) | instskip(SKIP_1) | instid1(VALU_DEP_2)
	v_cndmask_b32_e32 v14, v14, v6, vcc_lo
	v_cmp_eq_u32_e32 vcc_lo, 5, v0
	;; [unrolled: 5-line block ×4, first 2 shown]
	v_cndmask_b32_e32 v14, v14, v11, vcc_lo
	v_cmp_eq_u32_e32 vcc_lo, 10, v0
	s_delay_alu instid0(VALU_DEP_2) | instskip(SKIP_1) | instid1(VALU_DEP_1)
	v_cndmask_b32_e32 v14, v14, v12, vcc_lo
	s_wait_dscnt 0x0
	v_mul_f32_e32 v14, v14, v15
	s_cbranch_execz .LBB10_162
	s_branch .LBB10_163
.LBB10_161:
                                        ; implicit-def: $vgpr14
.LBB10_162:
	ds_load_b32 v14, v13
.LBB10_163:
	s_mov_b32 s3, exec_lo
	v_cmpx_ne_u32_e32 2, v0
	s_cbranch_execz .LBB10_165
; %bb.164:
	v_cmp_eq_u32_e32 vcc_lo, 1, v17
	v_dual_mov_b32 v18, 0 :: v_dual_cndmask_b32 v15, v2, v3
	v_cmp_eq_u32_e32 vcc_lo, 2, v17
	ds_load_b32 v18, v18 offset:56
	v_cndmask_b32_e32 v15, v15, v4, vcc_lo
	v_cmp_eq_u32_e32 vcc_lo, 3, v17
	s_delay_alu instid0(VALU_DEP_2) | instskip(SKIP_4) | instid1(VALU_DEP_2)
	v_cndmask_b32_e32 v5, v15, v5, vcc_lo
	v_cmp_eq_u32_e32 vcc_lo, 4, v17
	ds_load_b32 v15, v13 offset:4
	v_cndmask_b32_e32 v5, v5, v6, vcc_lo
	v_cmp_eq_u32_e32 vcc_lo, 5, v17
	v_cndmask_b32_e32 v5, v5, v7, vcc_lo
	v_cmp_eq_u32_e32 vcc_lo, 6, v17
	s_delay_alu instid0(VALU_DEP_2) | instskip(SKIP_1) | instid1(VALU_DEP_2)
	v_cndmask_b32_e32 v5, v5, v8, vcc_lo
	v_cmp_eq_u32_e32 vcc_lo, 7, v17
	v_cndmask_b32_e32 v5, v5, v9, vcc_lo
	v_cmp_eq_u32_e32 vcc_lo, 8, v17
	s_delay_alu instid0(VALU_DEP_2) | instskip(SKIP_1) | instid1(VALU_DEP_2)
	v_cndmask_b32_e32 v5, v5, v10, vcc_lo
	v_cmp_eq_u32_e32 vcc_lo, 9, v17
	v_cndmask_b32_e32 v5, v5, v11, vcc_lo
	v_cmp_eq_u32_e32 vcc_lo, 10, v17
	s_delay_alu instid0(VALU_DEP_2) | instskip(SKIP_1) | instid1(VALU_DEP_1)
	v_cndmask_b32_e32 v5, v5, v12, vcc_lo
	s_wait_dscnt 0x0
	v_fmac_f32_e32 v14, v5, v15
	s_delay_alu instid0(VALU_DEP_1) | instskip(NEXT) | instid1(VALU_DEP_1)
	v_fma_f32 v5, v4, v18, v14
	v_cndmask_b32_e64 v14, v14, v5, s0
.LBB10_165:
	s_or_b32 exec_lo, exec_lo, s3
	v_mov_b32_e32 v5, 0
	ds_load_b32 v5, v5 offset:12
	s_wait_dscnt 0x0
	v_mul_f32_e32 v5, v14, v5
.LBB10_166:
	s_or_b32 exec_lo, exec_lo, s2
	s_delay_alu instid0(SALU_CYCLE_1)
	s_mov_b32 s2, exec_lo
	ds_store_b32 v13, v6
	s_wait_dscnt 0x0
	s_barrier_signal -1
	s_barrier_wait -1
	v_cmpx_gt_u32_e32 4, v0
	s_cbranch_execz .LBB10_176
; %bb.167:
	v_cmp_ne_u32_e32 vcc_lo, 1, v16
	s_cbranch_vccnz .LBB10_169
; %bb.168:
	v_cmp_eq_u32_e32 vcc_lo, 1, v0
	ds_load_b32 v15, v13
	v_cndmask_b32_e32 v14, v2, v3, vcc_lo
	v_cmp_eq_u32_e32 vcc_lo, 2, v0
	s_delay_alu instid0(VALU_DEP_2) | instskip(SKIP_1) | instid1(VALU_DEP_2)
	v_cndmask_b32_e32 v14, v14, v4, vcc_lo
	v_cmp_eq_u32_e32 vcc_lo, 3, v0
	v_cndmask_b32_e32 v14, v14, v5, vcc_lo
	v_cmp_eq_u32_e32 vcc_lo, 4, v0
	s_delay_alu instid0(VALU_DEP_2) | instskip(SKIP_1) | instid1(VALU_DEP_2)
	v_cndmask_b32_e32 v14, v14, v6, vcc_lo
	v_cmp_eq_u32_e32 vcc_lo, 5, v0
	;; [unrolled: 5-line block ×4, first 2 shown]
	v_cndmask_b32_e32 v14, v14, v11, vcc_lo
	v_cmp_eq_u32_e32 vcc_lo, 10, v0
	s_delay_alu instid0(VALU_DEP_2) | instskip(SKIP_1) | instid1(VALU_DEP_1)
	v_cndmask_b32_e32 v14, v14, v12, vcc_lo
	s_wait_dscnt 0x0
	v_mul_f32_e32 v18, v14, v15
	s_cbranch_execz .LBB10_170
	s_branch .LBB10_171
.LBB10_169:
                                        ; implicit-def: $vgpr18
.LBB10_170:
	ds_load_b32 v18, v13
.LBB10_171:
	s_mov_b32 s3, exec_lo
	v_cmpx_ne_u32_e32 3, v0
	s_cbranch_execz .LBB10_175
; %bb.172:
	v_mov_b64_e32 v[14:15], v[0:1]
	v_lshl_add_u32 v19, v0, 2, 52
	s_mov_b32 s4, 0
.LBB10_173:                             ; =>This Inner Loop Header: Depth=1
	s_delay_alu instid0(VALU_DEP_2)
	v_add_nc_u64_e32 v[14:15], 1, v[14:15]
	ds_load_b32 v21, v19
	v_add_nc_u32_e32 v19, 4, v19
	v_cmp_eq_u32_e32 vcc_lo, 1, v14
	v_cndmask_b32_e32 v20, v2, v3, vcc_lo
	v_cmp_eq_u32_e32 vcc_lo, 2, v14
	s_delay_alu instid0(VALU_DEP_2) | instskip(SKIP_1) | instid1(VALU_DEP_2)
	v_cndmask_b32_e32 v20, v20, v4, vcc_lo
	v_cmp_eq_u32_e32 vcc_lo, 3, v14
	v_cndmask_b32_e32 v20, v20, v5, vcc_lo
	v_cmp_eq_u32_e32 vcc_lo, 4, v14
	s_delay_alu instid0(VALU_DEP_2) | instskip(SKIP_1) | instid1(VALU_DEP_2)
	v_cndmask_b32_e32 v20, v20, v6, vcc_lo
	;; [unrolled: 5-line block ×4, first 2 shown]
	v_cmp_eq_u32_e32 vcc_lo, 9, v14
	v_cndmask_b32_e32 v20, v20, v11, vcc_lo
	v_cmp_eq_u32_e32 vcc_lo, 10, v14
	s_delay_alu instid0(VALU_DEP_2) | instskip(SKIP_2) | instid1(VALU_DEP_2)
	v_cndmask_b32_e32 v20, v20, v12, vcc_lo
	v_cmp_lt_u32_e32 vcc_lo, 2, v14
	s_wait_dscnt 0x0
	v_fmac_f32_e32 v18, v20, v21
	s_or_b32 s4, vcc_lo, s4
	s_delay_alu instid0(SALU_CYCLE_1)
	s_and_not1_b32 exec_lo, exec_lo, s4
	s_cbranch_execnz .LBB10_173
; %bb.174:
	s_or_b32 exec_lo, exec_lo, s4
.LBB10_175:
	s_delay_alu instid0(SALU_CYCLE_1)
	s_or_b32 exec_lo, exec_lo, s3
	v_mov_b32_e32 v6, 0
	ds_load_b32 v6, v6 offset:16
	s_wait_dscnt 0x0
	v_mul_f32_e32 v6, v18, v6
.LBB10_176:
	s_or_b32 exec_lo, exec_lo, s2
	v_cmp_gt_u32_e64 s2, 5, v0
	ds_store_b32 v13, v7
	s_wait_dscnt 0x0
	s_barrier_signal -1
	s_barrier_wait -1
	s_and_saveexec_b32 s3, s2
	s_cbranch_execz .LBB10_186
; %bb.177:
	v_cmp_ne_u32_e32 vcc_lo, 1, v16
	s_cbranch_vccnz .LBB10_179
; %bb.178:
	v_cmp_eq_u32_e32 vcc_lo, 1, v0
	ds_load_b32 v15, v13
	v_cndmask_b32_e32 v14, v2, v3, vcc_lo
	v_cmp_eq_u32_e32 vcc_lo, 2, v0
	s_delay_alu instid0(VALU_DEP_2) | instskip(SKIP_1) | instid1(VALU_DEP_2)
	v_cndmask_b32_e32 v14, v14, v4, vcc_lo
	v_cmp_eq_u32_e32 vcc_lo, 3, v0
	v_cndmask_b32_e32 v14, v14, v5, vcc_lo
	v_cmp_eq_u32_e32 vcc_lo, 4, v0
	s_delay_alu instid0(VALU_DEP_2) | instskip(SKIP_1) | instid1(VALU_DEP_2)
	v_cndmask_b32_e32 v14, v14, v6, vcc_lo
	v_cmp_eq_u32_e32 vcc_lo, 5, v0
	;; [unrolled: 5-line block ×4, first 2 shown]
	v_cndmask_b32_e32 v14, v14, v11, vcc_lo
	v_cmp_eq_u32_e32 vcc_lo, 10, v0
	s_delay_alu instid0(VALU_DEP_2) | instskip(SKIP_1) | instid1(VALU_DEP_1)
	v_cndmask_b32_e32 v14, v14, v12, vcc_lo
	s_wait_dscnt 0x0
	v_mul_f32_e32 v18, v14, v15
	s_cbranch_execz .LBB10_180
	s_branch .LBB10_181
.LBB10_179:
                                        ; implicit-def: $vgpr18
.LBB10_180:
	ds_load_b32 v18, v13
.LBB10_181:
	s_mov_b32 s4, exec_lo
	v_cmpx_ne_u32_e32 4, v0
	s_cbranch_execz .LBB10_185
; %bb.182:
	v_mov_b64_e32 v[14:15], v[0:1]
	v_lshl_add_u32 v19, v0, 2, 52
	s_mov_b32 s5, 0
.LBB10_183:                             ; =>This Inner Loop Header: Depth=1
	s_delay_alu instid0(VALU_DEP_2)
	v_add_nc_u64_e32 v[14:15], 1, v[14:15]
	ds_load_b32 v21, v19
	v_add_nc_u32_e32 v19, 4, v19
	v_cmp_eq_u32_e32 vcc_lo, 1, v14
	v_cndmask_b32_e32 v20, v2, v3, vcc_lo
	v_cmp_eq_u32_e32 vcc_lo, 2, v14
	s_delay_alu instid0(VALU_DEP_2) | instskip(SKIP_1) | instid1(VALU_DEP_2)
	v_cndmask_b32_e32 v20, v20, v4, vcc_lo
	v_cmp_eq_u32_e32 vcc_lo, 3, v14
	v_cndmask_b32_e32 v20, v20, v5, vcc_lo
	v_cmp_eq_u32_e32 vcc_lo, 4, v14
	s_delay_alu instid0(VALU_DEP_2) | instskip(SKIP_1) | instid1(VALU_DEP_2)
	v_cndmask_b32_e32 v20, v20, v6, vcc_lo
	;; [unrolled: 5-line block ×4, first 2 shown]
	v_cmp_eq_u32_e32 vcc_lo, 9, v14
	v_cndmask_b32_e32 v20, v20, v11, vcc_lo
	v_cmp_eq_u32_e32 vcc_lo, 10, v14
	s_delay_alu instid0(VALU_DEP_2) | instskip(SKIP_2) | instid1(VALU_DEP_2)
	v_cndmask_b32_e32 v20, v20, v12, vcc_lo
	v_cmp_lt_u32_e32 vcc_lo, 3, v14
	s_wait_dscnt 0x0
	v_fmac_f32_e32 v18, v20, v21
	s_or_b32 s5, vcc_lo, s5
	s_delay_alu instid0(SALU_CYCLE_1)
	s_and_not1_b32 exec_lo, exec_lo, s5
	s_cbranch_execnz .LBB10_183
; %bb.184:
	s_or_b32 exec_lo, exec_lo, s5
.LBB10_185:
	s_delay_alu instid0(SALU_CYCLE_1)
	s_or_b32 exec_lo, exec_lo, s4
	v_mov_b32_e32 v7, 0
	ds_load_b32 v7, v7 offset:20
	s_wait_dscnt 0x0
	v_mul_f32_e32 v7, v18, v7
.LBB10_186:
	s_or_b32 exec_lo, exec_lo, s3
	s_delay_alu instid0(SALU_CYCLE_1)
	s_mov_b32 s3, exec_lo
	ds_store_b32 v13, v8
	s_wait_dscnt 0x0
	s_barrier_signal -1
	s_barrier_wait -1
	v_cmpx_gt_u32_e32 6, v0
	s_cbranch_execz .LBB10_196
; %bb.187:
	v_cmp_ne_u32_e32 vcc_lo, 1, v16
	s_cbranch_vccnz .LBB10_189
; %bb.188:
	v_cmp_eq_u32_e32 vcc_lo, 1, v0
	ds_load_b32 v15, v13
	v_cndmask_b32_e32 v14, v2, v3, vcc_lo
	v_cmp_eq_u32_e32 vcc_lo, 2, v0
	s_delay_alu instid0(VALU_DEP_2) | instskip(SKIP_1) | instid1(VALU_DEP_2)
	v_cndmask_b32_e32 v14, v14, v4, vcc_lo
	v_cmp_eq_u32_e32 vcc_lo, 3, v0
	v_cndmask_b32_e32 v14, v14, v5, vcc_lo
	v_cmp_eq_u32_e32 vcc_lo, 4, v0
	s_delay_alu instid0(VALU_DEP_2) | instskip(SKIP_1) | instid1(VALU_DEP_2)
	v_cndmask_b32_e32 v14, v14, v6, vcc_lo
	v_cmp_eq_u32_e32 vcc_lo, 5, v0
	;; [unrolled: 5-line block ×4, first 2 shown]
	v_cndmask_b32_e32 v14, v14, v11, vcc_lo
	v_cmp_eq_u32_e32 vcc_lo, 10, v0
	s_delay_alu instid0(VALU_DEP_2) | instskip(SKIP_1) | instid1(VALU_DEP_1)
	v_cndmask_b32_e32 v14, v14, v12, vcc_lo
	s_wait_dscnt 0x0
	v_mul_f32_e32 v18, v14, v15
	s_cbranch_execz .LBB10_190
	s_branch .LBB10_191
.LBB10_189:
                                        ; implicit-def: $vgpr18
.LBB10_190:
	ds_load_b32 v18, v13
.LBB10_191:
	s_mov_b32 s4, exec_lo
	v_cmpx_ne_u32_e32 5, v0
	s_cbranch_execz .LBB10_195
; %bb.192:
	v_mov_b64_e32 v[14:15], v[0:1]
	v_lshl_add_u32 v19, v0, 2, 52
	s_mov_b32 s5, 0
.LBB10_193:                             ; =>This Inner Loop Header: Depth=1
	s_delay_alu instid0(VALU_DEP_2)
	v_add_nc_u64_e32 v[14:15], 1, v[14:15]
	ds_load_b32 v21, v19
	v_add_nc_u32_e32 v19, 4, v19
	v_cmp_eq_u32_e32 vcc_lo, 1, v14
	v_cndmask_b32_e32 v20, v2, v3, vcc_lo
	v_cmp_eq_u32_e32 vcc_lo, 2, v14
	s_delay_alu instid0(VALU_DEP_2) | instskip(SKIP_1) | instid1(VALU_DEP_2)
	v_cndmask_b32_e32 v20, v20, v4, vcc_lo
	v_cmp_eq_u32_e32 vcc_lo, 3, v14
	v_cndmask_b32_e32 v20, v20, v5, vcc_lo
	v_cmp_eq_u32_e32 vcc_lo, 4, v14
	s_delay_alu instid0(VALU_DEP_2) | instskip(SKIP_1) | instid1(VALU_DEP_2)
	v_cndmask_b32_e32 v20, v20, v6, vcc_lo
	v_cmp_eq_u32_e32 vcc_lo, 5, v14
	v_cndmask_b32_e32 v20, v20, v7, vcc_lo
	v_cmp_eq_u32_e32 vcc_lo, 6, v14
	s_delay_alu instid0(VALU_DEP_2) | instskip(SKIP_1) | instid1(VALU_DEP_2)
	v_cndmask_b32_e32 v20, v20, v8, vcc_lo
	v_cmp_eq_u32_e32 vcc_lo, 7, v14
	v_cndmask_b32_e32 v20, v20, v9, vcc_lo
	v_cmp_eq_u32_e32 vcc_lo, 8, v14
	s_delay_alu instid0(VALU_DEP_2) | instskip(SKIP_1) | instid1(VALU_DEP_2)
	v_cndmask_b32_e32 v20, v20, v10, vcc_lo
	v_cmp_eq_u32_e32 vcc_lo, 9, v14
	v_cndmask_b32_e32 v20, v20, v11, vcc_lo
	v_cmp_eq_u32_e32 vcc_lo, 10, v14
	s_delay_alu instid0(VALU_DEP_2) | instskip(SKIP_2) | instid1(VALU_DEP_2)
	v_cndmask_b32_e32 v20, v20, v12, vcc_lo
	v_cmp_lt_u32_e32 vcc_lo, 4, v14
	s_wait_dscnt 0x0
	v_fmac_f32_e32 v18, v20, v21
	s_or_b32 s5, vcc_lo, s5
	s_delay_alu instid0(SALU_CYCLE_1)
	s_and_not1_b32 exec_lo, exec_lo, s5
	s_cbranch_execnz .LBB10_193
; %bb.194:
	s_or_b32 exec_lo, exec_lo, s5
.LBB10_195:
	s_delay_alu instid0(SALU_CYCLE_1)
	s_or_b32 exec_lo, exec_lo, s4
	v_mov_b32_e32 v8, 0
	ds_load_b32 v8, v8 offset:24
	s_wait_dscnt 0x0
	v_mul_f32_e32 v8, v18, v8
.LBB10_196:
	s_or_b32 exec_lo, exec_lo, s3
	v_cmp_gt_u32_e64 s4, 7, v0
	ds_store_b32 v13, v9
	s_wait_dscnt 0x0
	s_barrier_signal -1
	s_barrier_wait -1
	s_and_saveexec_b32 s3, s4
	s_cbranch_execz .LBB10_206
; %bb.197:
	v_cmp_ne_u32_e32 vcc_lo, 1, v16
	s_cbranch_vccnz .LBB10_199
; %bb.198:
	v_cmp_eq_u32_e32 vcc_lo, 1, v0
	ds_load_b32 v15, v13
	v_cndmask_b32_e32 v14, v2, v3, vcc_lo
	v_cmp_eq_u32_e32 vcc_lo, 2, v0
	s_delay_alu instid0(VALU_DEP_2) | instskip(SKIP_1) | instid1(VALU_DEP_2)
	v_cndmask_b32_e32 v14, v14, v4, vcc_lo
	v_cmp_eq_u32_e32 vcc_lo, 3, v0
	v_cndmask_b32_e32 v14, v14, v5, vcc_lo
	v_cmp_eq_u32_e32 vcc_lo, 4, v0
	s_delay_alu instid0(VALU_DEP_2) | instskip(SKIP_1) | instid1(VALU_DEP_2)
	v_cndmask_b32_e32 v14, v14, v6, vcc_lo
	v_cmp_eq_u32_e32 vcc_lo, 5, v0
	;; [unrolled: 5-line block ×4, first 2 shown]
	v_cndmask_b32_e32 v14, v14, v11, vcc_lo
	v_cmp_eq_u32_e32 vcc_lo, 10, v0
	s_delay_alu instid0(VALU_DEP_2) | instskip(SKIP_1) | instid1(VALU_DEP_1)
	v_cndmask_b32_e32 v14, v14, v12, vcc_lo
	s_wait_dscnt 0x0
	v_mul_f32_e32 v18, v14, v15
	s_cbranch_execz .LBB10_200
	s_branch .LBB10_201
.LBB10_199:
                                        ; implicit-def: $vgpr18
.LBB10_200:
	ds_load_b32 v18, v13
.LBB10_201:
	s_mov_b32 s5, exec_lo
	v_cmpx_ne_u32_e32 6, v0
	s_cbranch_execz .LBB10_205
; %bb.202:
	v_mov_b64_e32 v[14:15], v[0:1]
	v_lshl_add_u32 v19, v0, 2, 52
	s_mov_b32 s6, 0
.LBB10_203:                             ; =>This Inner Loop Header: Depth=1
	s_delay_alu instid0(VALU_DEP_2)
	v_add_nc_u64_e32 v[14:15], 1, v[14:15]
	ds_load_b32 v21, v19
	v_add_nc_u32_e32 v19, 4, v19
	v_cmp_eq_u32_e32 vcc_lo, 1, v14
	v_cndmask_b32_e32 v20, v2, v3, vcc_lo
	v_cmp_eq_u32_e32 vcc_lo, 2, v14
	s_delay_alu instid0(VALU_DEP_2) | instskip(SKIP_1) | instid1(VALU_DEP_2)
	v_cndmask_b32_e32 v20, v20, v4, vcc_lo
	v_cmp_eq_u32_e32 vcc_lo, 3, v14
	v_cndmask_b32_e32 v20, v20, v5, vcc_lo
	v_cmp_eq_u32_e32 vcc_lo, 4, v14
	s_delay_alu instid0(VALU_DEP_2) | instskip(SKIP_1) | instid1(VALU_DEP_2)
	v_cndmask_b32_e32 v20, v20, v6, vcc_lo
	;; [unrolled: 5-line block ×4, first 2 shown]
	v_cmp_eq_u32_e32 vcc_lo, 9, v14
	v_cndmask_b32_e32 v20, v20, v11, vcc_lo
	v_cmp_eq_u32_e32 vcc_lo, 10, v14
	s_delay_alu instid0(VALU_DEP_2) | instskip(SKIP_2) | instid1(VALU_DEP_2)
	v_cndmask_b32_e32 v20, v20, v12, vcc_lo
	v_cmp_lt_u32_e32 vcc_lo, 5, v14
	s_wait_dscnt 0x0
	v_fmac_f32_e32 v18, v20, v21
	s_or_b32 s6, vcc_lo, s6
	s_delay_alu instid0(SALU_CYCLE_1)
	s_and_not1_b32 exec_lo, exec_lo, s6
	s_cbranch_execnz .LBB10_203
; %bb.204:
	s_or_b32 exec_lo, exec_lo, s6
.LBB10_205:
	s_delay_alu instid0(SALU_CYCLE_1)
	s_or_b32 exec_lo, exec_lo, s5
	v_mov_b32_e32 v9, 0
	ds_load_b32 v9, v9 offset:28
	s_wait_dscnt 0x0
	v_mul_f32_e32 v9, v18, v9
.LBB10_206:
	s_or_b32 exec_lo, exec_lo, s3
	s_delay_alu instid0(SALU_CYCLE_1)
	s_mov_b32 s3, exec_lo
	ds_store_b32 v13, v10
	s_wait_dscnt 0x0
	s_barrier_signal -1
	s_barrier_wait -1
	v_cmpx_gt_u32_e32 8, v0
	s_cbranch_execz .LBB10_216
; %bb.207:
	v_cmp_ne_u32_e32 vcc_lo, 1, v16
	s_cbranch_vccnz .LBB10_209
; %bb.208:
	v_cmp_eq_u32_e32 vcc_lo, 1, v0
	ds_load_b32 v15, v13
	v_cndmask_b32_e32 v14, v2, v3, vcc_lo
	v_cmp_eq_u32_e32 vcc_lo, 2, v0
	s_delay_alu instid0(VALU_DEP_2) | instskip(SKIP_1) | instid1(VALU_DEP_2)
	v_cndmask_b32_e32 v14, v14, v4, vcc_lo
	v_cmp_eq_u32_e32 vcc_lo, 3, v0
	v_cndmask_b32_e32 v14, v14, v5, vcc_lo
	v_cmp_eq_u32_e32 vcc_lo, 4, v0
	s_delay_alu instid0(VALU_DEP_2) | instskip(SKIP_1) | instid1(VALU_DEP_2)
	v_cndmask_b32_e32 v14, v14, v6, vcc_lo
	v_cmp_eq_u32_e32 vcc_lo, 5, v0
	;; [unrolled: 5-line block ×4, first 2 shown]
	v_cndmask_b32_e32 v14, v14, v11, vcc_lo
	v_cmp_eq_u32_e32 vcc_lo, 10, v0
	s_delay_alu instid0(VALU_DEP_2) | instskip(SKIP_1) | instid1(VALU_DEP_1)
	v_cndmask_b32_e32 v14, v14, v12, vcc_lo
	s_wait_dscnt 0x0
	v_mul_f32_e32 v18, v14, v15
	s_cbranch_execz .LBB10_210
	s_branch .LBB10_211
.LBB10_209:
                                        ; implicit-def: $vgpr18
.LBB10_210:
	ds_load_b32 v18, v13
.LBB10_211:
	s_mov_b32 s5, exec_lo
	v_cmpx_ne_u32_e32 7, v0
	s_cbranch_execz .LBB10_215
; %bb.212:
	v_mov_b64_e32 v[14:15], v[0:1]
	v_lshl_add_u32 v19, v0, 2, 52
	s_mov_b32 s6, 0
.LBB10_213:                             ; =>This Inner Loop Header: Depth=1
	s_delay_alu instid0(VALU_DEP_2)
	v_add_nc_u64_e32 v[14:15], 1, v[14:15]
	ds_load_b32 v21, v19
	v_add_nc_u32_e32 v19, 4, v19
	v_cmp_eq_u32_e32 vcc_lo, 1, v14
	v_cndmask_b32_e32 v20, v2, v3, vcc_lo
	v_cmp_eq_u32_e32 vcc_lo, 2, v14
	s_delay_alu instid0(VALU_DEP_2) | instskip(SKIP_1) | instid1(VALU_DEP_2)
	v_cndmask_b32_e32 v20, v20, v4, vcc_lo
	v_cmp_eq_u32_e32 vcc_lo, 3, v14
	v_cndmask_b32_e32 v20, v20, v5, vcc_lo
	v_cmp_eq_u32_e32 vcc_lo, 4, v14
	s_delay_alu instid0(VALU_DEP_2) | instskip(SKIP_1) | instid1(VALU_DEP_2)
	v_cndmask_b32_e32 v20, v20, v6, vcc_lo
	;; [unrolled: 5-line block ×4, first 2 shown]
	v_cmp_eq_u32_e32 vcc_lo, 9, v14
	v_cndmask_b32_e32 v20, v20, v11, vcc_lo
	v_cmp_eq_u32_e32 vcc_lo, 10, v14
	s_delay_alu instid0(VALU_DEP_2) | instskip(SKIP_2) | instid1(VALU_DEP_2)
	v_cndmask_b32_e32 v20, v20, v12, vcc_lo
	v_cmp_lt_u32_e32 vcc_lo, 6, v14
	s_wait_dscnt 0x0
	v_fmac_f32_e32 v18, v20, v21
	s_or_b32 s6, vcc_lo, s6
	s_delay_alu instid0(SALU_CYCLE_1)
	s_and_not1_b32 exec_lo, exec_lo, s6
	s_cbranch_execnz .LBB10_213
; %bb.214:
	s_or_b32 exec_lo, exec_lo, s6
.LBB10_215:
	s_delay_alu instid0(SALU_CYCLE_1)
	s_or_b32 exec_lo, exec_lo, s5
	v_mov_b32_e32 v10, 0
	ds_load_b32 v10, v10 offset:32
	s_wait_dscnt 0x0
	v_mul_f32_e32 v10, v18, v10
.LBB10_216:
	s_or_b32 exec_lo, exec_lo, s3
	v_cmp_gt_u32_e64 s3, 9, v0
	ds_store_b32 v13, v11
	s_wait_dscnt 0x0
	s_barrier_signal -1
	s_barrier_wait -1
	s_and_saveexec_b32 s5, s3
	s_cbranch_execz .LBB10_238
; %bb.217:
	v_cmp_ne_u32_e32 vcc_lo, 1, v16
	s_cbranch_vccnz .LBB10_219
; %bb.218:
	v_cmp_eq_u32_e32 vcc_lo, 1, v0
	ds_load_b32 v15, v13
	v_cndmask_b32_e32 v14, v2, v3, vcc_lo
	v_cmp_eq_u32_e32 vcc_lo, 2, v0
	s_delay_alu instid0(VALU_DEP_2) | instskip(SKIP_1) | instid1(VALU_DEP_2)
	v_cndmask_b32_e32 v14, v14, v4, vcc_lo
	v_cmp_eq_u32_e32 vcc_lo, 3, v0
	v_cndmask_b32_e32 v14, v14, v5, vcc_lo
	v_cmp_eq_u32_e32 vcc_lo, 4, v0
	s_delay_alu instid0(VALU_DEP_2) | instskip(SKIP_1) | instid1(VALU_DEP_2)
	v_cndmask_b32_e32 v14, v14, v6, vcc_lo
	v_cmp_eq_u32_e32 vcc_lo, 5, v0
	;; [unrolled: 5-line block ×4, first 2 shown]
	v_cndmask_b32_e32 v14, v14, v11, vcc_lo
	v_cmp_eq_u32_e32 vcc_lo, 10, v0
	s_delay_alu instid0(VALU_DEP_2) | instskip(SKIP_1) | instid1(VALU_DEP_1)
	v_cndmask_b32_e32 v14, v14, v12, vcc_lo
	s_wait_dscnt 0x0
	v_mul_f32_e32 v14, v14, v15
	s_cbranch_execz .LBB10_220
	s_branch .LBB10_221
.LBB10_219:
                                        ; implicit-def: $vgpr14
.LBB10_220:
	ds_load_b32 v14, v13
.LBB10_221:
	s_mov_b32 s6, exec_lo
	v_cmpx_ne_u32_e32 8, v0
	s_cbranch_execz .LBB10_237
; %bb.222:
	v_cmp_eq_u32_e32 vcc_lo, 1, v17
	ds_load_b32 v18, v13 offset:4
	v_cndmask_b32_e32 v15, v2, v3, vcc_lo
	v_cmp_eq_u32_e32 vcc_lo, 2, v17
	s_delay_alu instid0(VALU_DEP_2) | instskip(SKIP_1) | instid1(VALU_DEP_2)
	v_cndmask_b32_e32 v15, v15, v4, vcc_lo
	v_cmp_eq_u32_e32 vcc_lo, 3, v17
	v_cndmask_b32_e32 v15, v15, v5, vcc_lo
	v_cmp_eq_u32_e32 vcc_lo, 4, v17
	s_delay_alu instid0(VALU_DEP_2) | instskip(SKIP_1) | instid1(VALU_DEP_2)
	v_cndmask_b32_e32 v15, v15, v6, vcc_lo
	v_cmp_eq_u32_e32 vcc_lo, 5, v17
	;; [unrolled: 5-line block ×4, first 2 shown]
	v_cndmask_b32_e32 v15, v15, v11, vcc_lo
	v_cmp_eq_u32_e32 vcc_lo, 10, v17
	s_delay_alu instid0(VALU_DEP_2) | instskip(SKIP_1) | instid1(VALU_DEP_1)
	v_cndmask_b32_e32 v15, v15, v12, vcc_lo
	s_wait_dscnt 0x0
	v_fmac_f32_e32 v14, v15, v18
	s_and_saveexec_b32 s7, s4
	s_cbranch_execz .LBB10_236
; %bb.223:
	v_add_nc_u32_e32 v15, 2, v0
	ds_load_b32 v18, v13 offset:8
	s_mov_b32 s4, exec_lo
	v_cmp_eq_u32_e32 vcc_lo, 1, v15
	v_cndmask_b32_e32 v17, v2, v3, vcc_lo
	v_cmp_eq_u32_e32 vcc_lo, 2, v15
	s_delay_alu instid0(VALU_DEP_2) | instskip(SKIP_1) | instid1(VALU_DEP_2)
	v_cndmask_b32_e32 v17, v17, v4, vcc_lo
	v_cmp_eq_u32_e32 vcc_lo, 3, v15
	v_cndmask_b32_e32 v17, v17, v5, vcc_lo
	v_cmp_eq_u32_e32 vcc_lo, 4, v15
	s_delay_alu instid0(VALU_DEP_2) | instskip(SKIP_1) | instid1(VALU_DEP_2)
	v_cndmask_b32_e32 v17, v17, v6, vcc_lo
	;; [unrolled: 5-line block ×4, first 2 shown]
	v_cmp_eq_u32_e32 vcc_lo, 9, v15
	v_cndmask_b32_e32 v17, v17, v11, vcc_lo
	v_cmp_eq_u32_e32 vcc_lo, 10, v15
	s_delay_alu instid0(VALU_DEP_2) | instskip(SKIP_1) | instid1(VALU_DEP_1)
	v_cndmask_b32_e32 v15, v17, v12, vcc_lo
	s_wait_dscnt 0x0
	v_fmac_f32_e32 v14, v15, v18
	v_cmpx_ne_u32_e32 6, v0
	s_cbranch_execz .LBB10_235
; %bb.224:
	v_add_nc_u32_e32 v15, 3, v0
	ds_load_b32 v18, v13 offset:12
	v_cmp_eq_u32_e32 vcc_lo, 1, v15
	v_cndmask_b32_e32 v17, v2, v3, vcc_lo
	v_cmp_eq_u32_e32 vcc_lo, 2, v15
	s_delay_alu instid0(VALU_DEP_2) | instskip(SKIP_1) | instid1(VALU_DEP_2)
	v_cndmask_b32_e32 v17, v17, v4, vcc_lo
	v_cmp_eq_u32_e32 vcc_lo, 3, v15
	v_cndmask_b32_e32 v17, v17, v5, vcc_lo
	v_cmp_eq_u32_e32 vcc_lo, 4, v15
	s_delay_alu instid0(VALU_DEP_2) | instskip(SKIP_1) | instid1(VALU_DEP_2)
	v_cndmask_b32_e32 v17, v17, v6, vcc_lo
	;; [unrolled: 5-line block ×4, first 2 shown]
	v_cmp_eq_u32_e32 vcc_lo, 9, v15
	v_cndmask_b32_e32 v17, v17, v11, vcc_lo
	v_cmp_eq_u32_e32 vcc_lo, 10, v15
	s_delay_alu instid0(VALU_DEP_2) | instskip(SKIP_1) | instid1(VALU_DEP_1)
	v_cndmask_b32_e32 v15, v17, v12, vcc_lo
	s_wait_dscnt 0x0
	v_fmac_f32_e32 v14, v15, v18
	s_and_saveexec_b32 s8, s2
	s_cbranch_execz .LBB10_234
; %bb.225:
	v_add_nc_u32_e32 v15, 4, v0
	ds_load_b32 v18, v13 offset:16
	s_mov_b32 s2, exec_lo
	v_cmp_eq_u32_e32 vcc_lo, 1, v15
	v_cndmask_b32_e32 v17, v2, v3, vcc_lo
	v_cmp_eq_u32_e32 vcc_lo, 2, v15
	s_delay_alu instid0(VALU_DEP_2) | instskip(SKIP_1) | instid1(VALU_DEP_2)
	v_cndmask_b32_e32 v17, v17, v4, vcc_lo
	v_cmp_eq_u32_e32 vcc_lo, 3, v15
	v_cndmask_b32_e32 v17, v17, v5, vcc_lo
	v_cmp_eq_u32_e32 vcc_lo, 4, v15
	s_delay_alu instid0(VALU_DEP_2) | instskip(SKIP_1) | instid1(VALU_DEP_2)
	v_cndmask_b32_e32 v17, v17, v6, vcc_lo
	;; [unrolled: 5-line block ×4, first 2 shown]
	v_cmp_eq_u32_e32 vcc_lo, 9, v15
	v_cndmask_b32_e32 v17, v17, v11, vcc_lo
	v_cmp_eq_u32_e32 vcc_lo, 10, v15
	s_delay_alu instid0(VALU_DEP_2) | instskip(SKIP_1) | instid1(VALU_DEP_1)
	v_cndmask_b32_e32 v15, v17, v12, vcc_lo
	s_wait_dscnt 0x0
	v_fmac_f32_e32 v14, v15, v18
	v_cmpx_ne_u32_e32 4, v0
	s_cbranch_execz .LBB10_233
; %bb.226:
	v_add_nc_u32_e32 v15, 5, v0
	ds_load_b32 v18, v13 offset:20
	v_cmp_eq_u32_e32 vcc_lo, 1, v15
	v_cndmask_b32_e32 v17, v2, v3, vcc_lo
	v_cmp_eq_u32_e32 vcc_lo, 2, v15
	s_delay_alu instid0(VALU_DEP_2) | instskip(SKIP_1) | instid1(VALU_DEP_2)
	v_cndmask_b32_e32 v17, v17, v4, vcc_lo
	v_cmp_eq_u32_e32 vcc_lo, 3, v15
	v_cndmask_b32_e32 v17, v17, v5, vcc_lo
	v_cmp_eq_u32_e32 vcc_lo, 4, v15
	s_delay_alu instid0(VALU_DEP_2) | instskip(SKIP_1) | instid1(VALU_DEP_2)
	v_cndmask_b32_e32 v17, v17, v6, vcc_lo
	;; [unrolled: 5-line block ×4, first 2 shown]
	v_cmp_eq_u32_e32 vcc_lo, 9, v15
	v_cndmask_b32_e32 v17, v17, v11, vcc_lo
	v_cmp_eq_u32_e32 vcc_lo, 10, v15
	s_delay_alu instid0(VALU_DEP_2) | instskip(SKIP_1) | instid1(VALU_DEP_1)
	v_cndmask_b32_e32 v15, v17, v12, vcc_lo
	s_wait_dscnt 0x0
	v_fmac_f32_e32 v14, v15, v18
	s_and_saveexec_b32 s9, s1
	s_cbranch_execz .LBB10_232
; %bb.227:
	v_add_nc_u32_e32 v15, 6, v0
	ds_load_b32 v18, v13 offset:24
	s_mov_b32 s1, exec_lo
	v_cmp_eq_u32_e32 vcc_lo, 1, v15
	v_cndmask_b32_e32 v17, v2, v3, vcc_lo
	v_cmp_eq_u32_e32 vcc_lo, 2, v15
	s_delay_alu instid0(VALU_DEP_2) | instskip(SKIP_1) | instid1(VALU_DEP_2)
	v_cndmask_b32_e32 v17, v17, v4, vcc_lo
	v_cmp_eq_u32_e32 vcc_lo, 3, v15
	v_cndmask_b32_e32 v17, v17, v5, vcc_lo
	v_cmp_eq_u32_e32 vcc_lo, 4, v15
	s_delay_alu instid0(VALU_DEP_2) | instskip(SKIP_1) | instid1(VALU_DEP_2)
	v_cndmask_b32_e32 v17, v17, v6, vcc_lo
	;; [unrolled: 5-line block ×4, first 2 shown]
	v_cmp_eq_u32_e32 vcc_lo, 9, v15
	v_cndmask_b32_e32 v17, v17, v11, vcc_lo
	v_cmp_eq_u32_e32 vcc_lo, 10, v15
	s_delay_alu instid0(VALU_DEP_2) | instskip(SKIP_1) | instid1(VALU_DEP_1)
	v_cndmask_b32_e32 v15, v17, v12, vcc_lo
	s_wait_dscnt 0x0
	v_fmac_f32_e32 v14, v15, v18
	v_cmpx_ne_u32_e32 2, v0
	s_cbranch_execz .LBB10_231
; %bb.228:
	v_add_nc_u32_e32 v15, 7, v0
	ds_load_b32 v18, v13 offset:28
	v_cmp_eq_u32_e32 vcc_lo, 1, v15
	v_cndmask_b32_e32 v17, v2, v3, vcc_lo
	v_cmp_eq_u32_e32 vcc_lo, 2, v15
	s_delay_alu instid0(VALU_DEP_2) | instskip(SKIP_1) | instid1(VALU_DEP_2)
	v_cndmask_b32_e32 v17, v17, v4, vcc_lo
	v_cmp_eq_u32_e32 vcc_lo, 3, v15
	v_cndmask_b32_e32 v17, v17, v5, vcc_lo
	v_cmp_eq_u32_e32 vcc_lo, 4, v15
	s_delay_alu instid0(VALU_DEP_2) | instskip(SKIP_1) | instid1(VALU_DEP_2)
	v_cndmask_b32_e32 v17, v17, v6, vcc_lo
	;; [unrolled: 5-line block ×4, first 2 shown]
	v_cmp_eq_u32_e32 vcc_lo, 9, v15
	v_cndmask_b32_e32 v11, v17, v11, vcc_lo
	v_cmp_eq_u32_e32 vcc_lo, 10, v15
	s_delay_alu instid0(VALU_DEP_2) | instskip(SKIP_1) | instid1(VALU_DEP_1)
	v_cndmask_b32_e32 v11, v11, v12, vcc_lo
	s_wait_dscnt 0x0
	v_fmac_f32_e32 v14, v11, v18
	s_and_saveexec_b32 s10, s0
	s_cbranch_execz .LBB10_230
; %bb.229:
	ds_load_b32 v11, v13 offset:32
	s_wait_dscnt 0x0
	v_fmac_f32_e32 v14, v10, v11
.LBB10_230:
	s_or_b32 exec_lo, exec_lo, s10
.LBB10_231:
	s_delay_alu instid0(SALU_CYCLE_1)
	s_or_b32 exec_lo, exec_lo, s1
.LBB10_232:
	s_delay_alu instid0(SALU_CYCLE_1)
	s_or_b32 exec_lo, exec_lo, s9
.LBB10_233:
	s_delay_alu instid0(SALU_CYCLE_1)
	s_or_b32 exec_lo, exec_lo, s2
.LBB10_234:
	s_delay_alu instid0(SALU_CYCLE_1)
	s_or_b32 exec_lo, exec_lo, s8
.LBB10_235:
	s_delay_alu instid0(SALU_CYCLE_1)
	s_or_b32 exec_lo, exec_lo, s4
.LBB10_236:
	s_delay_alu instid0(SALU_CYCLE_1)
	s_or_b32 exec_lo, exec_lo, s7
.LBB10_237:
	s_delay_alu instid0(SALU_CYCLE_1)
	s_or_b32 exec_lo, exec_lo, s6
	v_mov_b32_e32 v11, 0
	ds_load_b32 v11, v11 offset:36
	s_wait_dscnt 0x0
	v_mul_f32_e32 v11, v14, v11
.LBB10_238:
	s_or_b32 exec_lo, exec_lo, s5
	s_delay_alu instid0(SALU_CYCLE_1)
	s_mov_b32 s0, exec_lo
	ds_store_b32 v13, v12
	s_wait_dscnt 0x0
	s_barrier_signal -1
	s_barrier_wait -1
	v_cmpx_ne_u32_e32 10, v0
	s_cbranch_execz .LBB10_248
; %bb.239:
	v_cmp_ne_u32_e32 vcc_lo, 1, v16
	s_cbranch_vccnz .LBB10_241
; %bb.240:
	v_cmp_eq_u32_e32 vcc_lo, 1, v0
	ds_load_b32 v15, v13
	v_cndmask_b32_e32 v14, v2, v3, vcc_lo
	v_cmp_eq_u32_e32 vcc_lo, 2, v0
	s_delay_alu instid0(VALU_DEP_2) | instskip(SKIP_1) | instid1(VALU_DEP_2)
	v_cndmask_b32_e32 v14, v14, v4, vcc_lo
	v_cmp_eq_u32_e32 vcc_lo, 3, v0
	v_cndmask_b32_e32 v14, v14, v5, vcc_lo
	v_cmp_eq_u32_e32 vcc_lo, 4, v0
	s_delay_alu instid0(VALU_DEP_2) | instskip(SKIP_1) | instid1(VALU_DEP_2)
	v_cndmask_b32_e32 v14, v14, v6, vcc_lo
	v_cmp_eq_u32_e32 vcc_lo, 5, v0
	;; [unrolled: 5-line block ×4, first 2 shown]
	v_cndmask_b32_e32 v14, v14, v11, vcc_lo
	v_cmp_eq_u32_e32 vcc_lo, 10, v0
	s_delay_alu instid0(VALU_DEP_2) | instskip(SKIP_1) | instid1(VALU_DEP_1)
	v_cndmask_b32_e32 v14, v14, v12, vcc_lo
	s_wait_dscnt 0x0
	v_mul_f32_e32 v14, v14, v15
	s_cbranch_execz .LBB10_242
	s_branch .LBB10_243
.LBB10_241:
                                        ; implicit-def: $vgpr14
.LBB10_242:
	ds_load_b32 v14, v13
.LBB10_243:
	s_and_saveexec_b32 s1, s3
	s_cbranch_execz .LBB10_247
; %bb.244:
	v_lshl_add_u32 v13, v0, 2, 52
	s_mov_b32 s2, 0
.LBB10_245:                             ; =>This Inner Loop Header: Depth=1
	v_add_nc_u64_e32 v[0:1], 1, v[0:1]
	ds_load_b32 v16, v13
	v_add_nc_u32_e32 v13, 4, v13
	v_cmp_eq_u32_e32 vcc_lo, 1, v0
	v_cndmask_b32_e32 v15, v2, v3, vcc_lo
	v_cmp_eq_u32_e32 vcc_lo, 2, v0
	s_delay_alu instid0(VALU_DEP_2) | instskip(SKIP_1) | instid1(VALU_DEP_2)
	v_cndmask_b32_e32 v15, v15, v4, vcc_lo
	v_cmp_eq_u32_e32 vcc_lo, 3, v0
	v_cndmask_b32_e32 v15, v15, v5, vcc_lo
	v_cmp_eq_u32_e32 vcc_lo, 4, v0
	s_delay_alu instid0(VALU_DEP_2) | instskip(SKIP_1) | instid1(VALU_DEP_2)
	v_cndmask_b32_e32 v15, v15, v6, vcc_lo
	;; [unrolled: 5-line block ×4, first 2 shown]
	v_cmp_eq_u32_e32 vcc_lo, 9, v0
	v_cndmask_b32_e32 v15, v15, v11, vcc_lo
	v_cmp_eq_u32_e32 vcc_lo, 10, v0
	s_delay_alu instid0(VALU_DEP_2) | instskip(SKIP_2) | instid1(VALU_DEP_2)
	v_cndmask_b32_e32 v15, v15, v12, vcc_lo
	v_cmp_lt_u32_e32 vcc_lo, 8, v0
	s_wait_dscnt 0x0
	v_fmac_f32_e32 v14, v15, v16
	s_or_b32 s2, vcc_lo, s2
	s_delay_alu instid0(SALU_CYCLE_1)
	s_and_not1_b32 exec_lo, exec_lo, s2
	s_cbranch_execnz .LBB10_245
; %bb.246:
	s_or_b32 exec_lo, exec_lo, s2
.LBB10_247:
	s_delay_alu instid0(SALU_CYCLE_1)
	s_or_b32 exec_lo, exec_lo, s1
	v_mov_b32_e32 v0, 0
	ds_load_b32 v0, v0 offset:40
	s_wait_dscnt 0x0
	v_mul_f32_e32 v12, v14, v0
.LBB10_248:
	s_or_b32 exec_lo, exec_lo, s0
	s_delay_alu instid0(VALU_DEP_1)
	v_dual_mov_b32 v24, v12 :: v_dual_mov_b32 v23, v11
	v_dual_mov_b32 v22, v10 :: v_dual_mov_b32 v21, v9
	;; [unrolled: 1-line block ×5, first 2 shown]
	v_mov_b32_e32 v14, v2
.LBB10_249:
	s_wait_xcnt 0x2
	v_lshl_add_u64 v[0:1], v[26:27], 2, s[14:15]
	s_wait_loadcnt 0x2
	v_lshl_add_u64 v[2:3], v[28:29], 2, s[14:15]
	v_lshl_add_u64 v[4:5], v[30:31], 2, s[14:15]
	;; [unrolled: 1-line block ×4, first 2 shown]
	s_wait_loadcnt 0x1
	v_lshl_add_u64 v[10:11], v[38:39], 2, s[14:15]
	s_wait_loadcnt 0x0
	v_lshl_add_u64 v[12:13], v[42:43], 2, s[14:15]
	v_lshl_add_u64 v[26:27], v[44:45], 2, s[14:15]
	;; [unrolled: 1-line block ×3, first 2 shown]
	s_clause 0xa
	global_store_b32 v[36:37], v14, off
	global_store_b32 v[40:41], v15, off
	;; [unrolled: 1-line block ×11, first 2 shown]
.LBB10_250:
	s_endpgm
	.section	.rodata,"a",@progbits
	.p2align	6, 0x0
	.amdhsa_kernel _ZN9rocsolver6v33100L18trti2_kernel_smallILi11EfPfEEv13rocblas_fill_17rocblas_diagonal_T1_iil
		.amdhsa_group_segment_fixed_size 92
		.amdhsa_private_segment_fixed_size 0
		.amdhsa_kernarg_size 32
		.amdhsa_user_sgpr_count 2
		.amdhsa_user_sgpr_dispatch_ptr 0
		.amdhsa_user_sgpr_queue_ptr 0
		.amdhsa_user_sgpr_kernarg_segment_ptr 1
		.amdhsa_user_sgpr_dispatch_id 0
		.amdhsa_user_sgpr_kernarg_preload_length 0
		.amdhsa_user_sgpr_kernarg_preload_offset 0
		.amdhsa_user_sgpr_private_segment_size 0
		.amdhsa_wavefront_size32 1
		.amdhsa_uses_dynamic_stack 0
		.amdhsa_enable_private_segment 0
		.amdhsa_system_sgpr_workgroup_id_x 1
		.amdhsa_system_sgpr_workgroup_id_y 0
		.amdhsa_system_sgpr_workgroup_id_z 0
		.amdhsa_system_sgpr_workgroup_info 0
		.amdhsa_system_vgpr_workitem_id 0
		.amdhsa_next_free_vgpr 61
		.amdhsa_next_free_sgpr 20
		.amdhsa_named_barrier_count 0
		.amdhsa_reserve_vcc 1
		.amdhsa_float_round_mode_32 0
		.amdhsa_float_round_mode_16_64 0
		.amdhsa_float_denorm_mode_32 3
		.amdhsa_float_denorm_mode_16_64 3
		.amdhsa_fp16_overflow 0
		.amdhsa_memory_ordered 1
		.amdhsa_forward_progress 1
		.amdhsa_inst_pref_size 89
		.amdhsa_round_robin_scheduling 0
		.amdhsa_exception_fp_ieee_invalid_op 0
		.amdhsa_exception_fp_denorm_src 0
		.amdhsa_exception_fp_ieee_div_zero 0
		.amdhsa_exception_fp_ieee_overflow 0
		.amdhsa_exception_fp_ieee_underflow 0
		.amdhsa_exception_fp_ieee_inexact 0
		.amdhsa_exception_int_div_zero 0
	.end_amdhsa_kernel
	.section	.text._ZN9rocsolver6v33100L18trti2_kernel_smallILi11EfPfEEv13rocblas_fill_17rocblas_diagonal_T1_iil,"axG",@progbits,_ZN9rocsolver6v33100L18trti2_kernel_smallILi11EfPfEEv13rocblas_fill_17rocblas_diagonal_T1_iil,comdat
.Lfunc_end10:
	.size	_ZN9rocsolver6v33100L18trti2_kernel_smallILi11EfPfEEv13rocblas_fill_17rocblas_diagonal_T1_iil, .Lfunc_end10-_ZN9rocsolver6v33100L18trti2_kernel_smallILi11EfPfEEv13rocblas_fill_17rocblas_diagonal_T1_iil
                                        ; -- End function
	.set _ZN9rocsolver6v33100L18trti2_kernel_smallILi11EfPfEEv13rocblas_fill_17rocblas_diagonal_T1_iil.num_vgpr, 61
	.set _ZN9rocsolver6v33100L18trti2_kernel_smallILi11EfPfEEv13rocblas_fill_17rocblas_diagonal_T1_iil.num_agpr, 0
	.set _ZN9rocsolver6v33100L18trti2_kernel_smallILi11EfPfEEv13rocblas_fill_17rocblas_diagonal_T1_iil.numbered_sgpr, 20
	.set _ZN9rocsolver6v33100L18trti2_kernel_smallILi11EfPfEEv13rocblas_fill_17rocblas_diagonal_T1_iil.num_named_barrier, 0
	.set _ZN9rocsolver6v33100L18trti2_kernel_smallILi11EfPfEEv13rocblas_fill_17rocblas_diagonal_T1_iil.private_seg_size, 0
	.set _ZN9rocsolver6v33100L18trti2_kernel_smallILi11EfPfEEv13rocblas_fill_17rocblas_diagonal_T1_iil.uses_vcc, 1
	.set _ZN9rocsolver6v33100L18trti2_kernel_smallILi11EfPfEEv13rocblas_fill_17rocblas_diagonal_T1_iil.uses_flat_scratch, 0
	.set _ZN9rocsolver6v33100L18trti2_kernel_smallILi11EfPfEEv13rocblas_fill_17rocblas_diagonal_T1_iil.has_dyn_sized_stack, 0
	.set _ZN9rocsolver6v33100L18trti2_kernel_smallILi11EfPfEEv13rocblas_fill_17rocblas_diagonal_T1_iil.has_recursion, 0
	.set _ZN9rocsolver6v33100L18trti2_kernel_smallILi11EfPfEEv13rocblas_fill_17rocblas_diagonal_T1_iil.has_indirect_call, 0
	.section	.AMDGPU.csdata,"",@progbits
; Kernel info:
; codeLenInByte = 11300
; TotalNumSgprs: 22
; NumVgprs: 61
; ScratchSize: 0
; MemoryBound: 0
; FloatMode: 240
; IeeeMode: 1
; LDSByteSize: 92 bytes/workgroup (compile time only)
; SGPRBlocks: 0
; VGPRBlocks: 3
; NumSGPRsForWavesPerEU: 22
; NumVGPRsForWavesPerEU: 61
; NamedBarCnt: 0
; Occupancy: 16
; WaveLimiterHint : 0
; COMPUTE_PGM_RSRC2:SCRATCH_EN: 0
; COMPUTE_PGM_RSRC2:USER_SGPR: 2
; COMPUTE_PGM_RSRC2:TRAP_HANDLER: 0
; COMPUTE_PGM_RSRC2:TGID_X_EN: 1
; COMPUTE_PGM_RSRC2:TGID_Y_EN: 0
; COMPUTE_PGM_RSRC2:TGID_Z_EN: 0
; COMPUTE_PGM_RSRC2:TIDIG_COMP_CNT: 0
	.section	.text._ZN9rocsolver6v33100L18trti2_kernel_smallILi12EfPfEEv13rocblas_fill_17rocblas_diagonal_T1_iil,"axG",@progbits,_ZN9rocsolver6v33100L18trti2_kernel_smallILi12EfPfEEv13rocblas_fill_17rocblas_diagonal_T1_iil,comdat
	.globl	_ZN9rocsolver6v33100L18trti2_kernel_smallILi12EfPfEEv13rocblas_fill_17rocblas_diagonal_T1_iil ; -- Begin function _ZN9rocsolver6v33100L18trti2_kernel_smallILi12EfPfEEv13rocblas_fill_17rocblas_diagonal_T1_iil
	.p2align	8
	.type	_ZN9rocsolver6v33100L18trti2_kernel_smallILi12EfPfEEv13rocblas_fill_17rocblas_diagonal_T1_iil,@function
_ZN9rocsolver6v33100L18trti2_kernel_smallILi12EfPfEEv13rocblas_fill_17rocblas_diagonal_T1_iil: ; @_ZN9rocsolver6v33100L18trti2_kernel_smallILi12EfPfEEv13rocblas_fill_17rocblas_diagonal_T1_iil
; %bb.0:
	s_mov_b32 s2, exec_lo
	v_cmpx_gt_u32_e32 12, v0
	s_cbranch_execz .LBB11_276
; %bb.1:
	s_load_b256 s[12:19], s[0:1], 0x0
	s_wait_xcnt 0x0
	s_bfe_u32 s0, ttmp6, 0x4000c
	s_and_b32 s1, ttmp6, 15
	s_add_co_i32 s0, s0, 1
	s_getreg_b32 s2, hwreg(HW_REG_IB_STS2, 6, 4)
	s_mul_i32 s0, ttmp9, s0
	v_mov_b32_e32 v1, 0
	s_add_co_i32 s0, s1, s0
	s_delay_alu instid0(VALU_DEP_1)
	v_dual_mov_b32 v15, v1 :: v_dual_lshlrev_b32 v14, 2, v0
	s_wait_kmcnt 0x0
	v_add3_u32 v26, s17, s17, v0
	s_ashr_i32 s1, s16, 31
	s_cmp_eq_u32 s2, 0
	s_cselect_b32 s2, ttmp9, s0
	s_delay_alu instid0(VALU_DEP_1)
	v_add_nc_u32_e32 v28, s17, v26
	s_ashr_i32 s3, s2, 31
	s_mov_b32 s0, s16
	s_mul_u64 s[2:3], s[18:19], s[2:3]
	s_lshl_b64 s[0:1], s[0:1], 2
	v_add_nc_u32_e32 v30, s17, v28
	s_lshl_b64 s[2:3], s[2:3], 2
	s_delay_alu instid0(SALU_CYCLE_1) | instskip(NEXT) | instid1(VALU_DEP_1)
	s_add_nc_u64 s[2:3], s[14:15], s[2:3]
	v_add_nc_u32_e32 v32, s17, v30
	s_add_nc_u64 s[14:15], s[2:3], s[0:1]
	s_mov_b32 s0, s17
	s_ashr_i32 s1, s17, 31
	s_cmp_lg_u32 s13, 0x84
	v_add_nc_u32_e32 v34, s17, v32
	v_add_nc_u64_e32 v[38:39], s[14:15], v[14:15]
	s_cselect_b32 s16, -1, 0
	s_cmp_eq_u32 s13, 0x84
	s_delay_alu instid0(VALU_DEP_2) | instskip(NEXT) | instid1(VALU_DEP_2)
	v_dual_mov_b32 v15, -1.0 :: v_dual_add_nc_u32 v36, s17, v34
	v_lshl_add_u64 v[42:43], s[0:1], 2, v[38:39]
	v_cmp_eq_u32_e64 s0, 0, v0
	s_delay_alu instid0(VALU_DEP_3) | instskip(NEXT) | instid1(VALU_DEP_1)
	v_add_nc_u32_e32 v40, s17, v36
	v_add_nc_u32_e32 v44, s17, v40
	s_delay_alu instid0(VALU_DEP_1) | instskip(NEXT) | instid1(VALU_DEP_1)
	v_add_nc_u32_e32 v46, s17, v44
	v_add_nc_u32_e32 v48, s17, v46
	s_clause 0xb
	global_load_b32 v3, v[42:43], off
	global_load_b32 v4, v26, s[14:15] scale_offset
	global_load_b32 v5, v28, s[14:15] scale_offset
	;; [unrolled: 1-line block ×11, first 2 shown]
	s_cbranch_scc1 .LBB11_3
; %bb.2:
	v_cmp_eq_u32_e64 s1, 1, v0
	v_cmp_eq_u32_e64 s2, 2, v0
	;; [unrolled: 1-line block ×5, first 2 shown]
	s_wait_loadcnt 0x3
	v_cndmask_b32_e64 v15, v2, v3, s1
	v_cmp_eq_u32_e64 s6, 6, v0
	v_cmp_eq_u32_e64 s7, 7, v0
	;; [unrolled: 1-line block ×4, first 2 shown]
	v_cndmask_b32_e64 v15, v15, v4, s2
	v_cmp_eq_u32_e64 s10, 10, v0
	v_cmp_eq_u32_e64 s11, 11, v0
	s_delay_alu instid0(VALU_DEP_3) | instskip(NEXT) | instid1(VALU_DEP_1)
	v_cndmask_b32_e64 v15, v15, v5, s3
	v_cndmask_b32_e64 v15, v15, v6, s4
	s_delay_alu instid0(VALU_DEP_1) | instskip(NEXT) | instid1(VALU_DEP_1)
	v_cndmask_b32_e64 v15, v15, v7, s5
	v_cndmask_b32_e64 v15, v15, v8, s6
	s_delay_alu instid0(VALU_DEP_1) | instskip(NEXT) | instid1(VALU_DEP_1)
	v_cndmask_b32_e64 v15, v15, v9, s7
	v_cndmask_b32_e64 v15, v15, v10, s8
	s_wait_loadcnt 0x2
	s_delay_alu instid0(VALU_DEP_1) | instskip(SKIP_1) | instid1(VALU_DEP_1)
	v_cndmask_b32_e64 v15, v15, v11, s9
	s_wait_loadcnt 0x1
	v_cndmask_b32_e64 v15, v15, v12, s10
	s_wait_loadcnt 0x0
	s_delay_alu instid0(VALU_DEP_1) | instskip(NEXT) | instid1(VALU_DEP_1)
	v_cndmask_b32_e64 v15, v15, v13, s11
	v_div_scale_f32 v16, null, v15, v15, 1.0
	v_div_scale_f32 v19, vcc_lo, 1.0, v15, 1.0
	s_delay_alu instid0(VALU_DEP_2) | instskip(SKIP_1) | instid1(TRANS32_DEP_1)
	v_rcp_f32_e32 v17, v16
	v_nop
	v_fma_f32 v18, -v16, v17, 1.0
	s_delay_alu instid0(VALU_DEP_1) | instskip(NEXT) | instid1(VALU_DEP_1)
	v_fmac_f32_e32 v17, v18, v17
	v_mul_f32_e32 v18, v19, v17
	s_delay_alu instid0(VALU_DEP_1) | instskip(NEXT) | instid1(VALU_DEP_1)
	v_fma_f32 v20, -v16, v18, v19
	v_fmac_f32_e32 v18, v20, v17
	s_delay_alu instid0(VALU_DEP_1) | instskip(NEXT) | instid1(VALU_DEP_1)
	v_fma_f32 v16, -v16, v18, v19
	v_div_fmas_f32 v16, v16, v17, v18
	s_delay_alu instid0(VALU_DEP_1) | instskip(NEXT) | instid1(VALU_DEP_1)
	v_div_fixup_f32 v15, v16, v15, 1.0
	v_dual_cndmask_b32 v13, v13, v15, s11 :: v_dual_cndmask_b32 v12, v12, v15, s10
	v_dual_cndmask_b32 v11, v11, v15, s9 :: v_dual_cndmask_b32 v10, v10, v15, s8
	;; [unrolled: 1-line block ×6, first 2 shown]
	v_xor_b32_e32 v15, 0x80000000, v15
.LBB11_3:
	v_dual_ashrrev_i32 v27, 31, v26 :: v_dual_ashrrev_i32 v29, 31, v28
	v_dual_ashrrev_i32 v31, 31, v30 :: v_dual_ashrrev_i32 v33, 31, v32
	;; [unrolled: 1-line block ×4, first 2 shown]
	v_dual_ashrrev_i32 v45, 31, v44 :: v_dual_add_nc_u32 v54, 48, v14
	v_ashrrev_i32_e32 v49, 31, v48
	s_cmp_eq_u32 s12, 0x79
	ds_store_b32 v14, v15
	s_cbranch_scc1 .LBB11_7
; %bb.4:
	s_wait_loadcnt 0x0
	v_mov_b64_e32 v[24:25], v[12:13]
	v_mov_b64_e32 v[22:23], v[10:11]
	;; [unrolled: 1-line block ×6, first 2 shown]
	v_cmp_eq_u32_e64 s0, 11, v0
	ds_store_b32 v54, v12
	s_wait_dscnt 0x0
	s_barrier_signal -1
	s_barrier_wait -1
	s_and_saveexec_b32 s1, s0
	s_cbranch_execz .LBB11_11
; %bb.5:
	s_and_b32 vcc_lo, exec_lo, s16
	s_cbranch_vccz .LBB11_8
; %bb.6:
	v_cmp_eq_u32_e32 vcc_lo, 1, v0
	ds_load_b32 v15, v54
	v_cndmask_b32_e32 v14, v2, v3, vcc_lo
	v_cmp_eq_u32_e32 vcc_lo, 2, v0
	s_delay_alu instid0(VALU_DEP_2) | instskip(SKIP_1) | instid1(VALU_DEP_2)
	v_cndmask_b32_e32 v14, v14, v4, vcc_lo
	v_cmp_eq_u32_e32 vcc_lo, 3, v0
	v_cndmask_b32_e32 v14, v14, v5, vcc_lo
	v_cmp_eq_u32_e32 vcc_lo, 4, v0
	s_delay_alu instid0(VALU_DEP_2) | instskip(SKIP_1) | instid1(VALU_DEP_2)
	v_cndmask_b32_e32 v14, v14, v6, vcc_lo
	v_cmp_eq_u32_e32 vcc_lo, 5, v0
	v_cndmask_b32_e32 v14, v14, v7, vcc_lo
	v_cmp_eq_u32_e32 vcc_lo, 6, v0
	s_delay_alu instid0(VALU_DEP_2) | instskip(SKIP_1) | instid1(VALU_DEP_2)
	v_cndmask_b32_e32 v14, v14, v8, vcc_lo
	v_cmp_eq_u32_e32 vcc_lo, 7, v0
	v_cndmask_b32_e32 v14, v14, v9, vcc_lo
	v_cmp_eq_u32_e32 vcc_lo, 8, v0
	s_delay_alu instid0(VALU_DEP_2) | instskip(SKIP_1) | instid1(VALU_DEP_2)
	v_cndmask_b32_e32 v14, v14, v10, vcc_lo
	v_cmp_eq_u32_e32 vcc_lo, 9, v0
	v_cndmask_b32_e32 v14, v14, v11, vcc_lo
	v_cmp_eq_u32_e32 vcc_lo, 10, v0
	s_delay_alu instid0(VALU_DEP_2) | instskip(SKIP_1) | instid1(VALU_DEP_2)
	v_cndmask_b32_e32 v14, v14, v12, vcc_lo
	v_cmp_eq_u32_e32 vcc_lo, 11, v0
	v_cndmask_b32_e32 v14, v14, v13, vcc_lo
	s_wait_dscnt 0x0
	s_delay_alu instid0(VALU_DEP_1)
	v_mul_f32_e32 v14, v14, v15
	s_cbranch_execz .LBB11_9
	s_branch .LBB11_10
.LBB11_7:
                                        ; implicit-def: $vgpr14_vgpr15_vgpr16_vgpr17_vgpr18_vgpr19_vgpr20_vgpr21_vgpr22_vgpr23_vgpr24_vgpr25
	s_cbranch_execnz .LBB11_162
	s_branch .LBB11_275
.LBB11_8:
                                        ; implicit-def: $vgpr14
.LBB11_9:
	ds_load_b32 v14, v54
.LBB11_10:
	v_mov_b32_e32 v15, 0
	ds_load_b32 v15, v15 offset:40
	s_wait_dscnt 0x0
	v_mul_f32_e32 v50, v14, v15
	v_mov_b64_e32 v[24:25], v[12:13]
	v_mov_b64_e32 v[22:23], v[10:11]
	;; [unrolled: 1-line block ×6, first 2 shown]
	v_mov_b32_e32 v24, v50
.LBB11_11:
	s_or_b32 exec_lo, exec_lo, s1
	v_cmp_lt_u32_e64 s1, 9, v0
	ds_store_b32 v54, v23
	s_wait_dscnt 0x0
	s_barrier_signal -1
	s_barrier_wait -1
	s_and_saveexec_b32 s2, s1
	s_cbranch_execz .LBB11_17
; %bb.12:
	s_and_not1_b32 vcc_lo, exec_lo, s16
	s_cbranch_vccnz .LBB11_14
; %bb.13:
	v_cmp_eq_u32_e32 vcc_lo, 1, v0
	ds_load_b32 v51, v54
	v_cndmask_b32_e32 v50, v14, v15, vcc_lo
	v_cmp_eq_u32_e32 vcc_lo, 2, v0
	s_delay_alu instid0(VALU_DEP_2) | instskip(SKIP_1) | instid1(VALU_DEP_2)
	v_cndmask_b32_e32 v50, v50, v16, vcc_lo
	v_cmp_eq_u32_e32 vcc_lo, 3, v0
	v_cndmask_b32_e32 v50, v50, v17, vcc_lo
	v_cmp_eq_u32_e32 vcc_lo, 4, v0
	s_delay_alu instid0(VALU_DEP_2) | instskip(SKIP_1) | instid1(VALU_DEP_2)
	v_cndmask_b32_e32 v50, v50, v18, vcc_lo
	v_cmp_eq_u32_e32 vcc_lo, 5, v0
	;; [unrolled: 5-line block ×5, first 2 shown]
	v_cndmask_b32_e32 v23, v23, v25, vcc_lo
	s_wait_dscnt 0x0
	s_delay_alu instid0(VALU_DEP_1)
	v_mul_f32_e32 v23, v23, v51
	s_cbranch_execz .LBB11_15
	s_branch .LBB11_16
.LBB11_14:
                                        ; implicit-def: $vgpr23
.LBB11_15:
	ds_load_b32 v23, v54
.LBB11_16:
	v_mov_b32_e32 v50, 0
	ds_load_2addr_b32 v[50:51], v50 offset0:9 offset1:22
	s_wait_dscnt 0x0
	v_fma_f32 v51, v24, v51, v23
	s_delay_alu instid0(VALU_DEP_1) | instskip(NEXT) | instid1(VALU_DEP_1)
	v_cndmask_b32_e64 v23, v23, v51, s0
	v_mul_f32_e32 v23, v23, v50
.LBB11_17:
	s_or_b32 exec_lo, exec_lo, s2
	v_cmp_lt_u32_e64 s0, 8, v0
	ds_store_b32 v54, v22
	s_wait_dscnt 0x0
	s_barrier_signal -1
	s_barrier_wait -1
	s_and_saveexec_b32 s4, s0
	s_cbranch_execz .LBB11_33
; %bb.18:
	s_and_not1_b32 vcc_lo, exec_lo, s16
	s_cbranch_vccnz .LBB11_20
; %bb.19:
	v_cmp_eq_u32_e32 vcc_lo, 1, v0
	ds_load_b32 v51, v54
	v_cndmask_b32_e32 v50, v14, v15, vcc_lo
	v_cmp_eq_u32_e32 vcc_lo, 2, v0
	s_delay_alu instid0(VALU_DEP_2) | instskip(SKIP_1) | instid1(VALU_DEP_2)
	v_cndmask_b32_e32 v50, v50, v16, vcc_lo
	v_cmp_eq_u32_e32 vcc_lo, 3, v0
	v_cndmask_b32_e32 v50, v50, v17, vcc_lo
	v_cmp_eq_u32_e32 vcc_lo, 4, v0
	s_delay_alu instid0(VALU_DEP_2) | instskip(SKIP_1) | instid1(VALU_DEP_2)
	v_cndmask_b32_e32 v50, v50, v18, vcc_lo
	v_cmp_eq_u32_e32 vcc_lo, 5, v0
	;; [unrolled: 5-line block ×5, first 2 shown]
	v_cndmask_b32_e32 v50, v50, v25, vcc_lo
	s_wait_dscnt 0x0
	s_delay_alu instid0(VALU_DEP_1)
	v_mul_f32_e32 v51, v50, v51
	s_cbranch_execz .LBB11_21
	s_branch .LBB11_22
.LBB11_20:
                                        ; implicit-def: $vgpr51
.LBB11_21:
	ds_load_b32 v51, v54
.LBB11_22:
	s_and_saveexec_b32 s5, s1
	s_cbranch_execz .LBB11_32
; %bb.23:
	v_dual_add_nc_u32 v50, -10, v0 :: v_dual_add_nc_u32 v53, -9, v0
	v_mov_b32_e32 v52, 9
	s_mov_b32 s1, exec_lo
	s_delay_alu instid0(VALU_DEP_2)
	v_cmpx_lt_u32_e32 6, v50
	s_cbranch_execz .LBB11_27
; %bb.24:
	v_and_b32_e32 v50, -8, v53
	s_mov_b32 s6, 0
	s_mov_b64 s[2:3], 16
	s_movk_i32 s7, 0x54
	s_delay_alu instid0(VALU_DEP_1)
	v_sub_nc_u32_e32 v50, 0, v50
.LBB11_25:                              ; =>This Inner Loop Header: Depth=1
	s_add_co_i32 m0, s2, -7
	v_movrels_b32_e32 v52, v14
	v_mov_b32_e32 v55, s7
	s_add_co_i32 m0, s2, -6
	s_add_co_i32 s7, s7, 32
	ds_load_2addr_b32 v[56:57], v55 offset1:1
	s_wait_dscnt 0x0
	v_fmac_f32_e32 v51, v52, v56
	v_movrels_b32_e32 v52, v14
	s_add_co_i32 m0, s2, -5
	s_delay_alu instid0(VALU_DEP_1) | instskip(SKIP_4) | instid1(VALU_DEP_1)
	v_fmac_f32_e32 v51, v52, v57
	ds_load_2addr_b32 v[56:57], v55 offset0:2 offset1:3
	v_movrels_b32_e32 v52, v14
	s_add_co_i32 m0, s2, -4
	s_wait_dscnt 0x0
	v_fmac_f32_e32 v51, v52, v56
	v_movrels_b32_e32 v52, v14
	s_add_co_i32 m0, s2, -3
	s_delay_alu instid0(VALU_DEP_1) | instskip(SKIP_4) | instid1(VALU_DEP_1)
	v_fmac_f32_e32 v51, v52, v57
	ds_load_2addr_b32 v[56:57], v55 offset0:4 offset1:5
	v_movrels_b32_e32 v52, v14
	s_add_co_i32 m0, s2, -2
	s_wait_dscnt 0x0
	v_fmac_f32_e32 v51, v52, v56
	v_movrels_b32_e32 v52, v14
	s_add_co_i32 m0, s2, -1
	s_delay_alu instid0(VALU_DEP_1) | instskip(SKIP_4) | instid1(SALU_CYCLE_1)
	v_fmac_f32_e32 v51, v52, v57
	ds_load_2addr_b32 v[56:57], v55 offset0:6 offset1:7
	v_movrels_b32_e32 v52, v14
	s_mov_b32 m0, s2
	s_add_nc_u64 s[2:3], s[2:3], 8
	s_add_co_i32 s8, s2, -7
	s_wait_dscnt 0x0
	v_fmac_f32_e32 v51, v52, v56
	v_movrels_b32_e32 v52, v14
	s_delay_alu instid0(VALU_DEP_1) | instskip(NEXT) | instid1(VALU_DEP_1)
	v_dual_fmac_f32 v51, v52, v57 :: v_dual_add_nc_u32 v52, s2, v50
	v_cmp_eq_u32_e32 vcc_lo, 16, v52
	v_mov_b32_e32 v52, s8
	s_or_b32 s6, vcc_lo, s6
	s_delay_alu instid0(SALU_CYCLE_1)
	s_and_not1_b32 exec_lo, exec_lo, s6
	s_cbranch_execnz .LBB11_25
; %bb.26:
	s_or_b32 exec_lo, exec_lo, s6
.LBB11_27:
	s_delay_alu instid0(SALU_CYCLE_1) | instskip(SKIP_3) | instid1(VALU_DEP_1)
	s_or_b32 exec_lo, exec_lo, s1
	v_and_b32_e32 v50, 7, v53
	s_mov_b32 s2, 0
	s_mov_b32 s1, exec_lo
	v_cmpx_ne_u32_e32 0, v50
	s_cbranch_execz .LBB11_31
; %bb.28:
	v_lshl_add_u32 v55, v52, 2, 48
	v_mov_b32_e32 v53, 0
.LBB11_29:                              ; =>This Inner Loop Header: Depth=1
	v_cmp_eq_u32_e32 vcc_lo, 1, v52
	ds_load_b32 v57, v55
	v_dual_add_nc_u32 v50, -1, v50 :: v_dual_add_nc_u32 v55, 4, v55
	v_cndmask_b32_e32 v56, v14, v15, vcc_lo
	v_cmp_eq_u32_e32 vcc_lo, 2, v52
	s_delay_alu instid0(VALU_DEP_2) | instskip(SKIP_1) | instid1(VALU_DEP_2)
	v_cndmask_b32_e32 v56, v56, v16, vcc_lo
	v_cmp_eq_u32_e32 vcc_lo, 3, v52
	v_cndmask_b32_e32 v56, v56, v17, vcc_lo
	v_cmp_eq_u32_e32 vcc_lo, 4, v52
	s_delay_alu instid0(VALU_DEP_2) | instskip(SKIP_1) | instid1(VALU_DEP_2)
	v_cndmask_b32_e32 v56, v56, v18, vcc_lo
	v_cmp_eq_u32_e32 vcc_lo, 5, v52
	;; [unrolled: 5-line block ×4, first 2 shown]
	v_cndmask_b32_e32 v56, v56, v23, vcc_lo
	v_cmp_eq_u32_e32 vcc_lo, 10, v52
	s_delay_alu instid0(VALU_DEP_2) | instskip(SKIP_2) | instid1(VALU_DEP_3)
	v_cndmask_b32_e32 v56, v56, v24, vcc_lo
	v_cmp_eq_u32_e32 vcc_lo, 11, v52
	v_add_nc_u64_e32 v[52:53], 1, v[52:53]
	v_cndmask_b32_e32 v56, v56, v25, vcc_lo
	v_cmp_eq_u32_e32 vcc_lo, 0, v50
	s_wait_dscnt 0x0
	s_delay_alu instid0(VALU_DEP_2) | instskip(SKIP_1) | instid1(SALU_CYCLE_1)
	v_fmac_f32_e32 v51, v56, v57
	s_or_b32 s2, vcc_lo, s2
	s_and_not1_b32 exec_lo, exec_lo, s2
	s_cbranch_execnz .LBB11_29
; %bb.30:
	s_or_b32 exec_lo, exec_lo, s2
.LBB11_31:
	s_delay_alu instid0(SALU_CYCLE_1)
	s_or_b32 exec_lo, exec_lo, s1
.LBB11_32:
	s_delay_alu instid0(SALU_CYCLE_1)
	s_or_b32 exec_lo, exec_lo, s5
	v_mov_b32_e32 v22, 0
	ds_load_b32 v22, v22 offset:32
	s_wait_dscnt 0x0
	v_mul_f32_e32 v22, v51, v22
.LBB11_33:
	s_or_b32 exec_lo, exec_lo, s4
	v_cmp_lt_u32_e64 s1, 7, v0
	ds_store_b32 v54, v21
	s_wait_dscnt 0x0
	s_barrier_signal -1
	s_barrier_wait -1
	s_and_saveexec_b32 s4, s1
	s_cbranch_execz .LBB11_49
; %bb.34:
	s_and_not1_b32 vcc_lo, exec_lo, s16
	s_cbranch_vccnz .LBB11_36
; %bb.35:
	v_cmp_eq_u32_e32 vcc_lo, 1, v0
	ds_load_b32 v51, v54
	v_cndmask_b32_e32 v50, v14, v15, vcc_lo
	v_cmp_eq_u32_e32 vcc_lo, 2, v0
	s_delay_alu instid0(VALU_DEP_2) | instskip(SKIP_1) | instid1(VALU_DEP_2)
	v_cndmask_b32_e32 v50, v50, v16, vcc_lo
	v_cmp_eq_u32_e32 vcc_lo, 3, v0
	v_cndmask_b32_e32 v50, v50, v17, vcc_lo
	v_cmp_eq_u32_e32 vcc_lo, 4, v0
	s_delay_alu instid0(VALU_DEP_2) | instskip(SKIP_1) | instid1(VALU_DEP_2)
	v_cndmask_b32_e32 v50, v50, v18, vcc_lo
	v_cmp_eq_u32_e32 vcc_lo, 5, v0
	;; [unrolled: 5-line block ×5, first 2 shown]
	v_cndmask_b32_e32 v50, v50, v25, vcc_lo
	s_wait_dscnt 0x0
	s_delay_alu instid0(VALU_DEP_1)
	v_mul_f32_e32 v55, v50, v51
	s_cbranch_execz .LBB11_37
	s_branch .LBB11_38
.LBB11_36:
                                        ; implicit-def: $vgpr55
.LBB11_37:
	ds_load_b32 v55, v54
.LBB11_38:
	s_and_saveexec_b32 s5, s0
	s_cbranch_execz .LBB11_48
; %bb.39:
	v_add_nc_u32_e32 v50, -9, v0
	s_delay_alu instid0(VALU_DEP_1)
	v_cmp_lt_u32_e32 vcc_lo, 6, v50
	v_mov_b32_e32 v50, 8
	s_and_saveexec_b32 s0, vcc_lo
	s_cbranch_execz .LBB11_43
; %bb.40:
	v_bfe_u32 v50, v0, 3, 1
	v_mov_b32_e32 v51, 0
	s_mov_b64 s[2:3], 0xfffffff8
	s_movk_i32 s7, 0x50
	s_mov_b32 s6, 0
	s_delay_alu instid0(VALU_DEP_1)
	v_mul_u64_e32 v[52:53], s[2:3], v[50:51]
	s_mov_b64 s[2:3], 15
.LBB11_41:                              ; =>This Inner Loop Header: Depth=1
	s_delay_alu instid0(SALU_CYCLE_1)
	s_add_co_i32 m0, s2, -7
	v_movrels_b32_e32 v51, v14
	v_mov_b32_e32 v50, s7
	s_add_co_i32 m0, s2, -6
	s_add_co_i32 s7, s7, 32
	v_movrels_b32_e32 v53, v14
	s_add_co_i32 m0, s2, -5
	ds_load_b128 v[56:59], v50
	ds_load_b128 v[60:63], v50 offset:16
	v_movrels_b32_e32 v50, v14
	s_add_co_i32 m0, s2, -4
	s_wait_dscnt 0x1
	v_fmac_f32_e32 v55, v51, v56
	v_movrels_b32_e32 v51, v14
	s_add_co_i32 m0, s2, -3
	s_delay_alu instid0(VALU_DEP_2) | instskip(NEXT) | instid1(VALU_DEP_1)
	v_fmac_f32_e32 v55, v53, v57
	v_fmac_f32_e32 v55, v50, v58
	v_movrels_b32_e32 v50, v14
	s_add_co_i32 m0, s2, -2
	s_delay_alu instid0(VALU_DEP_2) | instskip(SKIP_3) | instid1(VALU_DEP_2)
	v_fmac_f32_e32 v55, v51, v59
	v_movrels_b32_e32 v51, v14
	s_add_co_i32 m0, s2, -1
	s_wait_dscnt 0x0
	v_fmac_f32_e32 v55, v50, v60
	v_movrels_b32_e32 v50, v14
	s_mov_b32 m0, s2
	s_add_nc_u64 s[2:3], s[2:3], 8
	v_movrels_b32_e32 v53, v14
	v_dual_fmac_f32 v55, v51, v61 :: v_dual_add_nc_u32 v51, s2, v52
	s_add_co_i32 s8, s2, -7
	s_delay_alu instid0(VALU_DEP_1) | instskip(NEXT) | instid1(VALU_DEP_2)
	v_fmac_f32_e32 v55, v50, v62
	v_cmp_eq_u32_e32 vcc_lo, 7, v51
	s_delay_alu instid0(VALU_DEP_2) | instskip(SKIP_1) | instid1(SALU_CYCLE_1)
	v_dual_mov_b32 v50, s8 :: v_dual_fmac_f32 v55, v53, v63
	s_or_b32 s6, vcc_lo, s6
	s_and_not1_b32 exec_lo, exec_lo, s6
	s_cbranch_execnz .LBB11_41
; %bb.42:
	s_or_b32 exec_lo, exec_lo, s6
.LBB11_43:
	s_delay_alu instid0(SALU_CYCLE_1) | instskip(SKIP_3) | instid1(VALU_DEP_1)
	s_or_b32 exec_lo, exec_lo, s0
	v_and_b32_e32 v52, 7, v0
	s_mov_b32 s2, 0
	s_mov_b32 s0, exec_lo
	v_cmpx_ne_u32_e32 0, v52
	s_cbranch_execz .LBB11_47
; %bb.44:
	v_lshl_add_u32 v53, v50, 2, 48
	v_mov_b32_e32 v51, 0
.LBB11_45:                              ; =>This Inner Loop Header: Depth=1
	v_cmp_eq_u32_e32 vcc_lo, 1, v50
	ds_load_b32 v57, v53
	v_dual_add_nc_u32 v52, -1, v52 :: v_dual_add_nc_u32 v53, 4, v53
	v_cndmask_b32_e32 v56, v14, v15, vcc_lo
	v_cmp_eq_u32_e32 vcc_lo, 2, v50
	s_delay_alu instid0(VALU_DEP_2) | instskip(SKIP_1) | instid1(VALU_DEP_2)
	v_cndmask_b32_e32 v56, v56, v16, vcc_lo
	v_cmp_eq_u32_e32 vcc_lo, 3, v50
	v_cndmask_b32_e32 v56, v56, v17, vcc_lo
	v_cmp_eq_u32_e32 vcc_lo, 4, v50
	s_delay_alu instid0(VALU_DEP_2) | instskip(SKIP_1) | instid1(VALU_DEP_2)
	v_cndmask_b32_e32 v56, v56, v18, vcc_lo
	v_cmp_eq_u32_e32 vcc_lo, 5, v50
	;; [unrolled: 5-line block ×4, first 2 shown]
	v_cndmask_b32_e32 v56, v56, v23, vcc_lo
	v_cmp_eq_u32_e32 vcc_lo, 10, v50
	s_delay_alu instid0(VALU_DEP_2) | instskip(SKIP_2) | instid1(VALU_DEP_3)
	v_cndmask_b32_e32 v56, v56, v24, vcc_lo
	v_cmp_eq_u32_e32 vcc_lo, 11, v50
	v_add_nc_u64_e32 v[50:51], 1, v[50:51]
	v_cndmask_b32_e32 v56, v56, v25, vcc_lo
	v_cmp_eq_u32_e32 vcc_lo, 0, v52
	s_wait_dscnt 0x0
	s_delay_alu instid0(VALU_DEP_2) | instskip(SKIP_1) | instid1(SALU_CYCLE_1)
	v_fmac_f32_e32 v55, v56, v57
	s_or_b32 s2, vcc_lo, s2
	s_and_not1_b32 exec_lo, exec_lo, s2
	s_cbranch_execnz .LBB11_45
; %bb.46:
	s_or_b32 exec_lo, exec_lo, s2
.LBB11_47:
	s_delay_alu instid0(SALU_CYCLE_1)
	s_or_b32 exec_lo, exec_lo, s0
.LBB11_48:
	s_delay_alu instid0(SALU_CYCLE_1)
	s_or_b32 exec_lo, exec_lo, s5
	v_mov_b32_e32 v21, 0
	ds_load_b32 v21, v21 offset:28
	s_wait_dscnt 0x0
	v_mul_f32_e32 v21, v55, v21
.LBB11_49:
	s_or_b32 exec_lo, exec_lo, s4
	v_cmp_lt_u32_e64 s0, 6, v0
	ds_store_b32 v54, v20
	s_wait_dscnt 0x0
	s_barrier_signal -1
	s_barrier_wait -1
	s_and_saveexec_b32 s4, s0
	s_cbranch_execz .LBB11_65
; %bb.50:
	s_and_not1_b32 vcc_lo, exec_lo, s16
	s_cbranch_vccnz .LBB11_52
; %bb.51:
	v_cmp_eq_u32_e32 vcc_lo, 1, v0
	ds_load_b32 v51, v54
	v_cndmask_b32_e32 v50, v14, v15, vcc_lo
	v_cmp_eq_u32_e32 vcc_lo, 2, v0
	s_delay_alu instid0(VALU_DEP_2) | instskip(SKIP_1) | instid1(VALU_DEP_2)
	v_cndmask_b32_e32 v50, v50, v16, vcc_lo
	v_cmp_eq_u32_e32 vcc_lo, 3, v0
	v_cndmask_b32_e32 v50, v50, v17, vcc_lo
	v_cmp_eq_u32_e32 vcc_lo, 4, v0
	s_delay_alu instid0(VALU_DEP_2) | instskip(SKIP_1) | instid1(VALU_DEP_2)
	v_cndmask_b32_e32 v50, v50, v18, vcc_lo
	v_cmp_eq_u32_e32 vcc_lo, 5, v0
	;; [unrolled: 5-line block ×5, first 2 shown]
	v_cndmask_b32_e32 v50, v50, v25, vcc_lo
	s_wait_dscnt 0x0
	s_delay_alu instid0(VALU_DEP_1)
	v_mul_f32_e32 v51, v50, v51
	s_cbranch_execz .LBB11_53
	s_branch .LBB11_54
.LBB11_52:
                                        ; implicit-def: $vgpr51
.LBB11_53:
	ds_load_b32 v51, v54
.LBB11_54:
	s_and_saveexec_b32 s5, s1
	s_cbranch_execz .LBB11_64
; %bb.55:
	v_dual_add_nc_u32 v50, -8, v0 :: v_dual_add_nc_u32 v53, -7, v0
	v_mov_b32_e32 v52, 7
	s_mov_b32 s1, exec_lo
	s_delay_alu instid0(VALU_DEP_2)
	v_cmpx_lt_u32_e32 6, v50
	s_cbranch_execz .LBB11_59
; %bb.56:
	v_and_b32_e32 v50, -8, v53
	s_mov_b32 s6, 0
	s_mov_b64 s[2:3], 14
	s_movk_i32 s7, 0x4c
	s_delay_alu instid0(VALU_DEP_1)
	v_sub_nc_u32_e32 v50, 0, v50
.LBB11_57:                              ; =>This Inner Loop Header: Depth=1
	s_add_co_i32 m0, s2, -7
	v_movrels_b32_e32 v52, v14
	v_mov_b32_e32 v55, s7
	s_add_co_i32 m0, s2, -6
	s_add_co_i32 s7, s7, 32
	ds_load_2addr_b32 v[56:57], v55 offset1:1
	s_wait_dscnt 0x0
	v_fmac_f32_e32 v51, v52, v56
	v_movrels_b32_e32 v52, v14
	s_add_co_i32 m0, s2, -5
	s_delay_alu instid0(VALU_DEP_1) | instskip(SKIP_4) | instid1(VALU_DEP_1)
	v_fmac_f32_e32 v51, v52, v57
	ds_load_2addr_b32 v[56:57], v55 offset0:2 offset1:3
	v_movrels_b32_e32 v52, v14
	s_add_co_i32 m0, s2, -4
	s_wait_dscnt 0x0
	v_fmac_f32_e32 v51, v52, v56
	v_movrels_b32_e32 v52, v14
	s_add_co_i32 m0, s2, -3
	s_delay_alu instid0(VALU_DEP_1) | instskip(SKIP_4) | instid1(VALU_DEP_1)
	v_fmac_f32_e32 v51, v52, v57
	ds_load_2addr_b32 v[56:57], v55 offset0:4 offset1:5
	v_movrels_b32_e32 v52, v14
	s_add_co_i32 m0, s2, -2
	s_wait_dscnt 0x0
	v_fmac_f32_e32 v51, v52, v56
	v_movrels_b32_e32 v52, v14
	s_add_co_i32 m0, s2, -1
	s_delay_alu instid0(VALU_DEP_1) | instskip(SKIP_4) | instid1(SALU_CYCLE_1)
	v_fmac_f32_e32 v51, v52, v57
	ds_load_2addr_b32 v[56:57], v55 offset0:6 offset1:7
	v_movrels_b32_e32 v52, v14
	s_mov_b32 m0, s2
	s_add_nc_u64 s[2:3], s[2:3], 8
	s_add_co_i32 s8, s2, -7
	s_wait_dscnt 0x0
	v_fmac_f32_e32 v51, v52, v56
	v_movrels_b32_e32 v52, v14
	s_delay_alu instid0(VALU_DEP_1) | instskip(NEXT) | instid1(VALU_DEP_1)
	v_dual_fmac_f32 v51, v52, v57 :: v_dual_add_nc_u32 v52, s2, v50
	v_cmp_eq_u32_e32 vcc_lo, 14, v52
	v_mov_b32_e32 v52, s8
	s_or_b32 s6, vcc_lo, s6
	s_delay_alu instid0(SALU_CYCLE_1)
	s_and_not1_b32 exec_lo, exec_lo, s6
	s_cbranch_execnz .LBB11_57
; %bb.58:
	s_or_b32 exec_lo, exec_lo, s6
.LBB11_59:
	s_delay_alu instid0(SALU_CYCLE_1) | instskip(SKIP_3) | instid1(VALU_DEP_1)
	s_or_b32 exec_lo, exec_lo, s1
	v_and_b32_e32 v50, 7, v53
	s_mov_b32 s2, 0
	s_mov_b32 s1, exec_lo
	v_cmpx_ne_u32_e32 0, v50
	s_cbranch_execz .LBB11_63
; %bb.60:
	v_lshl_add_u32 v55, v52, 2, 48
	v_mov_b32_e32 v53, 0
.LBB11_61:                              ; =>This Inner Loop Header: Depth=1
	v_cmp_eq_u32_e32 vcc_lo, 1, v52
	ds_load_b32 v57, v55
	v_dual_add_nc_u32 v50, -1, v50 :: v_dual_add_nc_u32 v55, 4, v55
	v_cndmask_b32_e32 v56, v14, v15, vcc_lo
	v_cmp_eq_u32_e32 vcc_lo, 2, v52
	s_delay_alu instid0(VALU_DEP_2) | instskip(SKIP_1) | instid1(VALU_DEP_2)
	v_cndmask_b32_e32 v56, v56, v16, vcc_lo
	v_cmp_eq_u32_e32 vcc_lo, 3, v52
	v_cndmask_b32_e32 v56, v56, v17, vcc_lo
	v_cmp_eq_u32_e32 vcc_lo, 4, v52
	s_delay_alu instid0(VALU_DEP_2) | instskip(SKIP_1) | instid1(VALU_DEP_2)
	v_cndmask_b32_e32 v56, v56, v18, vcc_lo
	v_cmp_eq_u32_e32 vcc_lo, 5, v52
	;; [unrolled: 5-line block ×4, first 2 shown]
	v_cndmask_b32_e32 v56, v56, v23, vcc_lo
	v_cmp_eq_u32_e32 vcc_lo, 10, v52
	s_delay_alu instid0(VALU_DEP_2) | instskip(SKIP_2) | instid1(VALU_DEP_3)
	v_cndmask_b32_e32 v56, v56, v24, vcc_lo
	v_cmp_eq_u32_e32 vcc_lo, 11, v52
	v_add_nc_u64_e32 v[52:53], 1, v[52:53]
	v_cndmask_b32_e32 v56, v56, v25, vcc_lo
	v_cmp_eq_u32_e32 vcc_lo, 0, v50
	s_wait_dscnt 0x0
	s_delay_alu instid0(VALU_DEP_2) | instskip(SKIP_1) | instid1(SALU_CYCLE_1)
	v_fmac_f32_e32 v51, v56, v57
	s_or_b32 s2, vcc_lo, s2
	s_and_not1_b32 exec_lo, exec_lo, s2
	s_cbranch_execnz .LBB11_61
; %bb.62:
	s_or_b32 exec_lo, exec_lo, s2
.LBB11_63:
	s_delay_alu instid0(SALU_CYCLE_1)
	s_or_b32 exec_lo, exec_lo, s1
.LBB11_64:
	s_delay_alu instid0(SALU_CYCLE_1)
	s_or_b32 exec_lo, exec_lo, s5
	v_mov_b32_e32 v20, 0
	ds_load_b32 v20, v20 offset:24
	s_wait_dscnt 0x0
	v_mul_f32_e32 v20, v51, v20
.LBB11_65:
	s_or_b32 exec_lo, exec_lo, s4
	v_cmp_lt_u32_e64 s1, 5, v0
	ds_store_b32 v54, v19
	s_wait_dscnt 0x0
	s_barrier_signal -1
	s_barrier_wait -1
	s_and_saveexec_b32 s4, s1
	s_cbranch_execz .LBB11_81
; %bb.66:
	s_and_not1_b32 vcc_lo, exec_lo, s16
	s_cbranch_vccnz .LBB11_68
; %bb.67:
	v_cmp_eq_u32_e32 vcc_lo, 1, v0
	ds_load_b32 v51, v54
	v_cndmask_b32_e32 v50, v14, v15, vcc_lo
	v_cmp_eq_u32_e32 vcc_lo, 2, v0
	s_delay_alu instid0(VALU_DEP_2) | instskip(SKIP_1) | instid1(VALU_DEP_2)
	v_cndmask_b32_e32 v50, v50, v16, vcc_lo
	v_cmp_eq_u32_e32 vcc_lo, 3, v0
	v_cndmask_b32_e32 v50, v50, v17, vcc_lo
	v_cmp_eq_u32_e32 vcc_lo, 4, v0
	s_delay_alu instid0(VALU_DEP_2) | instskip(SKIP_1) | instid1(VALU_DEP_2)
	v_cndmask_b32_e32 v50, v50, v18, vcc_lo
	v_cmp_eq_u32_e32 vcc_lo, 5, v0
	;; [unrolled: 5-line block ×5, first 2 shown]
	v_cndmask_b32_e32 v50, v50, v25, vcc_lo
	s_wait_dscnt 0x0
	s_delay_alu instid0(VALU_DEP_1)
	v_mul_f32_e32 v53, v50, v51
	s_cbranch_execz .LBB11_69
	s_branch .LBB11_70
.LBB11_68:
                                        ; implicit-def: $vgpr53
.LBB11_69:
	ds_load_b32 v53, v54
.LBB11_70:
	s_and_saveexec_b32 s5, s0
	s_cbranch_execz .LBB11_80
; %bb.71:
	v_dual_add_nc_u32 v52, -7, v0 :: v_dual_add_nc_u32 v51, -6, v0
	v_mov_b32_e32 v50, 6
	s_mov_b32 s0, exec_lo
	s_delay_alu instid0(VALU_DEP_2)
	v_cmpx_lt_u32_e32 6, v52
	s_cbranch_execz .LBB11_75
; %bb.72:
	v_and_b32_e32 v50, -8, v51
	s_mov_b32 s6, 0
	s_mov_b64 s[2:3], 13
	s_movk_i32 s7, 0x48
	s_delay_alu instid0(VALU_DEP_1)
	v_sub_nc_u32_e32 v52, 0, v50
.LBB11_73:                              ; =>This Inner Loop Header: Depth=1
	s_add_co_i32 m0, s2, -7
	v_movrels_b32_e32 v50, v14
	v_mov_b32_e32 v55, s7
	s_add_co_i32 m0, s2, -6
	s_add_co_i32 s7, s7, 32
	ds_load_2addr_b64 v[56:59], v55 offset1:1
	s_wait_dscnt 0x0
	v_fmac_f32_e32 v53, v50, v56
	v_movrels_b32_e32 v50, v14
	s_add_co_i32 m0, s2, -5
	s_delay_alu instid0(VALU_DEP_1) | instskip(SKIP_2) | instid1(VALU_DEP_1)
	v_fmac_f32_e32 v53, v50, v57
	v_movrels_b32_e32 v50, v14
	s_add_co_i32 m0, s2, -4
	v_fmac_f32_e32 v53, v50, v58
	v_movrels_b32_e32 v50, v14
	s_add_co_i32 m0, s2, -3
	s_delay_alu instid0(VALU_DEP_1) | instskip(SKIP_4) | instid1(VALU_DEP_1)
	v_fmac_f32_e32 v53, v50, v59
	ds_load_2addr_b64 v[56:59], v55 offset0:2 offset1:3
	v_movrels_b32_e32 v50, v14
	s_add_co_i32 m0, s2, -2
	s_wait_dscnt 0x0
	v_fmac_f32_e32 v53, v50, v56
	v_movrels_b32_e32 v50, v14
	s_add_co_i32 m0, s2, -1
	s_delay_alu instid0(VALU_DEP_1) | instskip(SKIP_3) | instid1(SALU_CYCLE_1)
	v_fmac_f32_e32 v53, v50, v57
	v_movrels_b32_e32 v50, v14
	s_mov_b32 m0, s2
	s_add_nc_u64 s[2:3], s[2:3], 8
	s_add_co_i32 s8, s2, -7
	s_delay_alu instid0(VALU_DEP_1) | instskip(SKIP_1) | instid1(VALU_DEP_1)
	v_fmac_f32_e32 v53, v50, v58
	v_movrels_b32_e32 v50, v14
	v_dual_fmac_f32 v53, v50, v59 :: v_dual_add_nc_u32 v50, s2, v52
	s_delay_alu instid0(VALU_DEP_1) | instskip(SKIP_2) | instid1(SALU_CYCLE_1)
	v_cmp_eq_u32_e32 vcc_lo, 13, v50
	v_mov_b32_e32 v50, s8
	s_or_b32 s6, vcc_lo, s6
	s_and_not1_b32 exec_lo, exec_lo, s6
	s_cbranch_execnz .LBB11_73
; %bb.74:
	s_or_b32 exec_lo, exec_lo, s6
.LBB11_75:
	s_delay_alu instid0(SALU_CYCLE_1) | instskip(SKIP_3) | instid1(VALU_DEP_1)
	s_or_b32 exec_lo, exec_lo, s0
	v_and_b32_e32 v52, 7, v51
	s_mov_b32 s2, 0
	s_mov_b32 s0, exec_lo
	v_cmpx_ne_u32_e32 0, v52
	s_cbranch_execz .LBB11_79
; %bb.76:
	v_lshl_add_u32 v55, v50, 2, 48
	v_mov_b32_e32 v51, 0
.LBB11_77:                              ; =>This Inner Loop Header: Depth=1
	v_cmp_eq_u32_e32 vcc_lo, 1, v50
	ds_load_b32 v57, v55
	v_dual_add_nc_u32 v52, -1, v52 :: v_dual_add_nc_u32 v55, 4, v55
	v_cndmask_b32_e32 v56, v14, v15, vcc_lo
	v_cmp_eq_u32_e32 vcc_lo, 2, v50
	s_delay_alu instid0(VALU_DEP_2) | instskip(SKIP_1) | instid1(VALU_DEP_2)
	v_cndmask_b32_e32 v56, v56, v16, vcc_lo
	v_cmp_eq_u32_e32 vcc_lo, 3, v50
	v_cndmask_b32_e32 v56, v56, v17, vcc_lo
	v_cmp_eq_u32_e32 vcc_lo, 4, v50
	s_delay_alu instid0(VALU_DEP_2) | instskip(SKIP_1) | instid1(VALU_DEP_2)
	v_cndmask_b32_e32 v56, v56, v18, vcc_lo
	v_cmp_eq_u32_e32 vcc_lo, 5, v50
	;; [unrolled: 5-line block ×4, first 2 shown]
	v_cndmask_b32_e32 v56, v56, v23, vcc_lo
	v_cmp_eq_u32_e32 vcc_lo, 10, v50
	s_delay_alu instid0(VALU_DEP_2) | instskip(SKIP_2) | instid1(VALU_DEP_3)
	v_cndmask_b32_e32 v56, v56, v24, vcc_lo
	v_cmp_eq_u32_e32 vcc_lo, 11, v50
	v_add_nc_u64_e32 v[50:51], 1, v[50:51]
	v_cndmask_b32_e32 v56, v56, v25, vcc_lo
	v_cmp_eq_u32_e32 vcc_lo, 0, v52
	s_wait_dscnt 0x0
	s_delay_alu instid0(VALU_DEP_2) | instskip(SKIP_1) | instid1(SALU_CYCLE_1)
	v_fmac_f32_e32 v53, v56, v57
	s_or_b32 s2, vcc_lo, s2
	s_and_not1_b32 exec_lo, exec_lo, s2
	s_cbranch_execnz .LBB11_77
; %bb.78:
	s_or_b32 exec_lo, exec_lo, s2
.LBB11_79:
	s_delay_alu instid0(SALU_CYCLE_1)
	s_or_b32 exec_lo, exec_lo, s0
.LBB11_80:
	s_delay_alu instid0(SALU_CYCLE_1)
	s_or_b32 exec_lo, exec_lo, s5
	v_mov_b32_e32 v19, 0
	ds_load_b32 v19, v19 offset:20
	s_wait_dscnt 0x0
	v_mul_f32_e32 v19, v53, v19
.LBB11_81:
	s_or_b32 exec_lo, exec_lo, s4
	v_cmp_lt_u32_e64 s0, 4, v0
	ds_store_b32 v54, v18
	s_wait_dscnt 0x0
	s_barrier_signal -1
	s_barrier_wait -1
	s_and_saveexec_b32 s4, s0
	s_cbranch_execz .LBB11_97
; %bb.82:
	s_and_not1_b32 vcc_lo, exec_lo, s16
	s_cbranch_vccnz .LBB11_84
; %bb.83:
	v_cmp_eq_u32_e32 vcc_lo, 1, v0
	ds_load_b32 v51, v54
	v_cndmask_b32_e32 v50, v14, v15, vcc_lo
	v_cmp_eq_u32_e32 vcc_lo, 2, v0
	s_delay_alu instid0(VALU_DEP_2) | instskip(SKIP_1) | instid1(VALU_DEP_2)
	v_cndmask_b32_e32 v50, v50, v16, vcc_lo
	v_cmp_eq_u32_e32 vcc_lo, 3, v0
	v_cndmask_b32_e32 v50, v50, v17, vcc_lo
	v_cmp_eq_u32_e32 vcc_lo, 4, v0
	s_delay_alu instid0(VALU_DEP_2) | instskip(SKIP_1) | instid1(VALU_DEP_2)
	v_cndmask_b32_e32 v50, v50, v18, vcc_lo
	v_cmp_eq_u32_e32 vcc_lo, 5, v0
	;; [unrolled: 5-line block ×5, first 2 shown]
	v_cndmask_b32_e32 v50, v50, v25, vcc_lo
	s_wait_dscnt 0x0
	s_delay_alu instid0(VALU_DEP_1)
	v_mul_f32_e32 v51, v50, v51
	s_cbranch_execz .LBB11_85
	s_branch .LBB11_86
.LBB11_84:
                                        ; implicit-def: $vgpr51
.LBB11_85:
	ds_load_b32 v51, v54
.LBB11_86:
	s_and_saveexec_b32 s5, s1
	s_cbranch_execz .LBB11_96
; %bb.87:
	v_dual_add_nc_u32 v50, -6, v0 :: v_dual_add_nc_u32 v53, -5, v0
	v_mov_b32_e32 v52, 5
	s_mov_b32 s1, exec_lo
	s_delay_alu instid0(VALU_DEP_2)
	v_cmpx_lt_u32_e32 6, v50
	s_cbranch_execz .LBB11_91
; %bb.88:
	v_and_b32_e32 v50, -8, v53
	s_mov_b32 s6, 0
	s_mov_b64 s[2:3], 12
	s_movk_i32 s7, 0x44
	s_delay_alu instid0(VALU_DEP_1)
	v_sub_nc_u32_e32 v50, 0, v50
.LBB11_89:                              ; =>This Inner Loop Header: Depth=1
	s_add_co_i32 m0, s2, -7
	v_movrels_b32_e32 v52, v14
	v_mov_b32_e32 v55, s7
	s_add_co_i32 m0, s2, -6
	s_add_co_i32 s7, s7, 32
	ds_load_2addr_b32 v[56:57], v55 offset1:1
	s_wait_dscnt 0x0
	v_fmac_f32_e32 v51, v52, v56
	v_movrels_b32_e32 v52, v14
	s_add_co_i32 m0, s2, -5
	s_delay_alu instid0(VALU_DEP_1) | instskip(SKIP_4) | instid1(VALU_DEP_1)
	v_fmac_f32_e32 v51, v52, v57
	ds_load_2addr_b32 v[56:57], v55 offset0:2 offset1:3
	v_movrels_b32_e32 v52, v14
	s_add_co_i32 m0, s2, -4
	s_wait_dscnt 0x0
	v_fmac_f32_e32 v51, v52, v56
	v_movrels_b32_e32 v52, v14
	s_add_co_i32 m0, s2, -3
	s_delay_alu instid0(VALU_DEP_1) | instskip(SKIP_4) | instid1(VALU_DEP_1)
	v_fmac_f32_e32 v51, v52, v57
	ds_load_2addr_b32 v[56:57], v55 offset0:4 offset1:5
	v_movrels_b32_e32 v52, v14
	s_add_co_i32 m0, s2, -2
	s_wait_dscnt 0x0
	v_fmac_f32_e32 v51, v52, v56
	v_movrels_b32_e32 v52, v14
	s_add_co_i32 m0, s2, -1
	s_delay_alu instid0(VALU_DEP_1) | instskip(SKIP_4) | instid1(SALU_CYCLE_1)
	v_fmac_f32_e32 v51, v52, v57
	ds_load_2addr_b32 v[56:57], v55 offset0:6 offset1:7
	v_movrels_b32_e32 v52, v14
	s_mov_b32 m0, s2
	s_add_nc_u64 s[2:3], s[2:3], 8
	s_add_co_i32 s8, s2, -7
	s_wait_dscnt 0x0
	v_fmac_f32_e32 v51, v52, v56
	v_movrels_b32_e32 v52, v14
	s_delay_alu instid0(VALU_DEP_1) | instskip(NEXT) | instid1(VALU_DEP_1)
	v_dual_fmac_f32 v51, v52, v57 :: v_dual_add_nc_u32 v52, s2, v50
	v_cmp_eq_u32_e32 vcc_lo, 12, v52
	v_mov_b32_e32 v52, s8
	s_or_b32 s6, vcc_lo, s6
	s_delay_alu instid0(SALU_CYCLE_1)
	s_and_not1_b32 exec_lo, exec_lo, s6
	s_cbranch_execnz .LBB11_89
; %bb.90:
	s_or_b32 exec_lo, exec_lo, s6
.LBB11_91:
	s_delay_alu instid0(SALU_CYCLE_1) | instskip(SKIP_3) | instid1(VALU_DEP_1)
	s_or_b32 exec_lo, exec_lo, s1
	v_and_b32_e32 v50, 7, v53
	s_mov_b32 s2, 0
	s_mov_b32 s1, exec_lo
	v_cmpx_ne_u32_e32 0, v50
	s_cbranch_execz .LBB11_95
; %bb.92:
	v_lshl_add_u32 v55, v52, 2, 48
	v_mov_b32_e32 v53, 0
.LBB11_93:                              ; =>This Inner Loop Header: Depth=1
	v_cmp_eq_u32_e32 vcc_lo, 1, v52
	ds_load_b32 v57, v55
	v_dual_add_nc_u32 v50, -1, v50 :: v_dual_add_nc_u32 v55, 4, v55
	v_cndmask_b32_e32 v56, v14, v15, vcc_lo
	v_cmp_eq_u32_e32 vcc_lo, 2, v52
	s_delay_alu instid0(VALU_DEP_2) | instskip(SKIP_1) | instid1(VALU_DEP_2)
	v_cndmask_b32_e32 v56, v56, v16, vcc_lo
	v_cmp_eq_u32_e32 vcc_lo, 3, v52
	v_cndmask_b32_e32 v56, v56, v17, vcc_lo
	v_cmp_eq_u32_e32 vcc_lo, 4, v52
	s_delay_alu instid0(VALU_DEP_2) | instskip(SKIP_1) | instid1(VALU_DEP_2)
	v_cndmask_b32_e32 v56, v56, v18, vcc_lo
	v_cmp_eq_u32_e32 vcc_lo, 5, v52
	;; [unrolled: 5-line block ×4, first 2 shown]
	v_cndmask_b32_e32 v56, v56, v23, vcc_lo
	v_cmp_eq_u32_e32 vcc_lo, 10, v52
	s_delay_alu instid0(VALU_DEP_2) | instskip(SKIP_2) | instid1(VALU_DEP_3)
	v_cndmask_b32_e32 v56, v56, v24, vcc_lo
	v_cmp_eq_u32_e32 vcc_lo, 11, v52
	v_add_nc_u64_e32 v[52:53], 1, v[52:53]
	v_cndmask_b32_e32 v56, v56, v25, vcc_lo
	v_cmp_eq_u32_e32 vcc_lo, 0, v50
	s_wait_dscnt 0x0
	s_delay_alu instid0(VALU_DEP_2) | instskip(SKIP_1) | instid1(SALU_CYCLE_1)
	v_fmac_f32_e32 v51, v56, v57
	s_or_b32 s2, vcc_lo, s2
	s_and_not1_b32 exec_lo, exec_lo, s2
	s_cbranch_execnz .LBB11_93
; %bb.94:
	s_or_b32 exec_lo, exec_lo, s2
.LBB11_95:
	s_delay_alu instid0(SALU_CYCLE_1)
	s_or_b32 exec_lo, exec_lo, s1
.LBB11_96:
	s_delay_alu instid0(SALU_CYCLE_1)
	s_or_b32 exec_lo, exec_lo, s5
	v_mov_b32_e32 v18, 0
	ds_load_b32 v18, v18 offset:16
	s_wait_dscnt 0x0
	v_mul_f32_e32 v18, v51, v18
.LBB11_97:
	s_or_b32 exec_lo, exec_lo, s4
	v_cmp_lt_u32_e64 s1, 3, v0
	ds_store_b32 v54, v17
	s_wait_dscnt 0x0
	s_barrier_signal -1
	s_barrier_wait -1
	s_and_saveexec_b32 s4, s1
	s_cbranch_execz .LBB11_113
; %bb.98:
	s_and_not1_b32 vcc_lo, exec_lo, s16
	s_cbranch_vccnz .LBB11_100
; %bb.99:
	v_cmp_eq_u32_e32 vcc_lo, 1, v0
	ds_load_b32 v51, v54
	v_cndmask_b32_e32 v50, v14, v15, vcc_lo
	v_cmp_eq_u32_e32 vcc_lo, 2, v0
	s_delay_alu instid0(VALU_DEP_2) | instskip(SKIP_1) | instid1(VALU_DEP_2)
	v_cndmask_b32_e32 v50, v50, v16, vcc_lo
	v_cmp_eq_u32_e32 vcc_lo, 3, v0
	v_cndmask_b32_e32 v50, v50, v17, vcc_lo
	v_cmp_eq_u32_e32 vcc_lo, 4, v0
	s_delay_alu instid0(VALU_DEP_2) | instskip(SKIP_1) | instid1(VALU_DEP_2)
	v_cndmask_b32_e32 v50, v50, v18, vcc_lo
	v_cmp_eq_u32_e32 vcc_lo, 5, v0
	;; [unrolled: 5-line block ×5, first 2 shown]
	v_cndmask_b32_e32 v50, v50, v25, vcc_lo
	s_wait_dscnt 0x0
	s_delay_alu instid0(VALU_DEP_1)
	v_mul_f32_e32 v53, v50, v51
	s_cbranch_execz .LBB11_101
	s_branch .LBB11_102
.LBB11_100:
                                        ; implicit-def: $vgpr53
.LBB11_101:
	ds_load_b32 v53, v54
.LBB11_102:
	s_and_saveexec_b32 s5, s0
	s_cbranch_execz .LBB11_112
; %bb.103:
	v_dual_add_nc_u32 v50, -5, v0 :: v_dual_add_nc_u32 v51, -4, v0
	s_delay_alu instid0(VALU_DEP_1)
	v_cmp_lt_u32_e32 vcc_lo, 6, v50
	v_mov_b32_e32 v50, 4
	s_and_saveexec_b32 s0, vcc_lo
	s_cbranch_execz .LBB11_107
; %bb.104:
	v_and_b32_e32 v50, -8, v51
	s_mov_b32 s6, 0
	s_mov_b64 s[2:3], 5
	s_mov_b32 s7, 64
	s_delay_alu instid0(VALU_DEP_1)
	v_sub_nc_u32_e32 v52, 0, v50
.LBB11_105:                             ; =>This Inner Loop Header: Depth=1
	s_add_co_i32 m0, s2, -1
	v_movrels_b32_e32 v50, v14
	v_mov_b32_e32 v55, s7
	s_mov_b32 m0, s2
	s_add_co_i32 s7, s7, 32
	ds_load_b128 v[56:59], v55
	ds_load_b128 v[60:63], v55 offset:16
	s_wait_dscnt 0x1
	v_fmac_f32_e32 v53, v50, v56
	v_movrels_b32_e32 v50, v14
	s_add_co_i32 m0, s2, 1
	s_delay_alu instid0(VALU_DEP_1) | instskip(SKIP_2) | instid1(VALU_DEP_1)
	v_fmac_f32_e32 v53, v50, v57
	v_movrels_b32_e32 v50, v14
	s_add_co_i32 m0, s2, 2
	v_fmac_f32_e32 v53, v50, v58
	v_movrels_b32_e32 v50, v14
	s_add_co_i32 m0, s2, 3
	s_delay_alu instid0(VALU_DEP_1) | instskip(SKIP_3) | instid1(VALU_DEP_1)
	v_fmac_f32_e32 v53, v50, v59
	v_movrels_b32_e32 v50, v14
	s_add_co_i32 m0, s2, 4
	s_wait_dscnt 0x0
	v_fmac_f32_e32 v53, v50, v60
	v_movrels_b32_e32 v50, v14
	s_add_co_i32 m0, s2, 5
	s_delay_alu instid0(VALU_DEP_1) | instskip(SKIP_3) | instid1(SALU_CYCLE_1)
	v_fmac_f32_e32 v53, v50, v61
	v_movrels_b32_e32 v50, v14
	s_add_co_i32 m0, s2, 6
	s_add_nc_u64 s[2:3], s[2:3], 8
	s_add_co_i32 s8, s2, -1
	s_delay_alu instid0(VALU_DEP_1) | instskip(SKIP_1) | instid1(VALU_DEP_1)
	v_fmac_f32_e32 v53, v50, v62
	v_movrels_b32_e32 v50, v14
	v_dual_fmac_f32 v53, v50, v63 :: v_dual_add_nc_u32 v50, s2, v52
	s_delay_alu instid0(VALU_DEP_1) | instskip(SKIP_2) | instid1(SALU_CYCLE_1)
	v_cmp_eq_u32_e32 vcc_lo, 5, v50
	v_mov_b32_e32 v50, s8
	s_or_b32 s6, vcc_lo, s6
	s_and_not1_b32 exec_lo, exec_lo, s6
	s_cbranch_execnz .LBB11_105
; %bb.106:
	s_or_b32 exec_lo, exec_lo, s6
.LBB11_107:
	s_delay_alu instid0(SALU_CYCLE_1) | instskip(SKIP_3) | instid1(VALU_DEP_1)
	s_or_b32 exec_lo, exec_lo, s0
	v_and_b32_e32 v52, 7, v51
	s_mov_b32 s2, 0
	s_mov_b32 s0, exec_lo
	v_cmpx_ne_u32_e32 0, v52
	s_cbranch_execz .LBB11_111
; %bb.108:
	v_lshl_add_u32 v55, v50, 2, 48
	v_mov_b32_e32 v51, 0
.LBB11_109:                             ; =>This Inner Loop Header: Depth=1
	v_cmp_eq_u32_e32 vcc_lo, 1, v50
	ds_load_b32 v57, v55
	v_dual_add_nc_u32 v52, -1, v52 :: v_dual_add_nc_u32 v55, 4, v55
	v_cndmask_b32_e32 v56, v14, v15, vcc_lo
	v_cmp_eq_u32_e32 vcc_lo, 2, v50
	s_delay_alu instid0(VALU_DEP_2) | instskip(SKIP_1) | instid1(VALU_DEP_2)
	v_cndmask_b32_e32 v56, v56, v16, vcc_lo
	v_cmp_eq_u32_e32 vcc_lo, 3, v50
	v_cndmask_b32_e32 v56, v56, v17, vcc_lo
	v_cmp_eq_u32_e32 vcc_lo, 4, v50
	s_delay_alu instid0(VALU_DEP_2) | instskip(SKIP_1) | instid1(VALU_DEP_2)
	v_cndmask_b32_e32 v56, v56, v18, vcc_lo
	v_cmp_eq_u32_e32 vcc_lo, 5, v50
	;; [unrolled: 5-line block ×4, first 2 shown]
	v_cndmask_b32_e32 v56, v56, v23, vcc_lo
	v_cmp_eq_u32_e32 vcc_lo, 10, v50
	s_delay_alu instid0(VALU_DEP_2) | instskip(SKIP_2) | instid1(VALU_DEP_3)
	v_cndmask_b32_e32 v56, v56, v24, vcc_lo
	v_cmp_eq_u32_e32 vcc_lo, 11, v50
	v_add_nc_u64_e32 v[50:51], 1, v[50:51]
	v_cndmask_b32_e32 v56, v56, v25, vcc_lo
	v_cmp_eq_u32_e32 vcc_lo, 0, v52
	s_wait_dscnt 0x0
	s_delay_alu instid0(VALU_DEP_2) | instskip(SKIP_1) | instid1(SALU_CYCLE_1)
	v_fmac_f32_e32 v53, v56, v57
	s_or_b32 s2, vcc_lo, s2
	s_and_not1_b32 exec_lo, exec_lo, s2
	s_cbranch_execnz .LBB11_109
; %bb.110:
	s_or_b32 exec_lo, exec_lo, s2
.LBB11_111:
	s_delay_alu instid0(SALU_CYCLE_1)
	s_or_b32 exec_lo, exec_lo, s0
.LBB11_112:
	s_delay_alu instid0(SALU_CYCLE_1)
	s_or_b32 exec_lo, exec_lo, s5
	v_mov_b32_e32 v17, 0
	ds_load_b32 v17, v17 offset:12
	s_wait_dscnt 0x0
	v_mul_f32_e32 v17, v53, v17
.LBB11_113:
	s_or_b32 exec_lo, exec_lo, s4
	v_cmp_lt_u32_e64 s0, 2, v0
	ds_store_b32 v54, v16
	s_wait_dscnt 0x0
	s_barrier_signal -1
	s_barrier_wait -1
	s_and_saveexec_b32 s4, s0
	s_cbranch_execz .LBB11_129
; %bb.114:
	s_and_not1_b32 vcc_lo, exec_lo, s16
	s_cbranch_vccnz .LBB11_116
; %bb.115:
	v_cmp_eq_u32_e32 vcc_lo, 1, v0
	ds_load_b32 v51, v54
	v_cndmask_b32_e32 v50, v14, v15, vcc_lo
	v_cmp_eq_u32_e32 vcc_lo, 2, v0
	s_delay_alu instid0(VALU_DEP_2) | instskip(SKIP_1) | instid1(VALU_DEP_2)
	v_cndmask_b32_e32 v50, v50, v16, vcc_lo
	v_cmp_eq_u32_e32 vcc_lo, 3, v0
	v_cndmask_b32_e32 v50, v50, v17, vcc_lo
	v_cmp_eq_u32_e32 vcc_lo, 4, v0
	s_delay_alu instid0(VALU_DEP_2) | instskip(SKIP_1) | instid1(VALU_DEP_2)
	v_cndmask_b32_e32 v50, v50, v18, vcc_lo
	v_cmp_eq_u32_e32 vcc_lo, 5, v0
	;; [unrolled: 5-line block ×5, first 2 shown]
	v_cndmask_b32_e32 v50, v50, v25, vcc_lo
	s_wait_dscnt 0x0
	s_delay_alu instid0(VALU_DEP_1)
	v_mul_f32_e32 v51, v50, v51
	s_cbranch_execz .LBB11_117
	s_branch .LBB11_118
.LBB11_116:
                                        ; implicit-def: $vgpr51
.LBB11_117:
	ds_load_b32 v51, v54
.LBB11_118:
	s_and_saveexec_b32 s5, s1
	s_cbranch_execz .LBB11_128
; %bb.119:
	v_dual_add_nc_u32 v50, -4, v0 :: v_dual_add_nc_u32 v53, -3, v0
	v_mov_b32_e32 v52, 3
	s_mov_b32 s1, exec_lo
	s_delay_alu instid0(VALU_DEP_2)
	v_cmpx_lt_u32_e32 6, v50
	s_cbranch_execz .LBB11_123
; %bb.120:
	v_and_b32_e32 v50, -8, v53
	s_mov_b32 s6, 0
	s_mov_b64 s[2:3], 10
	s_mov_b32 s7, 60
	s_delay_alu instid0(VALU_DEP_1)
	v_sub_nc_u32_e32 v50, 0, v50
.LBB11_121:                             ; =>This Inner Loop Header: Depth=1
	s_add_co_i32 m0, s2, -7
	v_movrels_b32_e32 v52, v14
	v_mov_b32_e32 v55, s7
	s_add_co_i32 m0, s2, -6
	s_add_co_i32 s7, s7, 32
	ds_load_2addr_b32 v[56:57], v55 offset1:1
	s_wait_dscnt 0x0
	v_fmac_f32_e32 v51, v52, v56
	v_movrels_b32_e32 v52, v14
	s_add_co_i32 m0, s2, -5
	s_delay_alu instid0(VALU_DEP_1) | instskip(SKIP_4) | instid1(VALU_DEP_1)
	v_fmac_f32_e32 v51, v52, v57
	ds_load_2addr_b32 v[56:57], v55 offset0:2 offset1:3
	v_movrels_b32_e32 v52, v14
	s_add_co_i32 m0, s2, -4
	s_wait_dscnt 0x0
	v_fmac_f32_e32 v51, v52, v56
	v_movrels_b32_e32 v52, v14
	s_add_co_i32 m0, s2, -3
	s_delay_alu instid0(VALU_DEP_1) | instskip(SKIP_4) | instid1(VALU_DEP_1)
	v_fmac_f32_e32 v51, v52, v57
	ds_load_2addr_b32 v[56:57], v55 offset0:4 offset1:5
	v_movrels_b32_e32 v52, v14
	s_add_co_i32 m0, s2, -2
	s_wait_dscnt 0x0
	v_fmac_f32_e32 v51, v52, v56
	v_movrels_b32_e32 v52, v14
	s_add_co_i32 m0, s2, -1
	s_delay_alu instid0(VALU_DEP_1) | instskip(SKIP_4) | instid1(SALU_CYCLE_1)
	v_fmac_f32_e32 v51, v52, v57
	ds_load_2addr_b32 v[56:57], v55 offset0:6 offset1:7
	v_movrels_b32_e32 v52, v14
	s_mov_b32 m0, s2
	s_add_nc_u64 s[2:3], s[2:3], 8
	s_add_co_i32 s8, s2, -7
	s_wait_dscnt 0x0
	v_fmac_f32_e32 v51, v52, v56
	v_movrels_b32_e32 v52, v14
	s_delay_alu instid0(VALU_DEP_1) | instskip(NEXT) | instid1(VALU_DEP_1)
	v_dual_fmac_f32 v51, v52, v57 :: v_dual_add_nc_u32 v52, s2, v50
	v_cmp_eq_u32_e32 vcc_lo, 10, v52
	v_mov_b32_e32 v52, s8
	s_or_b32 s6, vcc_lo, s6
	s_delay_alu instid0(SALU_CYCLE_1)
	s_and_not1_b32 exec_lo, exec_lo, s6
	s_cbranch_execnz .LBB11_121
; %bb.122:
	s_or_b32 exec_lo, exec_lo, s6
.LBB11_123:
	s_delay_alu instid0(SALU_CYCLE_1) | instskip(SKIP_3) | instid1(VALU_DEP_1)
	s_or_b32 exec_lo, exec_lo, s1
	v_and_b32_e32 v50, 7, v53
	s_mov_b32 s2, 0
	s_mov_b32 s1, exec_lo
	v_cmpx_ne_u32_e32 0, v50
	s_cbranch_execz .LBB11_127
; %bb.124:
	v_lshl_add_u32 v55, v52, 2, 48
	v_mov_b32_e32 v53, 0
.LBB11_125:                             ; =>This Inner Loop Header: Depth=1
	v_cmp_eq_u32_e32 vcc_lo, 1, v52
	ds_load_b32 v57, v55
	v_dual_add_nc_u32 v50, -1, v50 :: v_dual_add_nc_u32 v55, 4, v55
	v_cndmask_b32_e32 v56, v14, v15, vcc_lo
	v_cmp_eq_u32_e32 vcc_lo, 2, v52
	s_delay_alu instid0(VALU_DEP_2) | instskip(SKIP_1) | instid1(VALU_DEP_2)
	v_cndmask_b32_e32 v56, v56, v16, vcc_lo
	v_cmp_eq_u32_e32 vcc_lo, 3, v52
	v_cndmask_b32_e32 v56, v56, v17, vcc_lo
	v_cmp_eq_u32_e32 vcc_lo, 4, v52
	s_delay_alu instid0(VALU_DEP_2) | instskip(SKIP_1) | instid1(VALU_DEP_2)
	v_cndmask_b32_e32 v56, v56, v18, vcc_lo
	v_cmp_eq_u32_e32 vcc_lo, 5, v52
	;; [unrolled: 5-line block ×4, first 2 shown]
	v_cndmask_b32_e32 v56, v56, v23, vcc_lo
	v_cmp_eq_u32_e32 vcc_lo, 10, v52
	s_delay_alu instid0(VALU_DEP_2) | instskip(SKIP_2) | instid1(VALU_DEP_3)
	v_cndmask_b32_e32 v56, v56, v24, vcc_lo
	v_cmp_eq_u32_e32 vcc_lo, 11, v52
	v_add_nc_u64_e32 v[52:53], 1, v[52:53]
	v_cndmask_b32_e32 v56, v56, v25, vcc_lo
	v_cmp_eq_u32_e32 vcc_lo, 0, v50
	s_wait_dscnt 0x0
	s_delay_alu instid0(VALU_DEP_2) | instskip(SKIP_1) | instid1(SALU_CYCLE_1)
	v_fmac_f32_e32 v51, v56, v57
	s_or_b32 s2, vcc_lo, s2
	s_and_not1_b32 exec_lo, exec_lo, s2
	s_cbranch_execnz .LBB11_125
; %bb.126:
	s_or_b32 exec_lo, exec_lo, s2
.LBB11_127:
	s_delay_alu instid0(SALU_CYCLE_1)
	s_or_b32 exec_lo, exec_lo, s1
.LBB11_128:
	s_delay_alu instid0(SALU_CYCLE_1)
	s_or_b32 exec_lo, exec_lo, s5
	v_mov_b32_e32 v16, 0
	ds_load_b32 v16, v16 offset:8
	s_wait_dscnt 0x0
	v_mul_f32_e32 v16, v51, v16
.LBB11_129:
	s_or_b32 exec_lo, exec_lo, s4
	v_cmp_lt_u32_e64 s1, 1, v0
	ds_store_b32 v54, v15
	s_wait_dscnt 0x0
	s_barrier_signal -1
	s_barrier_wait -1
	s_and_saveexec_b32 s4, s1
	s_cbranch_execz .LBB11_145
; %bb.130:
	s_and_not1_b32 vcc_lo, exec_lo, s16
	s_cbranch_vccnz .LBB11_132
; %bb.131:
	v_cmp_eq_u32_e32 vcc_lo, 1, v0
	ds_load_b32 v51, v54
	v_cndmask_b32_e32 v50, v14, v15, vcc_lo
	v_cmp_eq_u32_e32 vcc_lo, 2, v0
	s_delay_alu instid0(VALU_DEP_2) | instskip(SKIP_1) | instid1(VALU_DEP_2)
	v_cndmask_b32_e32 v50, v50, v16, vcc_lo
	v_cmp_eq_u32_e32 vcc_lo, 3, v0
	v_cndmask_b32_e32 v50, v50, v17, vcc_lo
	v_cmp_eq_u32_e32 vcc_lo, 4, v0
	s_delay_alu instid0(VALU_DEP_2) | instskip(SKIP_1) | instid1(VALU_DEP_2)
	v_cndmask_b32_e32 v50, v50, v18, vcc_lo
	v_cmp_eq_u32_e32 vcc_lo, 5, v0
	v_cndmask_b32_e32 v50, v50, v19, vcc_lo
	v_cmp_eq_u32_e32 vcc_lo, 6, v0
	s_delay_alu instid0(VALU_DEP_2) | instskip(SKIP_1) | instid1(VALU_DEP_2)
	v_cndmask_b32_e32 v50, v50, v20, vcc_lo
	v_cmp_eq_u32_e32 vcc_lo, 7, v0
	v_cndmask_b32_e32 v50, v50, v21, vcc_lo
	v_cmp_eq_u32_e32 vcc_lo, 8, v0
	s_delay_alu instid0(VALU_DEP_2) | instskip(SKIP_1) | instid1(VALU_DEP_2)
	v_cndmask_b32_e32 v50, v50, v22, vcc_lo
	v_cmp_eq_u32_e32 vcc_lo, 9, v0
	v_cndmask_b32_e32 v50, v50, v23, vcc_lo
	v_cmp_eq_u32_e32 vcc_lo, 10, v0
	s_delay_alu instid0(VALU_DEP_2) | instskip(SKIP_1) | instid1(VALU_DEP_2)
	v_cndmask_b32_e32 v50, v50, v24, vcc_lo
	v_cmp_eq_u32_e32 vcc_lo, 11, v0
	v_cndmask_b32_e32 v50, v50, v25, vcc_lo
	s_wait_dscnt 0x0
	s_delay_alu instid0(VALU_DEP_1)
	v_mul_f32_e32 v53, v50, v51
	s_cbranch_execz .LBB11_133
	s_branch .LBB11_134
.LBB11_132:
                                        ; implicit-def: $vgpr53
.LBB11_133:
	ds_load_b32 v53, v54
.LBB11_134:
	s_and_saveexec_b32 s5, s0
	s_cbranch_execz .LBB11_144
; %bb.135:
	v_dual_add_nc_u32 v50, -3, v0 :: v_dual_add_nc_u32 v51, -2, v0
	s_delay_alu instid0(VALU_DEP_1)
	v_cmp_lt_u32_e32 vcc_lo, 6, v50
	v_mov_b32_e32 v50, 2
	s_and_saveexec_b32 s0, vcc_lo
	s_cbranch_execz .LBB11_139
; %bb.136:
	v_and_b32_e32 v50, -8, v51
	s_mov_b32 s6, 0
	s_mov_b64 s[2:3], 9
	s_mov_b32 s7, 56
	s_delay_alu instid0(VALU_DEP_1)
	v_sub_nc_u32_e32 v52, 0, v50
.LBB11_137:                             ; =>This Inner Loop Header: Depth=1
	s_add_co_i32 m0, s2, -7
	v_movrels_b32_e32 v50, v14
	v_mov_b32_e32 v55, s7
	s_add_co_i32 m0, s2, -6
	s_add_co_i32 s7, s7, 32
	ds_load_2addr_b64 v[56:59], v55 offset1:1
	s_wait_dscnt 0x0
	v_fmac_f32_e32 v53, v50, v56
	v_movrels_b32_e32 v50, v14
	s_add_co_i32 m0, s2, -5
	s_delay_alu instid0(VALU_DEP_1) | instskip(SKIP_2) | instid1(VALU_DEP_1)
	v_fmac_f32_e32 v53, v50, v57
	v_movrels_b32_e32 v50, v14
	s_add_co_i32 m0, s2, -4
	v_fmac_f32_e32 v53, v50, v58
	v_movrels_b32_e32 v50, v14
	s_add_co_i32 m0, s2, -3
	s_delay_alu instid0(VALU_DEP_1) | instskip(SKIP_4) | instid1(VALU_DEP_1)
	v_fmac_f32_e32 v53, v50, v59
	ds_load_2addr_b64 v[56:59], v55 offset0:2 offset1:3
	v_movrels_b32_e32 v50, v14
	s_add_co_i32 m0, s2, -2
	s_wait_dscnt 0x0
	v_fmac_f32_e32 v53, v50, v56
	v_movrels_b32_e32 v50, v14
	s_add_co_i32 m0, s2, -1
	s_delay_alu instid0(VALU_DEP_1) | instskip(SKIP_3) | instid1(SALU_CYCLE_1)
	v_fmac_f32_e32 v53, v50, v57
	v_movrels_b32_e32 v50, v14
	s_mov_b32 m0, s2
	s_add_nc_u64 s[2:3], s[2:3], 8
	s_add_co_i32 s8, s2, -7
	s_delay_alu instid0(VALU_DEP_1) | instskip(SKIP_1) | instid1(VALU_DEP_1)
	v_fmac_f32_e32 v53, v50, v58
	v_movrels_b32_e32 v50, v14
	v_dual_fmac_f32 v53, v50, v59 :: v_dual_add_nc_u32 v50, s2, v52
	s_delay_alu instid0(VALU_DEP_1) | instskip(SKIP_2) | instid1(SALU_CYCLE_1)
	v_cmp_eq_u32_e32 vcc_lo, 9, v50
	v_mov_b32_e32 v50, s8
	s_or_b32 s6, vcc_lo, s6
	s_and_not1_b32 exec_lo, exec_lo, s6
	s_cbranch_execnz .LBB11_137
; %bb.138:
	s_or_b32 exec_lo, exec_lo, s6
.LBB11_139:
	s_delay_alu instid0(SALU_CYCLE_1) | instskip(SKIP_3) | instid1(VALU_DEP_1)
	s_or_b32 exec_lo, exec_lo, s0
	v_and_b32_e32 v52, 7, v51
	s_mov_b32 s2, 0
	s_mov_b32 s0, exec_lo
	v_cmpx_ne_u32_e32 0, v52
	s_cbranch_execz .LBB11_143
; %bb.140:
	v_lshl_add_u32 v55, v50, 2, 48
	v_mov_b32_e32 v51, 0
.LBB11_141:                             ; =>This Inner Loop Header: Depth=1
	v_cmp_eq_u32_e32 vcc_lo, 1, v50
	ds_load_b32 v57, v55
	v_dual_add_nc_u32 v52, -1, v52 :: v_dual_add_nc_u32 v55, 4, v55
	v_cndmask_b32_e32 v56, v14, v15, vcc_lo
	v_cmp_eq_u32_e32 vcc_lo, 2, v50
	s_delay_alu instid0(VALU_DEP_2) | instskip(SKIP_1) | instid1(VALU_DEP_2)
	v_cndmask_b32_e32 v56, v56, v16, vcc_lo
	v_cmp_eq_u32_e32 vcc_lo, 3, v50
	v_cndmask_b32_e32 v56, v56, v17, vcc_lo
	v_cmp_eq_u32_e32 vcc_lo, 4, v50
	s_delay_alu instid0(VALU_DEP_2) | instskip(SKIP_1) | instid1(VALU_DEP_2)
	v_cndmask_b32_e32 v56, v56, v18, vcc_lo
	v_cmp_eq_u32_e32 vcc_lo, 5, v50
	v_cndmask_b32_e32 v56, v56, v19, vcc_lo
	v_cmp_eq_u32_e32 vcc_lo, 6, v50
	s_delay_alu instid0(VALU_DEP_2) | instskip(SKIP_1) | instid1(VALU_DEP_2)
	v_cndmask_b32_e32 v56, v56, v20, vcc_lo
	v_cmp_eq_u32_e32 vcc_lo, 7, v50
	v_cndmask_b32_e32 v56, v56, v21, vcc_lo
	v_cmp_eq_u32_e32 vcc_lo, 8, v50
	s_delay_alu instid0(VALU_DEP_2) | instskip(SKIP_1) | instid1(VALU_DEP_2)
	v_cndmask_b32_e32 v56, v56, v22, vcc_lo
	v_cmp_eq_u32_e32 vcc_lo, 9, v50
	v_cndmask_b32_e32 v56, v56, v23, vcc_lo
	v_cmp_eq_u32_e32 vcc_lo, 10, v50
	s_delay_alu instid0(VALU_DEP_2) | instskip(SKIP_2) | instid1(VALU_DEP_3)
	v_cndmask_b32_e32 v56, v56, v24, vcc_lo
	v_cmp_eq_u32_e32 vcc_lo, 11, v50
	v_add_nc_u64_e32 v[50:51], 1, v[50:51]
	v_cndmask_b32_e32 v56, v56, v25, vcc_lo
	v_cmp_eq_u32_e32 vcc_lo, 0, v52
	s_wait_dscnt 0x0
	s_delay_alu instid0(VALU_DEP_2) | instskip(SKIP_1) | instid1(SALU_CYCLE_1)
	v_fmac_f32_e32 v53, v56, v57
	s_or_b32 s2, vcc_lo, s2
	s_and_not1_b32 exec_lo, exec_lo, s2
	s_cbranch_execnz .LBB11_141
; %bb.142:
	s_or_b32 exec_lo, exec_lo, s2
.LBB11_143:
	s_delay_alu instid0(SALU_CYCLE_1)
	s_or_b32 exec_lo, exec_lo, s0
.LBB11_144:
	s_delay_alu instid0(SALU_CYCLE_1)
	s_or_b32 exec_lo, exec_lo, s5
	v_mov_b32_e32 v15, 0
	ds_load_b32 v15, v15 offset:4
	s_wait_dscnt 0x0
	v_mul_f32_e32 v15, v53, v15
.LBB11_145:
	s_or_b32 exec_lo, exec_lo, s4
	s_mov_b32 s2, 0
	s_mov_b32 s3, exec_lo
	ds_store_b32 v54, v14
	s_wait_dscnt 0x0
	s_barrier_signal -1
	s_barrier_wait -1
	v_cmpx_ne_u32_e32 0, v0
	s_cbranch_execz .LBB11_161
; %bb.146:
	s_and_not1_b32 vcc_lo, exec_lo, s16
	s_cbranch_vccnz .LBB11_148
; %bb.147:
	v_cmp_eq_u32_e32 vcc_lo, 1, v0
	ds_load_b32 v51, v54
	v_cndmask_b32_e32 v50, v14, v15, vcc_lo
	v_cmp_eq_u32_e32 vcc_lo, 2, v0
	s_delay_alu instid0(VALU_DEP_2) | instskip(SKIP_1) | instid1(VALU_DEP_2)
	v_cndmask_b32_e32 v50, v50, v16, vcc_lo
	v_cmp_eq_u32_e32 vcc_lo, 3, v0
	v_cndmask_b32_e32 v50, v50, v17, vcc_lo
	v_cmp_eq_u32_e32 vcc_lo, 4, v0
	s_delay_alu instid0(VALU_DEP_2) | instskip(SKIP_1) | instid1(VALU_DEP_2)
	v_cndmask_b32_e32 v50, v50, v18, vcc_lo
	v_cmp_eq_u32_e32 vcc_lo, 5, v0
	;; [unrolled: 5-line block ×5, first 2 shown]
	v_cndmask_b32_e32 v50, v50, v25, vcc_lo
	s_wait_dscnt 0x0
	s_delay_alu instid0(VALU_DEP_1)
	v_mul_f32_e32 v51, v50, v51
	s_cbranch_execz .LBB11_149
	s_branch .LBB11_150
.LBB11_148:
                                        ; implicit-def: $vgpr51
.LBB11_149:
	ds_load_b32 v51, v54
.LBB11_150:
	s_and_saveexec_b32 s4, s1
	s_cbranch_execz .LBB11_160
; %bb.151:
	v_dual_add_nc_u32 v50, -2, v0 :: v_dual_add_nc_u32 v53, -1, v0
	v_mov_b32_e32 v52, 1
	s_mov_b32 s5, exec_lo
	s_delay_alu instid0(VALU_DEP_2)
	v_cmpx_lt_u32_e32 6, v50
	s_cbranch_execz .LBB11_155
; %bb.152:
	v_and_b32_e32 v50, -8, v53
	s_mov_b32 s6, 0
	s_mov_b64 s[0:1], 8
	s_mov_b32 s7, 52
	s_delay_alu instid0(VALU_DEP_1)
	v_sub_nc_u32_e32 v50, 0, v50
.LBB11_153:                             ; =>This Inner Loop Header: Depth=1
	s_add_co_i32 m0, s0, -7
	v_movrels_b32_e32 v52, v14
	v_mov_b32_e32 v55, s7
	s_add_co_i32 m0, s0, -6
	s_add_co_i32 s7, s7, 32
	ds_load_2addr_b32 v[56:57], v55 offset1:1
	s_wait_dscnt 0x0
	v_fmac_f32_e32 v51, v52, v56
	v_movrels_b32_e32 v52, v14
	s_add_co_i32 m0, s0, -5
	s_delay_alu instid0(VALU_DEP_1) | instskip(SKIP_4) | instid1(VALU_DEP_1)
	v_fmac_f32_e32 v51, v52, v57
	ds_load_2addr_b32 v[56:57], v55 offset0:2 offset1:3
	v_movrels_b32_e32 v52, v14
	s_add_co_i32 m0, s0, -4
	s_wait_dscnt 0x0
	v_fmac_f32_e32 v51, v52, v56
	v_movrels_b32_e32 v52, v14
	s_add_co_i32 m0, s0, -3
	s_delay_alu instid0(VALU_DEP_1) | instskip(SKIP_4) | instid1(VALU_DEP_1)
	v_fmac_f32_e32 v51, v52, v57
	ds_load_2addr_b32 v[56:57], v55 offset0:4 offset1:5
	v_movrels_b32_e32 v52, v14
	s_add_co_i32 m0, s0, -2
	s_wait_dscnt 0x0
	v_fmac_f32_e32 v51, v52, v56
	v_movrels_b32_e32 v52, v14
	s_add_co_i32 m0, s0, -1
	s_delay_alu instid0(VALU_DEP_1) | instskip(SKIP_4) | instid1(SALU_CYCLE_1)
	v_fmac_f32_e32 v51, v52, v57
	ds_load_2addr_b32 v[56:57], v55 offset0:6 offset1:7
	v_movrels_b32_e32 v52, v14
	s_mov_b32 m0, s0
	s_add_nc_u64 s[0:1], s[0:1], 8
	s_add_co_i32 s8, s0, -7
	s_wait_dscnt 0x0
	v_fmac_f32_e32 v51, v52, v56
	v_movrels_b32_e32 v52, v14
	s_delay_alu instid0(VALU_DEP_1) | instskip(NEXT) | instid1(VALU_DEP_1)
	v_dual_fmac_f32 v51, v52, v57 :: v_dual_add_nc_u32 v52, s0, v50
	v_cmp_eq_u32_e32 vcc_lo, 8, v52
	v_mov_b32_e32 v52, s8
	s_or_b32 s6, vcc_lo, s6
	s_delay_alu instid0(SALU_CYCLE_1)
	s_and_not1_b32 exec_lo, exec_lo, s6
	s_cbranch_execnz .LBB11_153
; %bb.154:
	s_or_b32 exec_lo, exec_lo, s6
.LBB11_155:
	s_delay_alu instid0(SALU_CYCLE_1) | instskip(SKIP_3) | instid1(VALU_DEP_1)
	s_or_b32 exec_lo, exec_lo, s5
	v_and_b32_e32 v50, 7, v53
	s_mov_b32 s1, 0
	s_mov_b32 s0, exec_lo
	v_cmpx_ne_u32_e32 0, v50
	s_cbranch_execz .LBB11_159
; %bb.156:
	v_lshl_add_u32 v55, v52, 2, 48
	v_mov_b32_e32 v53, 0
.LBB11_157:                             ; =>This Inner Loop Header: Depth=1
	v_cmp_eq_u32_e32 vcc_lo, 1, v52
	ds_load_b32 v57, v55
	v_dual_add_nc_u32 v50, -1, v50 :: v_dual_add_nc_u32 v55, 4, v55
	v_cndmask_b32_e32 v56, v14, v15, vcc_lo
	v_cmp_eq_u32_e32 vcc_lo, 2, v52
	s_delay_alu instid0(VALU_DEP_2) | instskip(SKIP_1) | instid1(VALU_DEP_2)
	v_cndmask_b32_e32 v56, v56, v16, vcc_lo
	v_cmp_eq_u32_e32 vcc_lo, 3, v52
	v_cndmask_b32_e32 v56, v56, v17, vcc_lo
	v_cmp_eq_u32_e32 vcc_lo, 4, v52
	s_delay_alu instid0(VALU_DEP_2) | instskip(SKIP_1) | instid1(VALU_DEP_2)
	v_cndmask_b32_e32 v56, v56, v18, vcc_lo
	v_cmp_eq_u32_e32 vcc_lo, 5, v52
	;; [unrolled: 5-line block ×4, first 2 shown]
	v_cndmask_b32_e32 v56, v56, v23, vcc_lo
	v_cmp_eq_u32_e32 vcc_lo, 10, v52
	s_delay_alu instid0(VALU_DEP_2) | instskip(SKIP_2) | instid1(VALU_DEP_3)
	v_cndmask_b32_e32 v56, v56, v24, vcc_lo
	v_cmp_eq_u32_e32 vcc_lo, 11, v52
	v_add_nc_u64_e32 v[52:53], 1, v[52:53]
	v_cndmask_b32_e32 v56, v56, v25, vcc_lo
	v_cmp_eq_u32_e32 vcc_lo, 0, v50
	s_wait_dscnt 0x0
	s_delay_alu instid0(VALU_DEP_2) | instskip(SKIP_1) | instid1(SALU_CYCLE_1)
	v_fmac_f32_e32 v51, v56, v57
	s_or_b32 s1, vcc_lo, s1
	s_and_not1_b32 exec_lo, exec_lo, s1
	s_cbranch_execnz .LBB11_157
; %bb.158:
	s_or_b32 exec_lo, exec_lo, s1
.LBB11_159:
	s_delay_alu instid0(SALU_CYCLE_1)
	s_or_b32 exec_lo, exec_lo, s0
.LBB11_160:
	s_delay_alu instid0(SALU_CYCLE_1)
	s_or_b32 exec_lo, exec_lo, s4
	v_mov_b32_e32 v14, 0
	ds_load_b32 v14, v14
	s_wait_dscnt 0x0
	v_mul_f32_e32 v14, v51, v14
.LBB11_161:
	s_or_b32 exec_lo, exec_lo, s3
	s_delay_alu instid0(SALU_CYCLE_1)
	s_and_b32 vcc_lo, exec_lo, s2
	s_cbranch_vccz .LBB11_275
.LBB11_162:
	v_cmp_eq_u32_e64 s0, 0, v0
	s_wait_loadcnt 0xb
	ds_store_b32 v54, v3
	s_wait_loadcnt_dscnt 0x0
	s_barrier_signal -1
	s_barrier_wait -1
	s_and_saveexec_b32 s1, s0
	s_cbranch_execz .LBB11_168
; %bb.163:
	s_and_b32 vcc_lo, exec_lo, s16
	s_cbranch_vccz .LBB11_165
; %bb.164:
	v_cmp_eq_u32_e32 vcc_lo, 1, v0
	ds_load_b32 v14, v54
	v_cndmask_b32_e32 v3, v2, v3, vcc_lo
	v_cmp_eq_u32_e32 vcc_lo, 2, v0
	s_delay_alu instid0(VALU_DEP_2) | instskip(SKIP_1) | instid1(VALU_DEP_2)
	v_cndmask_b32_e32 v3, v3, v4, vcc_lo
	v_cmp_eq_u32_e32 vcc_lo, 3, v0
	v_cndmask_b32_e32 v3, v3, v5, vcc_lo
	v_cmp_eq_u32_e32 vcc_lo, 4, v0
	s_delay_alu instid0(VALU_DEP_2) | instskip(SKIP_1) | instid1(VALU_DEP_2)
	v_cndmask_b32_e32 v3, v3, v6, vcc_lo
	v_cmp_eq_u32_e32 vcc_lo, 5, v0
	;; [unrolled: 5-line block ×5, first 2 shown]
	v_cndmask_b32_e32 v3, v3, v13, vcc_lo
	s_wait_dscnt 0x0
	s_delay_alu instid0(VALU_DEP_1)
	v_mul_f32_e32 v3, v3, v14
	s_cbranch_execz .LBB11_166
	s_branch .LBB11_167
.LBB11_165:
                                        ; implicit-def: $vgpr3
.LBB11_166:
	ds_load_b32 v3, v54
.LBB11_167:
	v_mov_b32_e32 v14, 0
	ds_load_b32 v14, v14 offset:4
	s_wait_dscnt 0x0
	v_mul_f32_e32 v3, v3, v14
.LBB11_168:
	s_or_b32 exec_lo, exec_lo, s1
	v_cndmask_b32_e64 v16, 0, 1, s16
	s_mov_b32 s1, exec_lo
	ds_store_b32 v54, v4
	s_wait_dscnt 0x0
	s_barrier_signal -1
	s_barrier_wait -1
	v_cmpx_gt_u32_e32 2, v0
	s_cbranch_execz .LBB11_174
; %bb.169:
	s_and_not1_b32 vcc_lo, exec_lo, s16
	s_cbranch_vccnz .LBB11_171
; %bb.170:
	v_cmp_eq_u32_e32 vcc_lo, 1, v0
	v_cndmask_b32_e32 v14, v2, v3, vcc_lo
	v_cmp_eq_u32_e32 vcc_lo, 2, v0
	s_delay_alu instid0(VALU_DEP_2) | instskip(SKIP_4) | instid1(VALU_DEP_2)
	v_cndmask_b32_e32 v4, v14, v4, vcc_lo
	v_cmp_eq_u32_e32 vcc_lo, 3, v0
	ds_load_b32 v14, v54
	v_cndmask_b32_e32 v4, v4, v5, vcc_lo
	v_cmp_eq_u32_e32 vcc_lo, 4, v0
	v_cndmask_b32_e32 v4, v4, v6, vcc_lo
	v_cmp_eq_u32_e32 vcc_lo, 5, v0
	s_delay_alu instid0(VALU_DEP_2) | instskip(SKIP_1) | instid1(VALU_DEP_2)
	v_cndmask_b32_e32 v4, v4, v7, vcc_lo
	v_cmp_eq_u32_e32 vcc_lo, 6, v0
	v_cndmask_b32_e32 v4, v4, v8, vcc_lo
	v_cmp_eq_u32_e32 vcc_lo, 7, v0
	s_delay_alu instid0(VALU_DEP_2) | instskip(SKIP_1) | instid1(VALU_DEP_2)
	;; [unrolled: 5-line block ×3, first 2 shown]
	v_cndmask_b32_e32 v4, v4, v11, vcc_lo
	v_cmp_eq_u32_e32 vcc_lo, 10, v0
	v_cndmask_b32_e32 v4, v4, v12, vcc_lo
	v_cmp_eq_u32_e32 vcc_lo, 11, v0
	s_delay_alu instid0(VALU_DEP_2) | instskip(SKIP_1) | instid1(VALU_DEP_1)
	v_cndmask_b32_e32 v4, v4, v13, vcc_lo
	s_wait_dscnt 0x0
	v_mul_f32_e32 v4, v4, v14
	s_cbranch_execz .LBB11_172
	s_branch .LBB11_173
.LBB11_171:
                                        ; implicit-def: $vgpr4
.LBB11_172:
	ds_load_b32 v4, v54
.LBB11_173:
	v_mov_b32_e32 v14, 0
	ds_load_2addr_b32 v[14:15], v14 offset0:2 offset1:13
	s_wait_dscnt 0x0
	v_fma_f32 v15, v3, v15, v4
	s_delay_alu instid0(VALU_DEP_1) | instskip(NEXT) | instid1(VALU_DEP_1)
	v_cndmask_b32_e64 v4, v4, v15, s0
	v_mul_f32_e32 v4, v4, v14
.LBB11_174:
	s_or_b32 exec_lo, exec_lo, s1
	v_add_nc_u32_e32 v17, 1, v0
	v_cmp_gt_u32_e64 s1, 3, v0
	ds_store_b32 v54, v5
	s_wait_dscnt 0x0
	s_barrier_signal -1
	s_barrier_wait -1
	s_and_saveexec_b32 s2, s1
	s_cbranch_execz .LBB11_182
; %bb.175:
	v_cmp_ne_u32_e32 vcc_lo, 1, v16
	s_cbranch_vccnz .LBB11_177
; %bb.176:
	v_cmp_eq_u32_e32 vcc_lo, 1, v0
	ds_load_b32 v15, v54
	v_cndmask_b32_e32 v14, v2, v3, vcc_lo
	v_cmp_eq_u32_e32 vcc_lo, 2, v0
	s_delay_alu instid0(VALU_DEP_2) | instskip(SKIP_1) | instid1(VALU_DEP_2)
	v_cndmask_b32_e32 v14, v14, v4, vcc_lo
	v_cmp_eq_u32_e32 vcc_lo, 3, v0
	v_cndmask_b32_e32 v14, v14, v5, vcc_lo
	v_cmp_eq_u32_e32 vcc_lo, 4, v0
	s_delay_alu instid0(VALU_DEP_2) | instskip(SKIP_1) | instid1(VALU_DEP_2)
	v_cndmask_b32_e32 v14, v14, v6, vcc_lo
	v_cmp_eq_u32_e32 vcc_lo, 5, v0
	;; [unrolled: 5-line block ×5, first 2 shown]
	v_cndmask_b32_e32 v14, v14, v13, vcc_lo
	s_wait_dscnt 0x0
	s_delay_alu instid0(VALU_DEP_1)
	v_mul_f32_e32 v14, v14, v15
	s_cbranch_execz .LBB11_178
	s_branch .LBB11_179
.LBB11_177:
                                        ; implicit-def: $vgpr14
.LBB11_178:
	ds_load_b32 v14, v54
.LBB11_179:
	s_mov_b32 s3, exec_lo
	v_cmpx_ne_u32_e32 2, v0
	s_cbranch_execz .LBB11_181
; %bb.180:
	v_cmp_eq_u32_e32 vcc_lo, 1, v17
	v_dual_mov_b32 v18, 0 :: v_dual_cndmask_b32 v15, v2, v3
	v_cmp_eq_u32_e32 vcc_lo, 2, v17
	ds_load_b32 v18, v18 offset:56
	v_cndmask_b32_e32 v15, v15, v4, vcc_lo
	v_cmp_eq_u32_e32 vcc_lo, 3, v17
	s_delay_alu instid0(VALU_DEP_2) | instskip(SKIP_4) | instid1(VALU_DEP_2)
	v_cndmask_b32_e32 v5, v15, v5, vcc_lo
	v_cmp_eq_u32_e32 vcc_lo, 4, v17
	ds_load_b32 v15, v54 offset:4
	v_cndmask_b32_e32 v5, v5, v6, vcc_lo
	v_cmp_eq_u32_e32 vcc_lo, 5, v17
	v_cndmask_b32_e32 v5, v5, v7, vcc_lo
	v_cmp_eq_u32_e32 vcc_lo, 6, v17
	s_delay_alu instid0(VALU_DEP_2) | instskip(SKIP_1) | instid1(VALU_DEP_2)
	v_cndmask_b32_e32 v5, v5, v8, vcc_lo
	v_cmp_eq_u32_e32 vcc_lo, 7, v17
	v_cndmask_b32_e32 v5, v5, v9, vcc_lo
	v_cmp_eq_u32_e32 vcc_lo, 8, v17
	s_delay_alu instid0(VALU_DEP_2) | instskip(SKIP_1) | instid1(VALU_DEP_2)
	;; [unrolled: 5-line block ×3, first 2 shown]
	v_cndmask_b32_e32 v5, v5, v12, vcc_lo
	v_cmp_eq_u32_e32 vcc_lo, 11, v17
	v_cndmask_b32_e32 v5, v5, v13, vcc_lo
	s_wait_dscnt 0x0
	s_delay_alu instid0(VALU_DEP_1) | instskip(NEXT) | instid1(VALU_DEP_1)
	v_fmac_f32_e32 v14, v5, v15
	v_fma_f32 v5, v4, v18, v14
	s_delay_alu instid0(VALU_DEP_1)
	v_cndmask_b32_e64 v14, v14, v5, s0
.LBB11_181:
	s_or_b32 exec_lo, exec_lo, s3
	v_mov_b32_e32 v5, 0
	ds_load_b32 v5, v5 offset:12
	s_wait_dscnt 0x0
	v_mul_f32_e32 v5, v14, v5
.LBB11_182:
	s_or_b32 exec_lo, exec_lo, s2
	s_delay_alu instid0(SALU_CYCLE_1)
	s_mov_b32 s2, exec_lo
	ds_store_b32 v54, v6
	s_wait_dscnt 0x0
	s_barrier_signal -1
	s_barrier_wait -1
	v_cmpx_gt_u32_e32 4, v0
	s_cbranch_execz .LBB11_192
; %bb.183:
	v_cmp_ne_u32_e32 vcc_lo, 1, v16
	s_cbranch_vccnz .LBB11_185
; %bb.184:
	v_cmp_eq_u32_e32 vcc_lo, 1, v0
	ds_load_b32 v15, v54
	v_cndmask_b32_e32 v14, v2, v3, vcc_lo
	v_cmp_eq_u32_e32 vcc_lo, 2, v0
	s_delay_alu instid0(VALU_DEP_2) | instskip(SKIP_1) | instid1(VALU_DEP_2)
	v_cndmask_b32_e32 v14, v14, v4, vcc_lo
	v_cmp_eq_u32_e32 vcc_lo, 3, v0
	v_cndmask_b32_e32 v14, v14, v5, vcc_lo
	v_cmp_eq_u32_e32 vcc_lo, 4, v0
	s_delay_alu instid0(VALU_DEP_2) | instskip(SKIP_1) | instid1(VALU_DEP_2)
	v_cndmask_b32_e32 v14, v14, v6, vcc_lo
	v_cmp_eq_u32_e32 vcc_lo, 5, v0
	;; [unrolled: 5-line block ×5, first 2 shown]
	v_cndmask_b32_e32 v14, v14, v13, vcc_lo
	s_wait_dscnt 0x0
	s_delay_alu instid0(VALU_DEP_1)
	v_mul_f32_e32 v18, v14, v15
	s_cbranch_execz .LBB11_186
	s_branch .LBB11_187
.LBB11_185:
                                        ; implicit-def: $vgpr18
.LBB11_186:
	ds_load_b32 v18, v54
.LBB11_187:
	s_mov_b32 s3, exec_lo
	v_cmpx_ne_u32_e32 3, v0
	s_cbranch_execz .LBB11_191
; %bb.188:
	v_mov_b64_e32 v[14:15], v[0:1]
	v_lshl_add_u32 v19, v0, 2, 52
	s_mov_b32 s4, 0
.LBB11_189:                             ; =>This Inner Loop Header: Depth=1
	s_delay_alu instid0(VALU_DEP_2)
	v_add_nc_u64_e32 v[14:15], 1, v[14:15]
	ds_load_b32 v21, v19
	v_add_nc_u32_e32 v19, 4, v19
	v_cmp_eq_u32_e32 vcc_lo, 1, v14
	v_cndmask_b32_e32 v20, v2, v3, vcc_lo
	v_cmp_eq_u32_e32 vcc_lo, 2, v14
	s_delay_alu instid0(VALU_DEP_2) | instskip(SKIP_1) | instid1(VALU_DEP_2)
	v_cndmask_b32_e32 v20, v20, v4, vcc_lo
	v_cmp_eq_u32_e32 vcc_lo, 3, v14
	v_cndmask_b32_e32 v20, v20, v5, vcc_lo
	v_cmp_eq_u32_e32 vcc_lo, 4, v14
	s_delay_alu instid0(VALU_DEP_2) | instskip(SKIP_1) | instid1(VALU_DEP_2)
	v_cndmask_b32_e32 v20, v20, v6, vcc_lo
	;; [unrolled: 5-line block ×5, first 2 shown]
	v_cmp_eq_u32_e32 vcc_lo, 11, v14
	v_cndmask_b32_e32 v20, v20, v13, vcc_lo
	v_cmp_lt_u32_e32 vcc_lo, 2, v14
	s_wait_dscnt 0x0
	s_delay_alu instid0(VALU_DEP_2) | instskip(SKIP_1) | instid1(SALU_CYCLE_1)
	v_fmac_f32_e32 v18, v20, v21
	s_or_b32 s4, vcc_lo, s4
	s_and_not1_b32 exec_lo, exec_lo, s4
	s_cbranch_execnz .LBB11_189
; %bb.190:
	s_or_b32 exec_lo, exec_lo, s4
.LBB11_191:
	s_delay_alu instid0(SALU_CYCLE_1)
	s_or_b32 exec_lo, exec_lo, s3
	v_mov_b32_e32 v6, 0
	ds_load_b32 v6, v6 offset:16
	s_wait_dscnt 0x0
	v_mul_f32_e32 v6, v18, v6
.LBB11_192:
	s_or_b32 exec_lo, exec_lo, s2
	v_cmp_gt_u32_e64 s2, 5, v0
	ds_store_b32 v54, v7
	s_wait_dscnt 0x0
	s_barrier_signal -1
	s_barrier_wait -1
	s_and_saveexec_b32 s3, s2
	s_cbranch_execz .LBB11_202
; %bb.193:
	v_cmp_ne_u32_e32 vcc_lo, 1, v16
	s_cbranch_vccnz .LBB11_195
; %bb.194:
	v_cmp_eq_u32_e32 vcc_lo, 1, v0
	ds_load_b32 v15, v54
	v_cndmask_b32_e32 v14, v2, v3, vcc_lo
	v_cmp_eq_u32_e32 vcc_lo, 2, v0
	s_delay_alu instid0(VALU_DEP_2) | instskip(SKIP_1) | instid1(VALU_DEP_2)
	v_cndmask_b32_e32 v14, v14, v4, vcc_lo
	v_cmp_eq_u32_e32 vcc_lo, 3, v0
	v_cndmask_b32_e32 v14, v14, v5, vcc_lo
	v_cmp_eq_u32_e32 vcc_lo, 4, v0
	s_delay_alu instid0(VALU_DEP_2) | instskip(SKIP_1) | instid1(VALU_DEP_2)
	v_cndmask_b32_e32 v14, v14, v6, vcc_lo
	v_cmp_eq_u32_e32 vcc_lo, 5, v0
	;; [unrolled: 5-line block ×5, first 2 shown]
	v_cndmask_b32_e32 v14, v14, v13, vcc_lo
	s_wait_dscnt 0x0
	s_delay_alu instid0(VALU_DEP_1)
	v_mul_f32_e32 v18, v14, v15
	s_cbranch_execz .LBB11_196
	s_branch .LBB11_197
.LBB11_195:
                                        ; implicit-def: $vgpr18
.LBB11_196:
	ds_load_b32 v18, v54
.LBB11_197:
	s_mov_b32 s4, exec_lo
	v_cmpx_ne_u32_e32 4, v0
	s_cbranch_execz .LBB11_201
; %bb.198:
	v_mov_b64_e32 v[14:15], v[0:1]
	v_lshl_add_u32 v19, v0, 2, 52
	s_mov_b32 s5, 0
.LBB11_199:                             ; =>This Inner Loop Header: Depth=1
	s_delay_alu instid0(VALU_DEP_2)
	v_add_nc_u64_e32 v[14:15], 1, v[14:15]
	ds_load_b32 v21, v19
	v_add_nc_u32_e32 v19, 4, v19
	v_cmp_eq_u32_e32 vcc_lo, 1, v14
	v_cndmask_b32_e32 v20, v2, v3, vcc_lo
	v_cmp_eq_u32_e32 vcc_lo, 2, v14
	s_delay_alu instid0(VALU_DEP_2) | instskip(SKIP_1) | instid1(VALU_DEP_2)
	v_cndmask_b32_e32 v20, v20, v4, vcc_lo
	v_cmp_eq_u32_e32 vcc_lo, 3, v14
	v_cndmask_b32_e32 v20, v20, v5, vcc_lo
	v_cmp_eq_u32_e32 vcc_lo, 4, v14
	s_delay_alu instid0(VALU_DEP_2) | instskip(SKIP_1) | instid1(VALU_DEP_2)
	v_cndmask_b32_e32 v20, v20, v6, vcc_lo
	;; [unrolled: 5-line block ×5, first 2 shown]
	v_cmp_eq_u32_e32 vcc_lo, 11, v14
	v_cndmask_b32_e32 v20, v20, v13, vcc_lo
	v_cmp_lt_u32_e32 vcc_lo, 3, v14
	s_wait_dscnt 0x0
	s_delay_alu instid0(VALU_DEP_2) | instskip(SKIP_1) | instid1(SALU_CYCLE_1)
	v_fmac_f32_e32 v18, v20, v21
	s_or_b32 s5, vcc_lo, s5
	s_and_not1_b32 exec_lo, exec_lo, s5
	s_cbranch_execnz .LBB11_199
; %bb.200:
	s_or_b32 exec_lo, exec_lo, s5
.LBB11_201:
	s_delay_alu instid0(SALU_CYCLE_1)
	s_or_b32 exec_lo, exec_lo, s4
	v_mov_b32_e32 v7, 0
	ds_load_b32 v7, v7 offset:20
	s_wait_dscnt 0x0
	v_mul_f32_e32 v7, v18, v7
.LBB11_202:
	s_or_b32 exec_lo, exec_lo, s3
	s_delay_alu instid0(SALU_CYCLE_1)
	s_mov_b32 s3, exec_lo
	ds_store_b32 v54, v8
	s_wait_dscnt 0x0
	s_barrier_signal -1
	s_barrier_wait -1
	v_cmpx_gt_u32_e32 6, v0
	s_cbranch_execz .LBB11_212
; %bb.203:
	v_cmp_ne_u32_e32 vcc_lo, 1, v16
	s_cbranch_vccnz .LBB11_205
; %bb.204:
	v_cmp_eq_u32_e32 vcc_lo, 1, v0
	ds_load_b32 v15, v54
	v_cndmask_b32_e32 v14, v2, v3, vcc_lo
	v_cmp_eq_u32_e32 vcc_lo, 2, v0
	s_delay_alu instid0(VALU_DEP_2) | instskip(SKIP_1) | instid1(VALU_DEP_2)
	v_cndmask_b32_e32 v14, v14, v4, vcc_lo
	v_cmp_eq_u32_e32 vcc_lo, 3, v0
	v_cndmask_b32_e32 v14, v14, v5, vcc_lo
	v_cmp_eq_u32_e32 vcc_lo, 4, v0
	s_delay_alu instid0(VALU_DEP_2) | instskip(SKIP_1) | instid1(VALU_DEP_2)
	v_cndmask_b32_e32 v14, v14, v6, vcc_lo
	v_cmp_eq_u32_e32 vcc_lo, 5, v0
	;; [unrolled: 5-line block ×5, first 2 shown]
	v_cndmask_b32_e32 v14, v14, v13, vcc_lo
	s_wait_dscnt 0x0
	s_delay_alu instid0(VALU_DEP_1)
	v_mul_f32_e32 v18, v14, v15
	s_cbranch_execz .LBB11_206
	s_branch .LBB11_207
.LBB11_205:
                                        ; implicit-def: $vgpr18
.LBB11_206:
	ds_load_b32 v18, v54
.LBB11_207:
	s_mov_b32 s4, exec_lo
	v_cmpx_ne_u32_e32 5, v0
	s_cbranch_execz .LBB11_211
; %bb.208:
	v_mov_b64_e32 v[14:15], v[0:1]
	v_lshl_add_u32 v19, v0, 2, 52
	s_mov_b32 s5, 0
.LBB11_209:                             ; =>This Inner Loop Header: Depth=1
	s_delay_alu instid0(VALU_DEP_2)
	v_add_nc_u64_e32 v[14:15], 1, v[14:15]
	ds_load_b32 v21, v19
	v_add_nc_u32_e32 v19, 4, v19
	v_cmp_eq_u32_e32 vcc_lo, 1, v14
	v_cndmask_b32_e32 v20, v2, v3, vcc_lo
	v_cmp_eq_u32_e32 vcc_lo, 2, v14
	s_delay_alu instid0(VALU_DEP_2) | instskip(SKIP_1) | instid1(VALU_DEP_2)
	v_cndmask_b32_e32 v20, v20, v4, vcc_lo
	v_cmp_eq_u32_e32 vcc_lo, 3, v14
	v_cndmask_b32_e32 v20, v20, v5, vcc_lo
	v_cmp_eq_u32_e32 vcc_lo, 4, v14
	s_delay_alu instid0(VALU_DEP_2) | instskip(SKIP_1) | instid1(VALU_DEP_2)
	v_cndmask_b32_e32 v20, v20, v6, vcc_lo
	;; [unrolled: 5-line block ×5, first 2 shown]
	v_cmp_eq_u32_e32 vcc_lo, 11, v14
	v_cndmask_b32_e32 v20, v20, v13, vcc_lo
	v_cmp_lt_u32_e32 vcc_lo, 4, v14
	s_wait_dscnt 0x0
	s_delay_alu instid0(VALU_DEP_2) | instskip(SKIP_1) | instid1(SALU_CYCLE_1)
	v_fmac_f32_e32 v18, v20, v21
	s_or_b32 s5, vcc_lo, s5
	s_and_not1_b32 exec_lo, exec_lo, s5
	s_cbranch_execnz .LBB11_209
; %bb.210:
	s_or_b32 exec_lo, exec_lo, s5
.LBB11_211:
	s_delay_alu instid0(SALU_CYCLE_1)
	s_or_b32 exec_lo, exec_lo, s4
	v_mov_b32_e32 v8, 0
	ds_load_b32 v8, v8 offset:24
	s_wait_dscnt 0x0
	v_mul_f32_e32 v8, v18, v8
.LBB11_212:
	s_or_b32 exec_lo, exec_lo, s3
	v_cmp_gt_u32_e64 s3, 7, v0
	ds_store_b32 v54, v9
	s_wait_dscnt 0x0
	s_barrier_signal -1
	s_barrier_wait -1
	s_and_saveexec_b32 s4, s3
	s_cbranch_execz .LBB11_222
; %bb.213:
	v_cmp_ne_u32_e32 vcc_lo, 1, v16
	s_cbranch_vccnz .LBB11_215
; %bb.214:
	v_cmp_eq_u32_e32 vcc_lo, 1, v0
	ds_load_b32 v15, v54
	v_cndmask_b32_e32 v14, v2, v3, vcc_lo
	v_cmp_eq_u32_e32 vcc_lo, 2, v0
	s_delay_alu instid0(VALU_DEP_2) | instskip(SKIP_1) | instid1(VALU_DEP_2)
	v_cndmask_b32_e32 v14, v14, v4, vcc_lo
	v_cmp_eq_u32_e32 vcc_lo, 3, v0
	v_cndmask_b32_e32 v14, v14, v5, vcc_lo
	v_cmp_eq_u32_e32 vcc_lo, 4, v0
	s_delay_alu instid0(VALU_DEP_2) | instskip(SKIP_1) | instid1(VALU_DEP_2)
	v_cndmask_b32_e32 v14, v14, v6, vcc_lo
	v_cmp_eq_u32_e32 vcc_lo, 5, v0
	;; [unrolled: 5-line block ×5, first 2 shown]
	v_cndmask_b32_e32 v14, v14, v13, vcc_lo
	s_wait_dscnt 0x0
	s_delay_alu instid0(VALU_DEP_1)
	v_mul_f32_e32 v18, v14, v15
	s_cbranch_execz .LBB11_216
	s_branch .LBB11_217
.LBB11_215:
                                        ; implicit-def: $vgpr18
.LBB11_216:
	ds_load_b32 v18, v54
.LBB11_217:
	s_mov_b32 s5, exec_lo
	v_cmpx_ne_u32_e32 6, v0
	s_cbranch_execz .LBB11_221
; %bb.218:
	v_mov_b64_e32 v[14:15], v[0:1]
	v_lshl_add_u32 v19, v0, 2, 52
	s_mov_b32 s6, 0
.LBB11_219:                             ; =>This Inner Loop Header: Depth=1
	s_delay_alu instid0(VALU_DEP_2)
	v_add_nc_u64_e32 v[14:15], 1, v[14:15]
	ds_load_b32 v21, v19
	v_add_nc_u32_e32 v19, 4, v19
	v_cmp_eq_u32_e32 vcc_lo, 1, v14
	v_cndmask_b32_e32 v20, v2, v3, vcc_lo
	v_cmp_eq_u32_e32 vcc_lo, 2, v14
	s_delay_alu instid0(VALU_DEP_2) | instskip(SKIP_1) | instid1(VALU_DEP_2)
	v_cndmask_b32_e32 v20, v20, v4, vcc_lo
	v_cmp_eq_u32_e32 vcc_lo, 3, v14
	v_cndmask_b32_e32 v20, v20, v5, vcc_lo
	v_cmp_eq_u32_e32 vcc_lo, 4, v14
	s_delay_alu instid0(VALU_DEP_2) | instskip(SKIP_1) | instid1(VALU_DEP_2)
	v_cndmask_b32_e32 v20, v20, v6, vcc_lo
	;; [unrolled: 5-line block ×5, first 2 shown]
	v_cmp_eq_u32_e32 vcc_lo, 11, v14
	v_cndmask_b32_e32 v20, v20, v13, vcc_lo
	v_cmp_lt_u32_e32 vcc_lo, 5, v14
	s_wait_dscnt 0x0
	s_delay_alu instid0(VALU_DEP_2) | instskip(SKIP_1) | instid1(SALU_CYCLE_1)
	v_fmac_f32_e32 v18, v20, v21
	s_or_b32 s6, vcc_lo, s6
	s_and_not1_b32 exec_lo, exec_lo, s6
	s_cbranch_execnz .LBB11_219
; %bb.220:
	s_or_b32 exec_lo, exec_lo, s6
.LBB11_221:
	s_delay_alu instid0(SALU_CYCLE_1)
	s_or_b32 exec_lo, exec_lo, s5
	v_mov_b32_e32 v9, 0
	ds_load_b32 v9, v9 offset:28
	s_wait_dscnt 0x0
	v_mul_f32_e32 v9, v18, v9
.LBB11_222:
	s_or_b32 exec_lo, exec_lo, s4
	s_delay_alu instid0(SALU_CYCLE_1)
	s_mov_b32 s4, exec_lo
	ds_store_b32 v54, v10
	s_wait_dscnt 0x0
	s_barrier_signal -1
	s_barrier_wait -1
	v_cmpx_gt_u32_e32 8, v0
	s_cbranch_execz .LBB11_232
; %bb.223:
	v_cmp_ne_u32_e32 vcc_lo, 1, v16
	s_cbranch_vccnz .LBB11_225
; %bb.224:
	v_cmp_eq_u32_e32 vcc_lo, 1, v0
	ds_load_b32 v15, v54
	v_cndmask_b32_e32 v14, v2, v3, vcc_lo
	v_cmp_eq_u32_e32 vcc_lo, 2, v0
	s_delay_alu instid0(VALU_DEP_2) | instskip(SKIP_1) | instid1(VALU_DEP_2)
	v_cndmask_b32_e32 v14, v14, v4, vcc_lo
	v_cmp_eq_u32_e32 vcc_lo, 3, v0
	v_cndmask_b32_e32 v14, v14, v5, vcc_lo
	v_cmp_eq_u32_e32 vcc_lo, 4, v0
	s_delay_alu instid0(VALU_DEP_2) | instskip(SKIP_1) | instid1(VALU_DEP_2)
	v_cndmask_b32_e32 v14, v14, v6, vcc_lo
	v_cmp_eq_u32_e32 vcc_lo, 5, v0
	;; [unrolled: 5-line block ×5, first 2 shown]
	v_cndmask_b32_e32 v14, v14, v13, vcc_lo
	s_wait_dscnt 0x0
	s_delay_alu instid0(VALU_DEP_1)
	v_mul_f32_e32 v18, v14, v15
	s_cbranch_execz .LBB11_226
	s_branch .LBB11_227
.LBB11_225:
                                        ; implicit-def: $vgpr18
.LBB11_226:
	ds_load_b32 v18, v54
.LBB11_227:
	s_mov_b32 s5, exec_lo
	v_cmpx_ne_u32_e32 7, v0
	s_cbranch_execz .LBB11_231
; %bb.228:
	v_mov_b64_e32 v[14:15], v[0:1]
	v_lshl_add_u32 v19, v0, 2, 52
	s_mov_b32 s6, 0
.LBB11_229:                             ; =>This Inner Loop Header: Depth=1
	s_delay_alu instid0(VALU_DEP_2)
	v_add_nc_u64_e32 v[14:15], 1, v[14:15]
	ds_load_b32 v21, v19
	v_add_nc_u32_e32 v19, 4, v19
	v_cmp_eq_u32_e32 vcc_lo, 1, v14
	v_cndmask_b32_e32 v20, v2, v3, vcc_lo
	v_cmp_eq_u32_e32 vcc_lo, 2, v14
	s_delay_alu instid0(VALU_DEP_2) | instskip(SKIP_1) | instid1(VALU_DEP_2)
	v_cndmask_b32_e32 v20, v20, v4, vcc_lo
	v_cmp_eq_u32_e32 vcc_lo, 3, v14
	v_cndmask_b32_e32 v20, v20, v5, vcc_lo
	v_cmp_eq_u32_e32 vcc_lo, 4, v14
	s_delay_alu instid0(VALU_DEP_2) | instskip(SKIP_1) | instid1(VALU_DEP_2)
	v_cndmask_b32_e32 v20, v20, v6, vcc_lo
	;; [unrolled: 5-line block ×5, first 2 shown]
	v_cmp_eq_u32_e32 vcc_lo, 11, v14
	v_cndmask_b32_e32 v20, v20, v13, vcc_lo
	v_cmp_lt_u32_e32 vcc_lo, 6, v14
	s_wait_dscnt 0x0
	s_delay_alu instid0(VALU_DEP_2) | instskip(SKIP_1) | instid1(SALU_CYCLE_1)
	v_fmac_f32_e32 v18, v20, v21
	s_or_b32 s6, vcc_lo, s6
	s_and_not1_b32 exec_lo, exec_lo, s6
	s_cbranch_execnz .LBB11_229
; %bb.230:
	s_or_b32 exec_lo, exec_lo, s6
.LBB11_231:
	s_delay_alu instid0(SALU_CYCLE_1)
	s_or_b32 exec_lo, exec_lo, s5
	v_mov_b32_e32 v10, 0
	ds_load_b32 v10, v10 offset:32
	s_wait_dscnt 0x0
	v_mul_f32_e32 v10, v18, v10
.LBB11_232:
	s_or_b32 exec_lo, exec_lo, s4
	s_delay_alu instid0(SALU_CYCLE_1)
	s_mov_b32 s4, exec_lo
	ds_store_b32 v54, v11
	s_wait_dscnt 0x0
	s_barrier_signal -1
	s_barrier_wait -1
	v_cmpx_gt_u32_e32 9, v0
	s_cbranch_execz .LBB11_254
; %bb.233:
	v_cmp_ne_u32_e32 vcc_lo, 1, v16
	s_cbranch_vccnz .LBB11_235
; %bb.234:
	v_cmp_eq_u32_e32 vcc_lo, 1, v0
	ds_load_b32 v15, v54
	v_cndmask_b32_e32 v14, v2, v3, vcc_lo
	v_cmp_eq_u32_e32 vcc_lo, 2, v0
	s_delay_alu instid0(VALU_DEP_2) | instskip(SKIP_1) | instid1(VALU_DEP_2)
	v_cndmask_b32_e32 v14, v14, v4, vcc_lo
	v_cmp_eq_u32_e32 vcc_lo, 3, v0
	v_cndmask_b32_e32 v14, v14, v5, vcc_lo
	v_cmp_eq_u32_e32 vcc_lo, 4, v0
	s_delay_alu instid0(VALU_DEP_2) | instskip(SKIP_1) | instid1(VALU_DEP_2)
	v_cndmask_b32_e32 v14, v14, v6, vcc_lo
	v_cmp_eq_u32_e32 vcc_lo, 5, v0
	;; [unrolled: 5-line block ×5, first 2 shown]
	v_cndmask_b32_e32 v14, v14, v13, vcc_lo
	s_wait_dscnt 0x0
	s_delay_alu instid0(VALU_DEP_1)
	v_mul_f32_e32 v14, v14, v15
	s_cbranch_execz .LBB11_236
	s_branch .LBB11_237
.LBB11_235:
                                        ; implicit-def: $vgpr14
.LBB11_236:
	ds_load_b32 v14, v54
.LBB11_237:
	s_mov_b32 s5, exec_lo
	v_cmpx_ne_u32_e32 8, v0
	s_cbranch_execz .LBB11_253
; %bb.238:
	v_cmp_eq_u32_e32 vcc_lo, 1, v17
	ds_load_b32 v18, v54 offset:4
	v_cndmask_b32_e32 v15, v2, v3, vcc_lo
	v_cmp_eq_u32_e32 vcc_lo, 2, v17
	s_delay_alu instid0(VALU_DEP_2) | instskip(SKIP_1) | instid1(VALU_DEP_2)
	v_cndmask_b32_e32 v15, v15, v4, vcc_lo
	v_cmp_eq_u32_e32 vcc_lo, 3, v17
	v_cndmask_b32_e32 v15, v15, v5, vcc_lo
	v_cmp_eq_u32_e32 vcc_lo, 4, v17
	s_delay_alu instid0(VALU_DEP_2) | instskip(SKIP_1) | instid1(VALU_DEP_2)
	v_cndmask_b32_e32 v15, v15, v6, vcc_lo
	v_cmp_eq_u32_e32 vcc_lo, 5, v17
	v_cndmask_b32_e32 v15, v15, v7, vcc_lo
	v_cmp_eq_u32_e32 vcc_lo, 6, v17
	s_delay_alu instid0(VALU_DEP_2) | instskip(SKIP_1) | instid1(VALU_DEP_2)
	v_cndmask_b32_e32 v15, v15, v8, vcc_lo
	v_cmp_eq_u32_e32 vcc_lo, 7, v17
	v_cndmask_b32_e32 v15, v15, v9, vcc_lo
	v_cmp_eq_u32_e32 vcc_lo, 8, v17
	s_delay_alu instid0(VALU_DEP_2) | instskip(SKIP_1) | instid1(VALU_DEP_2)
	v_cndmask_b32_e32 v15, v15, v10, vcc_lo
	v_cmp_eq_u32_e32 vcc_lo, 9, v17
	v_cndmask_b32_e32 v15, v15, v11, vcc_lo
	v_cmp_eq_u32_e32 vcc_lo, 10, v17
	s_delay_alu instid0(VALU_DEP_2) | instskip(SKIP_1) | instid1(VALU_DEP_2)
	v_cndmask_b32_e32 v15, v15, v12, vcc_lo
	v_cmp_eq_u32_e32 vcc_lo, 11, v17
	v_cndmask_b32_e32 v15, v15, v13, vcc_lo
	s_wait_dscnt 0x0
	s_delay_alu instid0(VALU_DEP_1)
	v_fmac_f32_e32 v14, v15, v18
	s_and_saveexec_b32 s6, s3
	s_cbranch_execz .LBB11_252
; %bb.239:
	v_add_nc_u32_e32 v15, 2, v0
	ds_load_b32 v18, v54 offset:8
	s_mov_b32 s3, exec_lo
	v_cmp_eq_u32_e32 vcc_lo, 1, v15
	v_cndmask_b32_e32 v17, v2, v3, vcc_lo
	v_cmp_eq_u32_e32 vcc_lo, 2, v15
	s_delay_alu instid0(VALU_DEP_2) | instskip(SKIP_1) | instid1(VALU_DEP_2)
	v_cndmask_b32_e32 v17, v17, v4, vcc_lo
	v_cmp_eq_u32_e32 vcc_lo, 3, v15
	v_cndmask_b32_e32 v17, v17, v5, vcc_lo
	v_cmp_eq_u32_e32 vcc_lo, 4, v15
	s_delay_alu instid0(VALU_DEP_2) | instskip(SKIP_1) | instid1(VALU_DEP_2)
	v_cndmask_b32_e32 v17, v17, v6, vcc_lo
	;; [unrolled: 5-line block ×5, first 2 shown]
	v_cmp_eq_u32_e32 vcc_lo, 11, v15
	v_cndmask_b32_e32 v15, v17, v13, vcc_lo
	s_wait_dscnt 0x0
	s_delay_alu instid0(VALU_DEP_1)
	v_fmac_f32_e32 v14, v15, v18
	v_cmpx_ne_u32_e32 6, v0
	s_cbranch_execz .LBB11_251
; %bb.240:
	v_add_nc_u32_e32 v15, 3, v0
	ds_load_b32 v18, v54 offset:12
	v_cmp_eq_u32_e32 vcc_lo, 1, v15
	v_cndmask_b32_e32 v17, v2, v3, vcc_lo
	v_cmp_eq_u32_e32 vcc_lo, 2, v15
	s_delay_alu instid0(VALU_DEP_2) | instskip(SKIP_1) | instid1(VALU_DEP_2)
	v_cndmask_b32_e32 v17, v17, v4, vcc_lo
	v_cmp_eq_u32_e32 vcc_lo, 3, v15
	v_cndmask_b32_e32 v17, v17, v5, vcc_lo
	v_cmp_eq_u32_e32 vcc_lo, 4, v15
	s_delay_alu instid0(VALU_DEP_2) | instskip(SKIP_1) | instid1(VALU_DEP_2)
	v_cndmask_b32_e32 v17, v17, v6, vcc_lo
	v_cmp_eq_u32_e32 vcc_lo, 5, v15
	v_cndmask_b32_e32 v17, v17, v7, vcc_lo
	v_cmp_eq_u32_e32 vcc_lo, 6, v15
	s_delay_alu instid0(VALU_DEP_2) | instskip(SKIP_1) | instid1(VALU_DEP_2)
	v_cndmask_b32_e32 v17, v17, v8, vcc_lo
	v_cmp_eq_u32_e32 vcc_lo, 7, v15
	v_cndmask_b32_e32 v17, v17, v9, vcc_lo
	v_cmp_eq_u32_e32 vcc_lo, 8, v15
	s_delay_alu instid0(VALU_DEP_2) | instskip(SKIP_1) | instid1(VALU_DEP_2)
	v_cndmask_b32_e32 v17, v17, v10, vcc_lo
	v_cmp_eq_u32_e32 vcc_lo, 9, v15
	v_cndmask_b32_e32 v17, v17, v11, vcc_lo
	v_cmp_eq_u32_e32 vcc_lo, 10, v15
	s_delay_alu instid0(VALU_DEP_2) | instskip(SKIP_1) | instid1(VALU_DEP_2)
	v_cndmask_b32_e32 v17, v17, v12, vcc_lo
	v_cmp_eq_u32_e32 vcc_lo, 11, v15
	v_cndmask_b32_e32 v15, v17, v13, vcc_lo
	s_wait_dscnt 0x0
	s_delay_alu instid0(VALU_DEP_1)
	v_fmac_f32_e32 v14, v15, v18
	s_and_saveexec_b32 s7, s2
	s_cbranch_execz .LBB11_250
; %bb.241:
	v_add_nc_u32_e32 v15, 4, v0
	ds_load_b32 v18, v54 offset:16
	s_mov_b32 s2, exec_lo
	v_cmp_eq_u32_e32 vcc_lo, 1, v15
	v_cndmask_b32_e32 v17, v2, v3, vcc_lo
	v_cmp_eq_u32_e32 vcc_lo, 2, v15
	s_delay_alu instid0(VALU_DEP_2) | instskip(SKIP_1) | instid1(VALU_DEP_2)
	v_cndmask_b32_e32 v17, v17, v4, vcc_lo
	v_cmp_eq_u32_e32 vcc_lo, 3, v15
	v_cndmask_b32_e32 v17, v17, v5, vcc_lo
	v_cmp_eq_u32_e32 vcc_lo, 4, v15
	s_delay_alu instid0(VALU_DEP_2) | instskip(SKIP_1) | instid1(VALU_DEP_2)
	v_cndmask_b32_e32 v17, v17, v6, vcc_lo
	;; [unrolled: 5-line block ×5, first 2 shown]
	v_cmp_eq_u32_e32 vcc_lo, 11, v15
	v_cndmask_b32_e32 v15, v17, v13, vcc_lo
	s_wait_dscnt 0x0
	s_delay_alu instid0(VALU_DEP_1)
	v_fmac_f32_e32 v14, v15, v18
	v_cmpx_ne_u32_e32 4, v0
	s_cbranch_execz .LBB11_249
; %bb.242:
	v_add_nc_u32_e32 v15, 5, v0
	ds_load_b32 v18, v54 offset:20
	v_cmp_eq_u32_e32 vcc_lo, 1, v15
	v_cndmask_b32_e32 v17, v2, v3, vcc_lo
	v_cmp_eq_u32_e32 vcc_lo, 2, v15
	s_delay_alu instid0(VALU_DEP_2) | instskip(SKIP_1) | instid1(VALU_DEP_2)
	v_cndmask_b32_e32 v17, v17, v4, vcc_lo
	v_cmp_eq_u32_e32 vcc_lo, 3, v15
	v_cndmask_b32_e32 v17, v17, v5, vcc_lo
	v_cmp_eq_u32_e32 vcc_lo, 4, v15
	s_delay_alu instid0(VALU_DEP_2) | instskip(SKIP_1) | instid1(VALU_DEP_2)
	v_cndmask_b32_e32 v17, v17, v6, vcc_lo
	;; [unrolled: 5-line block ×5, first 2 shown]
	v_cmp_eq_u32_e32 vcc_lo, 11, v15
	v_cndmask_b32_e32 v15, v17, v13, vcc_lo
	s_wait_dscnt 0x0
	s_delay_alu instid0(VALU_DEP_1)
	v_fmac_f32_e32 v14, v15, v18
	s_and_saveexec_b32 s8, s1
	s_cbranch_execz .LBB11_248
; %bb.243:
	v_add_nc_u32_e32 v15, 6, v0
	ds_load_b32 v18, v54 offset:24
	s_mov_b32 s1, exec_lo
	v_cmp_eq_u32_e32 vcc_lo, 1, v15
	v_cndmask_b32_e32 v17, v2, v3, vcc_lo
	v_cmp_eq_u32_e32 vcc_lo, 2, v15
	s_delay_alu instid0(VALU_DEP_2) | instskip(SKIP_1) | instid1(VALU_DEP_2)
	v_cndmask_b32_e32 v17, v17, v4, vcc_lo
	v_cmp_eq_u32_e32 vcc_lo, 3, v15
	v_cndmask_b32_e32 v17, v17, v5, vcc_lo
	v_cmp_eq_u32_e32 vcc_lo, 4, v15
	s_delay_alu instid0(VALU_DEP_2) | instskip(SKIP_1) | instid1(VALU_DEP_2)
	v_cndmask_b32_e32 v17, v17, v6, vcc_lo
	;; [unrolled: 5-line block ×5, first 2 shown]
	v_cmp_eq_u32_e32 vcc_lo, 11, v15
	v_cndmask_b32_e32 v15, v17, v13, vcc_lo
	s_wait_dscnt 0x0
	s_delay_alu instid0(VALU_DEP_1)
	v_fmac_f32_e32 v14, v15, v18
	v_cmpx_ne_u32_e32 2, v0
	s_cbranch_execz .LBB11_247
; %bb.244:
	v_add_nc_u32_e32 v15, 7, v0
	ds_load_b32 v18, v54 offset:28
	v_cmp_eq_u32_e32 vcc_lo, 1, v15
	v_cndmask_b32_e32 v17, v2, v3, vcc_lo
	v_cmp_eq_u32_e32 vcc_lo, 2, v15
	s_delay_alu instid0(VALU_DEP_2) | instskip(SKIP_1) | instid1(VALU_DEP_2)
	v_cndmask_b32_e32 v17, v17, v4, vcc_lo
	v_cmp_eq_u32_e32 vcc_lo, 3, v15
	v_cndmask_b32_e32 v17, v17, v5, vcc_lo
	v_cmp_eq_u32_e32 vcc_lo, 4, v15
	s_delay_alu instid0(VALU_DEP_2) | instskip(SKIP_1) | instid1(VALU_DEP_2)
	v_cndmask_b32_e32 v17, v17, v6, vcc_lo
	;; [unrolled: 5-line block ×5, first 2 shown]
	v_cmp_eq_u32_e32 vcc_lo, 11, v15
	v_cndmask_b32_e32 v11, v11, v13, vcc_lo
	s_wait_dscnt 0x0
	s_delay_alu instid0(VALU_DEP_1)
	v_fmac_f32_e32 v14, v11, v18
	s_and_saveexec_b32 s9, s0
	s_cbranch_execz .LBB11_246
; %bb.245:
	ds_load_b32 v11, v54 offset:32
	s_wait_dscnt 0x0
	v_fmac_f32_e32 v14, v10, v11
.LBB11_246:
	s_or_b32 exec_lo, exec_lo, s9
.LBB11_247:
	s_delay_alu instid0(SALU_CYCLE_1)
	s_or_b32 exec_lo, exec_lo, s1
.LBB11_248:
	s_delay_alu instid0(SALU_CYCLE_1)
	s_or_b32 exec_lo, exec_lo, s8
.LBB11_249:
	s_delay_alu instid0(SALU_CYCLE_1)
	s_or_b32 exec_lo, exec_lo, s2
.LBB11_250:
	s_delay_alu instid0(SALU_CYCLE_1)
	s_or_b32 exec_lo, exec_lo, s7
.LBB11_251:
	s_delay_alu instid0(SALU_CYCLE_1)
	s_or_b32 exec_lo, exec_lo, s3
.LBB11_252:
	s_delay_alu instid0(SALU_CYCLE_1)
	s_or_b32 exec_lo, exec_lo, s6
.LBB11_253:
	s_delay_alu instid0(SALU_CYCLE_1)
	s_or_b32 exec_lo, exec_lo, s5
	v_mov_b32_e32 v11, 0
	ds_load_b32 v11, v11 offset:36
	s_wait_dscnt 0x0
	v_mul_f32_e32 v11, v14, v11
.LBB11_254:
	s_or_b32 exec_lo, exec_lo, s4
	v_cmp_gt_u32_e64 s0, 10, v0
	ds_store_b32 v54, v12
	s_wait_dscnt 0x0
	s_barrier_signal -1
	s_barrier_wait -1
	s_and_saveexec_b32 s1, s0
	s_cbranch_execz .LBB11_264
; %bb.255:
	v_cmp_ne_u32_e32 vcc_lo, 1, v16
	s_cbranch_vccnz .LBB11_257
; %bb.256:
	v_cmp_eq_u32_e32 vcc_lo, 1, v0
	ds_load_b32 v15, v54
	v_cndmask_b32_e32 v14, v2, v3, vcc_lo
	v_cmp_eq_u32_e32 vcc_lo, 2, v0
	s_delay_alu instid0(VALU_DEP_2) | instskip(SKIP_1) | instid1(VALU_DEP_2)
	v_cndmask_b32_e32 v14, v14, v4, vcc_lo
	v_cmp_eq_u32_e32 vcc_lo, 3, v0
	v_cndmask_b32_e32 v14, v14, v5, vcc_lo
	v_cmp_eq_u32_e32 vcc_lo, 4, v0
	s_delay_alu instid0(VALU_DEP_2) | instskip(SKIP_1) | instid1(VALU_DEP_2)
	v_cndmask_b32_e32 v14, v14, v6, vcc_lo
	v_cmp_eq_u32_e32 vcc_lo, 5, v0
	;; [unrolled: 5-line block ×5, first 2 shown]
	v_cndmask_b32_e32 v14, v14, v13, vcc_lo
	s_wait_dscnt 0x0
	s_delay_alu instid0(VALU_DEP_1)
	v_mul_f32_e32 v17, v14, v15
	s_cbranch_execz .LBB11_258
	s_branch .LBB11_259
.LBB11_257:
                                        ; implicit-def: $vgpr17
.LBB11_258:
	ds_load_b32 v17, v54
.LBB11_259:
	s_mov_b32 s2, exec_lo
	v_cmpx_ne_u32_e32 9, v0
	s_cbranch_execz .LBB11_263
; %bb.260:
	v_mov_b64_e32 v[14:15], v[0:1]
	v_lshl_add_u32 v18, v0, 2, 52
	s_mov_b32 s3, 0
.LBB11_261:                             ; =>This Inner Loop Header: Depth=1
	s_delay_alu instid0(VALU_DEP_2)
	v_add_nc_u64_e32 v[14:15], 1, v[14:15]
	ds_load_b32 v20, v18
	v_add_nc_u32_e32 v18, 4, v18
	v_cmp_eq_u32_e32 vcc_lo, 1, v14
	v_cndmask_b32_e32 v19, v2, v3, vcc_lo
	v_cmp_eq_u32_e32 vcc_lo, 2, v14
	s_delay_alu instid0(VALU_DEP_2) | instskip(SKIP_1) | instid1(VALU_DEP_2)
	v_cndmask_b32_e32 v19, v19, v4, vcc_lo
	v_cmp_eq_u32_e32 vcc_lo, 3, v14
	v_cndmask_b32_e32 v19, v19, v5, vcc_lo
	v_cmp_eq_u32_e32 vcc_lo, 4, v14
	s_delay_alu instid0(VALU_DEP_2) | instskip(SKIP_1) | instid1(VALU_DEP_2)
	v_cndmask_b32_e32 v19, v19, v6, vcc_lo
	;; [unrolled: 5-line block ×5, first 2 shown]
	v_cmp_eq_u32_e32 vcc_lo, 11, v14
	v_cndmask_b32_e32 v19, v19, v13, vcc_lo
	v_cmp_lt_u32_e32 vcc_lo, 8, v14
	s_wait_dscnt 0x0
	s_delay_alu instid0(VALU_DEP_2) | instskip(SKIP_1) | instid1(SALU_CYCLE_1)
	v_fmac_f32_e32 v17, v19, v20
	s_or_b32 s3, vcc_lo, s3
	s_and_not1_b32 exec_lo, exec_lo, s3
	s_cbranch_execnz .LBB11_261
; %bb.262:
	s_or_b32 exec_lo, exec_lo, s3
.LBB11_263:
	s_delay_alu instid0(SALU_CYCLE_1)
	s_or_b32 exec_lo, exec_lo, s2
	v_mov_b32_e32 v12, 0
	ds_load_b32 v12, v12 offset:40
	s_wait_dscnt 0x0
	v_mul_f32_e32 v12, v17, v12
.LBB11_264:
	s_or_b32 exec_lo, exec_lo, s1
	s_delay_alu instid0(SALU_CYCLE_1)
	s_mov_b32 s1, exec_lo
	ds_store_b32 v54, v13
	s_wait_dscnt 0x0
	s_barrier_signal -1
	s_barrier_wait -1
	v_cmpx_ne_u32_e32 11, v0
	s_cbranch_execz .LBB11_274
; %bb.265:
	v_cmp_ne_u32_e32 vcc_lo, 1, v16
	s_cbranch_vccnz .LBB11_267
; %bb.266:
	v_cmp_eq_u32_e32 vcc_lo, 1, v0
	ds_load_b32 v15, v54
	v_cndmask_b32_e32 v14, v2, v3, vcc_lo
	v_cmp_eq_u32_e32 vcc_lo, 2, v0
	s_delay_alu instid0(VALU_DEP_2) | instskip(SKIP_1) | instid1(VALU_DEP_2)
	v_cndmask_b32_e32 v14, v14, v4, vcc_lo
	v_cmp_eq_u32_e32 vcc_lo, 3, v0
	v_cndmask_b32_e32 v14, v14, v5, vcc_lo
	v_cmp_eq_u32_e32 vcc_lo, 4, v0
	s_delay_alu instid0(VALU_DEP_2) | instskip(SKIP_1) | instid1(VALU_DEP_2)
	v_cndmask_b32_e32 v14, v14, v6, vcc_lo
	v_cmp_eq_u32_e32 vcc_lo, 5, v0
	;; [unrolled: 5-line block ×5, first 2 shown]
	v_cndmask_b32_e32 v14, v14, v13, vcc_lo
	s_wait_dscnt 0x0
	s_delay_alu instid0(VALU_DEP_1)
	v_mul_f32_e32 v14, v14, v15
	s_cbranch_execz .LBB11_268
	s_branch .LBB11_269
.LBB11_267:
                                        ; implicit-def: $vgpr14
.LBB11_268:
	ds_load_b32 v14, v54
.LBB11_269:
	s_and_saveexec_b32 s2, s0
	s_cbranch_execz .LBB11_273
; %bb.270:
	v_lshl_add_u32 v15, v0, 2, 52
	s_mov_b32 s0, 0
.LBB11_271:                             ; =>This Inner Loop Header: Depth=1
	v_add_nc_u64_e32 v[0:1], 1, v[0:1]
	ds_load_b32 v17, v15
	v_add_nc_u32_e32 v15, 4, v15
	v_cmp_eq_u32_e32 vcc_lo, 1, v0
	v_cndmask_b32_e32 v16, v2, v3, vcc_lo
	v_cmp_eq_u32_e32 vcc_lo, 2, v0
	s_delay_alu instid0(VALU_DEP_2) | instskip(SKIP_1) | instid1(VALU_DEP_2)
	v_cndmask_b32_e32 v16, v16, v4, vcc_lo
	v_cmp_eq_u32_e32 vcc_lo, 3, v0
	v_cndmask_b32_e32 v16, v16, v5, vcc_lo
	v_cmp_eq_u32_e32 vcc_lo, 4, v0
	s_delay_alu instid0(VALU_DEP_2) | instskip(SKIP_1) | instid1(VALU_DEP_2)
	v_cndmask_b32_e32 v16, v16, v6, vcc_lo
	;; [unrolled: 5-line block ×5, first 2 shown]
	v_cmp_eq_u32_e32 vcc_lo, 11, v0
	v_cndmask_b32_e32 v16, v16, v13, vcc_lo
	v_cmp_lt_u32_e32 vcc_lo, 9, v0
	s_wait_dscnt 0x0
	s_delay_alu instid0(VALU_DEP_2) | instskip(SKIP_1) | instid1(SALU_CYCLE_1)
	v_fmac_f32_e32 v14, v16, v17
	s_or_b32 s0, vcc_lo, s0
	s_and_not1_b32 exec_lo, exec_lo, s0
	s_cbranch_execnz .LBB11_271
; %bb.272:
	s_or_b32 exec_lo, exec_lo, s0
.LBB11_273:
	s_delay_alu instid0(SALU_CYCLE_1)
	s_or_b32 exec_lo, exec_lo, s2
	v_mov_b32_e32 v0, 0
	ds_load_b32 v0, v0 offset:44
	s_wait_dscnt 0x0
	v_mul_f32_e32 v13, v14, v0
.LBB11_274:
	s_or_b32 exec_lo, exec_lo, s1
	s_delay_alu instid0(VALU_DEP_1)
	v_mov_b64_e32 v[24:25], v[12:13]
	v_mov_b64_e32 v[22:23], v[10:11]
	;; [unrolled: 1-line block ×6, first 2 shown]
.LBB11_275:
	s_wait_xcnt 0x3
	v_lshl_add_u64 v[0:1], v[26:27], 2, s[14:15]
	s_wait_loadcnt 0x3
	v_lshl_add_u64 v[2:3], v[28:29], 2, s[14:15]
	v_lshl_add_u64 v[4:5], v[30:31], 2, s[14:15]
	v_lshl_add_u64 v[6:7], v[32:33], 2, s[14:15]
	v_lshl_add_u64 v[8:9], v[34:35], 2, s[14:15]
	s_wait_loadcnt 0x2
	v_lshl_add_u64 v[10:11], v[36:37], 2, s[14:15]
	s_wait_loadcnt 0x0
	v_lshl_add_u64 v[12:13], v[40:41], 2, s[14:15]
	v_lshl_add_u64 v[26:27], v[44:45], 2, s[14:15]
	;; [unrolled: 1-line block ×4, first 2 shown]
	s_clause 0xb
	global_store_b32 v[38:39], v14, off
	global_store_b32 v[42:43], v15, off
	;; [unrolled: 1-line block ×12, first 2 shown]
.LBB11_276:
	s_endpgm
	.section	.rodata,"a",@progbits
	.p2align	6, 0x0
	.amdhsa_kernel _ZN9rocsolver6v33100L18trti2_kernel_smallILi12EfPfEEv13rocblas_fill_17rocblas_diagonal_T1_iil
		.amdhsa_group_segment_fixed_size 96
		.amdhsa_private_segment_fixed_size 0
		.amdhsa_kernarg_size 32
		.amdhsa_user_sgpr_count 2
		.amdhsa_user_sgpr_dispatch_ptr 0
		.amdhsa_user_sgpr_queue_ptr 0
		.amdhsa_user_sgpr_kernarg_segment_ptr 1
		.amdhsa_user_sgpr_dispatch_id 0
		.amdhsa_user_sgpr_kernarg_preload_length 0
		.amdhsa_user_sgpr_kernarg_preload_offset 0
		.amdhsa_user_sgpr_private_segment_size 0
		.amdhsa_wavefront_size32 1
		.amdhsa_uses_dynamic_stack 0
		.amdhsa_enable_private_segment 0
		.amdhsa_system_sgpr_workgroup_id_x 1
		.amdhsa_system_sgpr_workgroup_id_y 0
		.amdhsa_system_sgpr_workgroup_id_z 0
		.amdhsa_system_sgpr_workgroup_info 0
		.amdhsa_system_vgpr_workitem_id 0
		.amdhsa_next_free_vgpr 64
		.amdhsa_next_free_sgpr 20
		.amdhsa_named_barrier_count 0
		.amdhsa_reserve_vcc 1
		.amdhsa_float_round_mode_32 0
		.amdhsa_float_round_mode_16_64 0
		.amdhsa_float_denorm_mode_32 3
		.amdhsa_float_denorm_mode_16_64 3
		.amdhsa_fp16_overflow 0
		.amdhsa_memory_ordered 1
		.amdhsa_forward_progress 1
		.amdhsa_inst_pref_size 101
		.amdhsa_round_robin_scheduling 0
		.amdhsa_exception_fp_ieee_invalid_op 0
		.amdhsa_exception_fp_denorm_src 0
		.amdhsa_exception_fp_ieee_div_zero 0
		.amdhsa_exception_fp_ieee_overflow 0
		.amdhsa_exception_fp_ieee_underflow 0
		.amdhsa_exception_fp_ieee_inexact 0
		.amdhsa_exception_int_div_zero 0
	.end_amdhsa_kernel
	.section	.text._ZN9rocsolver6v33100L18trti2_kernel_smallILi12EfPfEEv13rocblas_fill_17rocblas_diagonal_T1_iil,"axG",@progbits,_ZN9rocsolver6v33100L18trti2_kernel_smallILi12EfPfEEv13rocblas_fill_17rocblas_diagonal_T1_iil,comdat
.Lfunc_end11:
	.size	_ZN9rocsolver6v33100L18trti2_kernel_smallILi12EfPfEEv13rocblas_fill_17rocblas_diagonal_T1_iil, .Lfunc_end11-_ZN9rocsolver6v33100L18trti2_kernel_smallILi12EfPfEEv13rocblas_fill_17rocblas_diagonal_T1_iil
                                        ; -- End function
	.set _ZN9rocsolver6v33100L18trti2_kernel_smallILi12EfPfEEv13rocblas_fill_17rocblas_diagonal_T1_iil.num_vgpr, 64
	.set _ZN9rocsolver6v33100L18trti2_kernel_smallILi12EfPfEEv13rocblas_fill_17rocblas_diagonal_T1_iil.num_agpr, 0
	.set _ZN9rocsolver6v33100L18trti2_kernel_smallILi12EfPfEEv13rocblas_fill_17rocblas_diagonal_T1_iil.numbered_sgpr, 20
	.set _ZN9rocsolver6v33100L18trti2_kernel_smallILi12EfPfEEv13rocblas_fill_17rocblas_diagonal_T1_iil.num_named_barrier, 0
	.set _ZN9rocsolver6v33100L18trti2_kernel_smallILi12EfPfEEv13rocblas_fill_17rocblas_diagonal_T1_iil.private_seg_size, 0
	.set _ZN9rocsolver6v33100L18trti2_kernel_smallILi12EfPfEEv13rocblas_fill_17rocblas_diagonal_T1_iil.uses_vcc, 1
	.set _ZN9rocsolver6v33100L18trti2_kernel_smallILi12EfPfEEv13rocblas_fill_17rocblas_diagonal_T1_iil.uses_flat_scratch, 0
	.set _ZN9rocsolver6v33100L18trti2_kernel_smallILi12EfPfEEv13rocblas_fill_17rocblas_diagonal_T1_iil.has_dyn_sized_stack, 0
	.set _ZN9rocsolver6v33100L18trti2_kernel_smallILi12EfPfEEv13rocblas_fill_17rocblas_diagonal_T1_iil.has_recursion, 0
	.set _ZN9rocsolver6v33100L18trti2_kernel_smallILi12EfPfEEv13rocblas_fill_17rocblas_diagonal_T1_iil.has_indirect_call, 0
	.section	.AMDGPU.csdata,"",@progbits
; Kernel info:
; codeLenInByte = 12868
; TotalNumSgprs: 22
; NumVgprs: 64
; ScratchSize: 0
; MemoryBound: 0
; FloatMode: 240
; IeeeMode: 1
; LDSByteSize: 96 bytes/workgroup (compile time only)
; SGPRBlocks: 0
; VGPRBlocks: 3
; NumSGPRsForWavesPerEU: 22
; NumVGPRsForWavesPerEU: 64
; NamedBarCnt: 0
; Occupancy: 16
; WaveLimiterHint : 0
; COMPUTE_PGM_RSRC2:SCRATCH_EN: 0
; COMPUTE_PGM_RSRC2:USER_SGPR: 2
; COMPUTE_PGM_RSRC2:TRAP_HANDLER: 0
; COMPUTE_PGM_RSRC2:TGID_X_EN: 1
; COMPUTE_PGM_RSRC2:TGID_Y_EN: 0
; COMPUTE_PGM_RSRC2:TGID_Z_EN: 0
; COMPUTE_PGM_RSRC2:TIDIG_COMP_CNT: 0
	.section	.text._ZN9rocsolver6v33100L18trti2_kernel_smallILi13EfPfEEv13rocblas_fill_17rocblas_diagonal_T1_iil,"axG",@progbits,_ZN9rocsolver6v33100L18trti2_kernel_smallILi13EfPfEEv13rocblas_fill_17rocblas_diagonal_T1_iil,comdat
	.globl	_ZN9rocsolver6v33100L18trti2_kernel_smallILi13EfPfEEv13rocblas_fill_17rocblas_diagonal_T1_iil ; -- Begin function _ZN9rocsolver6v33100L18trti2_kernel_smallILi13EfPfEEv13rocblas_fill_17rocblas_diagonal_T1_iil
	.p2align	8
	.type	_ZN9rocsolver6v33100L18trti2_kernel_smallILi13EfPfEEv13rocblas_fill_17rocblas_diagonal_T1_iil,@function
_ZN9rocsolver6v33100L18trti2_kernel_smallILi13EfPfEEv13rocblas_fill_17rocblas_diagonal_T1_iil: ; @_ZN9rocsolver6v33100L18trti2_kernel_smallILi13EfPfEEv13rocblas_fill_17rocblas_diagonal_T1_iil
; %bb.0:
	s_mov_b32 s2, exec_lo
	v_cmpx_gt_u32_e32 13, v0
	s_cbranch_execz .LBB12_302
; %bb.1:
	s_load_b256 s[16:23], s[0:1], 0x0
	s_wait_xcnt 0x0
	s_bfe_u32 s0, ttmp6, 0x4000c
	s_and_b32 s1, ttmp6, 15
	s_add_co_i32 s0, s0, 1
	s_getreg_b32 s2, hwreg(HW_REG_IB_STS2, 6, 4)
	s_mul_i32 s0, ttmp9, s0
	v_mov_b32_e32 v1, 0
	s_add_co_i32 s0, s1, s0
	s_delay_alu instid0(VALU_DEP_1)
	v_dual_mov_b32 v19, v1 :: v_dual_lshlrev_b32 v18, 2, v0
	s_wait_kmcnt 0x0
	v_add3_u32 v34, s21, s21, v0
	s_ashr_i32 s1, s20, 31
	s_cmp_eq_u32 s2, 0
	s_cselect_b32 s2, ttmp9, s0
	s_delay_alu instid0(VALU_DEP_1)
	v_add_nc_u32_e32 v36, s21, v34
	s_ashr_i32 s3, s2, 31
	s_mov_b32 s0, s20
	s_mul_u64 s[2:3], s[22:23], s[2:3]
	s_lshl_b64 s[0:1], s[0:1], 2
	v_add_nc_u32_e32 v38, s21, v36
	s_lshl_b64 s[2:3], s[2:3], 2
	s_delay_alu instid0(SALU_CYCLE_1) | instskip(NEXT) | instid1(VALU_DEP_1)
	s_add_nc_u64 s[2:3], s[18:19], s[2:3]
	v_add_nc_u32_e32 v40, s21, v38
	s_add_nc_u64 s[14:15], s[2:3], s[0:1]
	s_mov_b32 s0, s21
	s_ashr_i32 s1, s21, 31
	s_cmp_lg_u32 s17, 0x84
	v_add_nc_u32_e32 v42, s21, v40
	v_add_nc_u64_e32 v[44:45], s[14:15], v[18:19]
	s_cselect_b32 s13, -1, 0
	s_cmp_eq_u32 s17, 0x84
	s_delay_alu instid0(VALU_DEP_2) | instskip(NEXT) | instid1(VALU_DEP_2)
	v_dual_mov_b32 v19, -1.0 :: v_dual_add_nc_u32 v46, s21, v42
	v_lshl_add_u64 v[50:51], s[0:1], 2, v[44:45]
	v_cmp_eq_u32_e64 s0, 0, v0
	s_delay_alu instid0(VALU_DEP_3) | instskip(NEXT) | instid1(VALU_DEP_1)
	v_add_nc_u32_e32 v48, s21, v46
	v_add_nc_u32_e32 v52, s21, v48
	s_clause 0x7
	global_load_b32 v3, v[50:51], off
	global_load_b32 v4, v34, s[14:15] scale_offset
	global_load_b32 v5, v36, s[14:15] scale_offset
	;; [unrolled: 1-line block ×7, first 2 shown]
	v_add_nc_u32_e32 v54, s21, v52
	s_delay_alu instid0(VALU_DEP_1) | instskip(NEXT) | instid1(VALU_DEP_1)
	v_add_nc_u32_e32 v56, s21, v54
	v_add_nc_u32_e32 v58, s21, v56
	s_clause 0x4
	global_load_b32 v2, v0, s[14:15] scale_offset
	global_load_b32 v11, v52, s[14:15] scale_offset
	;; [unrolled: 1-line block ×5, first 2 shown]
	s_cbranch_scc1 .LBB12_3
; %bb.2:
	v_cmp_eq_u32_e64 s1, 1, v0
	v_cmp_eq_u32_e64 s2, 2, v0
	;; [unrolled: 1-line block ×5, first 2 shown]
	s_wait_loadcnt 0x4
	v_cndmask_b32_e64 v15, v2, v3, s1
	v_cmp_eq_u32_e64 s6, 6, v0
	v_cmp_eq_u32_e64 s7, 7, v0
	;; [unrolled: 1-line block ×4, first 2 shown]
	v_cndmask_b32_e64 v15, v15, v4, s2
	v_cmp_eq_u32_e64 s10, 10, v0
	v_cmp_eq_u32_e64 s11, 11, v0
	;; [unrolled: 1-line block ×3, first 2 shown]
	s_delay_alu instid0(VALU_DEP_4) | instskip(NEXT) | instid1(VALU_DEP_1)
	v_cndmask_b32_e64 v15, v15, v5, s3
	v_cndmask_b32_e64 v15, v15, v6, s4
	s_delay_alu instid0(VALU_DEP_1) | instskip(NEXT) | instid1(VALU_DEP_1)
	v_cndmask_b32_e64 v15, v15, v7, s5
	v_cndmask_b32_e64 v15, v15, v8, s6
	s_delay_alu instid0(VALU_DEP_1) | instskip(NEXT) | instid1(VALU_DEP_1)
	v_cndmask_b32_e64 v15, v15, v9, s7
	v_cndmask_b32_e64 v15, v15, v10, s8
	s_wait_loadcnt 0x3
	s_delay_alu instid0(VALU_DEP_1) | instskip(SKIP_1) | instid1(VALU_DEP_1)
	v_cndmask_b32_e64 v15, v15, v11, s9
	s_wait_loadcnt 0x2
	v_cndmask_b32_e64 v15, v15, v12, s10
	s_wait_loadcnt 0x1
	s_delay_alu instid0(VALU_DEP_1) | instskip(SKIP_1) | instid1(VALU_DEP_1)
	v_cndmask_b32_e64 v15, v15, v13, s11
	s_wait_loadcnt 0x0
	v_cndmask_b32_e64 v15, v15, v14, s12
	s_delay_alu instid0(VALU_DEP_1) | instskip(SKIP_1) | instid1(VALU_DEP_2)
	v_div_scale_f32 v16, null, v15, v15, 1.0
	v_div_scale_f32 v20, vcc_lo, 1.0, v15, 1.0
	v_rcp_f32_e32 v17, v16
	v_nop
	s_delay_alu instid0(TRANS32_DEP_1) | instskip(NEXT) | instid1(VALU_DEP_1)
	v_fma_f32 v19, -v16, v17, 1.0
	v_fmac_f32_e32 v17, v19, v17
	s_delay_alu instid0(VALU_DEP_1) | instskip(NEXT) | instid1(VALU_DEP_1)
	v_mul_f32_e32 v19, v20, v17
	v_fma_f32 v21, -v16, v19, v20
	s_delay_alu instid0(VALU_DEP_1) | instskip(NEXT) | instid1(VALU_DEP_1)
	v_fmac_f32_e32 v19, v21, v17
	v_fma_f32 v16, -v16, v19, v20
	s_delay_alu instid0(VALU_DEP_1) | instskip(NEXT) | instid1(VALU_DEP_1)
	v_div_fmas_f32 v16, v16, v17, v19
	v_div_fixup_f32 v15, v16, v15, 1.0
	s_delay_alu instid0(VALU_DEP_1)
	v_dual_cndmask_b32 v14, v14, v15, s12 :: v_dual_cndmask_b32 v13, v13, v15, s11
	v_dual_cndmask_b32 v12, v12, v15, s10 :: v_dual_cndmask_b32 v11, v11, v15, s9
	;; [unrolled: 1-line block ×6, first 2 shown]
	v_cndmask_b32_e64 v2, v2, v15, s0
	v_xor_b32_e32 v19, 0x80000000, v15
.LBB12_3:
	v_dual_ashrrev_i32 v35, 31, v34 :: v_dual_ashrrev_i32 v37, 31, v36
	v_dual_ashrrev_i32 v39, 31, v38 :: v_dual_ashrrev_i32 v41, 31, v40
	;; [unrolled: 1-line block ×5, first 2 shown]
	v_ashrrev_i32_e32 v59, 31, v58
	v_add_nc_u32_e32 v64, 64, v18
	s_cmp_eq_u32 s16, 0x79
	ds_store_b32 v18, v19
	s_cbranch_scc1 .LBB12_7
; %bb.4:
	s_wait_loadcnt 0x0
	v_mov_b64_e32 v[32:33], v[16:17]
	v_mov_b64_e32 v[30:31], v[14:15]
	;; [unrolled: 1-line block ×8, first 2 shown]
	v_cmp_eq_u32_e64 s1, 12, v0
	ds_store_b32 v64, v13
	s_wait_dscnt 0x0
	s_barrier_signal -1
	s_barrier_wait -1
	s_and_saveexec_b32 s0, s1
	s_cbranch_execz .LBB12_11
; %bb.5:
	s_and_b32 vcc_lo, exec_lo, s13
	s_cbranch_vccz .LBB12_8
; %bb.6:
	v_cmp_eq_u32_e32 vcc_lo, 1, v0
	ds_load_b32 v19, v64
	v_cndmask_b32_e32 v18, v2, v3, vcc_lo
	v_cmp_eq_u32_e32 vcc_lo, 2, v0
	s_delay_alu instid0(VALU_DEP_2) | instskip(SKIP_1) | instid1(VALU_DEP_2)
	v_cndmask_b32_e32 v18, v18, v4, vcc_lo
	v_cmp_eq_u32_e32 vcc_lo, 3, v0
	v_cndmask_b32_e32 v18, v18, v5, vcc_lo
	v_cmp_eq_u32_e32 vcc_lo, 4, v0
	s_delay_alu instid0(VALU_DEP_2) | instskip(SKIP_1) | instid1(VALU_DEP_2)
	v_cndmask_b32_e32 v18, v18, v6, vcc_lo
	v_cmp_eq_u32_e32 vcc_lo, 5, v0
	;; [unrolled: 5-line block ×5, first 2 shown]
	v_cndmask_b32_e32 v18, v18, v13, vcc_lo
	v_cmp_eq_u32_e32 vcc_lo, 12, v0
	s_delay_alu instid0(VALU_DEP_2) | instskip(SKIP_1) | instid1(VALU_DEP_1)
	v_cndmask_b32_e32 v18, v18, v14, vcc_lo
	s_wait_dscnt 0x0
	v_mul_f32_e32 v29, v18, v19
	s_cbranch_execz .LBB12_9
	s_branch .LBB12_10
.LBB12_7:
                                        ; implicit-def: $vgpr18_vgpr19_vgpr20_vgpr21_vgpr22_vgpr23_vgpr24_vgpr25_vgpr26_vgpr27_vgpr28_vgpr29_vgpr30_vgpr31_vgpr32_vgpr33
	s_cbranch_execnz .LBB12_178
	s_branch .LBB12_301
.LBB12_8:
                                        ; implicit-def: $vgpr29
.LBB12_9:
	ds_load_b32 v29, v64
.LBB12_10:
	v_dual_mov_b32 v18, 0 :: v_dual_mov_b32 v19, v3
	v_dual_mov_b32 v21, v5 :: v_dual_mov_b32 v22, v6
	;; [unrolled: 1-line block ×3, first 2 shown]
	ds_load_b32 v30, v18 offset:44
	v_dual_mov_b32 v18, v2 :: v_dual_mov_b32 v20, v4
	v_dual_mov_b32 v25, v9 :: v_dual_mov_b32 v26, v10
	;; [unrolled: 1-line block ×3, first 2 shown]
	s_wait_dscnt 0x0
	v_dual_mul_f32 v29, v29, v30 :: v_dual_mov_b32 v30, v14
.LBB12_11:
	s_or_b32 exec_lo, exec_lo, s0
	v_cmp_lt_u32_e64 s0, 10, v0
	ds_store_b32 v64, v28
	s_wait_dscnt 0x0
	s_barrier_signal -1
	s_barrier_wait -1
	s_and_saveexec_b32 s2, s0
	s_cbranch_execz .LBB12_17
; %bb.12:
	s_and_not1_b32 vcc_lo, exec_lo, s13
	s_cbranch_vccnz .LBB12_14
; %bb.13:
	v_cmp_eq_u32_e32 vcc_lo, 1, v0
	ds_load_b32 v32, v64
	v_cndmask_b32_e32 v31, v18, v19, vcc_lo
	v_cmp_eq_u32_e32 vcc_lo, 2, v0
	s_delay_alu instid0(VALU_DEP_2) | instskip(SKIP_1) | instid1(VALU_DEP_2)
	v_cndmask_b32_e32 v31, v31, v20, vcc_lo
	v_cmp_eq_u32_e32 vcc_lo, 3, v0
	v_cndmask_b32_e32 v31, v31, v21, vcc_lo
	v_cmp_eq_u32_e32 vcc_lo, 4, v0
	s_delay_alu instid0(VALU_DEP_2) | instskip(SKIP_1) | instid1(VALU_DEP_2)
	v_cndmask_b32_e32 v31, v31, v22, vcc_lo
	v_cmp_eq_u32_e32 vcc_lo, 5, v0
	;; [unrolled: 5-line block ×5, first 2 shown]
	v_cndmask_b32_e32 v28, v28, v29, vcc_lo
	v_cmp_eq_u32_e32 vcc_lo, 12, v0
	s_delay_alu instid0(VALU_DEP_2) | instskip(SKIP_1) | instid1(VALU_DEP_1)
	v_cndmask_b32_e32 v28, v28, v30, vcc_lo
	s_wait_dscnt 0x0
	v_mul_f32_e32 v28, v28, v32
	s_cbranch_execz .LBB12_15
	s_branch .LBB12_16
.LBB12_14:
                                        ; implicit-def: $vgpr28
.LBB12_15:
	ds_load_b32 v28, v64
.LBB12_16:
	v_mov_b32_e32 v31, 0
	ds_load_2addr_b32 v[32:33], v31 offset0:10 offset1:27
	s_wait_dscnt 0x0
	v_fma_f32 v31, v29, v33, v28
	s_delay_alu instid0(VALU_DEP_1) | instskip(NEXT) | instid1(VALU_DEP_1)
	v_cndmask_b32_e64 v28, v28, v31, s1
	v_mul_f32_e32 v28, v28, v32
.LBB12_17:
	s_or_b32 exec_lo, exec_lo, s2
	v_cmp_lt_u32_e64 s1, 9, v0
	ds_store_b32 v64, v27
	s_wait_dscnt 0x0
	s_barrier_signal -1
	s_barrier_wait -1
	s_and_saveexec_b32 s4, s1
	s_cbranch_execz .LBB12_33
; %bb.18:
	s_and_not1_b32 vcc_lo, exec_lo, s13
	s_cbranch_vccnz .LBB12_20
; %bb.19:
	v_cmp_eq_u32_e32 vcc_lo, 1, v0
	ds_load_b32 v61, v64
	v_cndmask_b32_e32 v60, v18, v19, vcc_lo
	v_cmp_eq_u32_e32 vcc_lo, 2, v0
	s_delay_alu instid0(VALU_DEP_2) | instskip(SKIP_1) | instid1(VALU_DEP_2)
	v_cndmask_b32_e32 v60, v60, v20, vcc_lo
	v_cmp_eq_u32_e32 vcc_lo, 3, v0
	v_cndmask_b32_e32 v60, v60, v21, vcc_lo
	v_cmp_eq_u32_e32 vcc_lo, 4, v0
	s_delay_alu instid0(VALU_DEP_2) | instskip(SKIP_1) | instid1(VALU_DEP_2)
	v_cndmask_b32_e32 v60, v60, v22, vcc_lo
	v_cmp_eq_u32_e32 vcc_lo, 5, v0
	;; [unrolled: 5-line block ×5, first 2 shown]
	v_cndmask_b32_e32 v60, v60, v29, vcc_lo
	v_cmp_eq_u32_e32 vcc_lo, 12, v0
	s_delay_alu instid0(VALU_DEP_2) | instskip(SKIP_1) | instid1(VALU_DEP_1)
	v_cndmask_b32_e32 v60, v60, v30, vcc_lo
	s_wait_dscnt 0x0
	v_mul_f32_e32 v63, v60, v61
	s_cbranch_execz .LBB12_21
	s_branch .LBB12_22
.LBB12_20:
                                        ; implicit-def: $vgpr63
.LBB12_21:
	ds_load_b32 v63, v64
.LBB12_22:
	s_and_saveexec_b32 s5, s0
	s_cbranch_execz .LBB12_32
; %bb.23:
	v_dual_add_nc_u32 v60, -11, v0 :: v_dual_add_nc_u32 v61, -10, v0
	s_delay_alu instid0(VALU_DEP_1)
	v_cmp_lt_u32_e32 vcc_lo, 6, v60
	v_mov_b32_e32 v60, 10
	s_and_saveexec_b32 s0, vcc_lo
	s_cbranch_execz .LBB12_27
; %bb.24:
	v_and_b32_e32 v60, -8, v61
	s_mov_b32 s6, 0
	s_mov_b64 s[2:3], 17
	s_movk_i32 s7, 0x68
	s_delay_alu instid0(VALU_DEP_1)
	v_sub_nc_u32_e32 v62, 0, v60
.LBB12_25:                              ; =>This Inner Loop Header: Depth=1
	s_add_co_i32 m0, s2, -7
	v_movrels_b32_e32 v65, v18
	v_mov_b32_e32 v60, s7
	s_add_co_i32 m0, s2, -6
	s_add_co_i32 s7, s7, 32
	v_movrels_b32_e32 v74, v18
	s_add_co_i32 m0, s2, -5
	ds_load_2addr_b64 v[66:69], v60 offset1:1
	ds_load_2addr_b64 v[70:73], v60 offset0:2 offset1:3
	v_movrels_b32_e32 v60, v18
	s_add_co_i32 m0, s2, -4
	s_wait_dscnt 0x1
	v_fmac_f32_e32 v63, v65, v66
	v_movrels_b32_e32 v65, v18
	s_add_co_i32 m0, s2, -3
	s_delay_alu instid0(VALU_DEP_2) | instskip(NEXT) | instid1(VALU_DEP_1)
	v_fmac_f32_e32 v63, v74, v67
	v_fmac_f32_e32 v63, v60, v68
	v_movrels_b32_e32 v60, v18
	s_add_co_i32 m0, s2, -2
	s_delay_alu instid0(VALU_DEP_2) | instskip(SKIP_3) | instid1(VALU_DEP_2)
	v_fmac_f32_e32 v63, v65, v69
	v_movrels_b32_e32 v65, v18
	s_add_co_i32 m0, s2, -1
	s_wait_dscnt 0x0
	v_fmac_f32_e32 v63, v60, v70
	v_movrels_b32_e32 v60, v18
	s_mov_b32 m0, s2
	s_add_nc_u64 s[2:3], s[2:3], 8
	v_movrels_b32_e32 v66, v18
	v_dual_fmac_f32 v63, v65, v71 :: v_dual_add_nc_u32 v65, s2, v62
	s_add_co_i32 s8, s2, -7
	s_delay_alu instid0(VALU_DEP_1) | instskip(NEXT) | instid1(VALU_DEP_2)
	v_fmac_f32_e32 v63, v60, v72
	v_cmp_eq_u32_e32 vcc_lo, 17, v65
	s_delay_alu instid0(VALU_DEP_2) | instskip(SKIP_1) | instid1(SALU_CYCLE_1)
	v_dual_mov_b32 v60, s8 :: v_dual_fmac_f32 v63, v66, v73
	s_or_b32 s6, vcc_lo, s6
	s_and_not1_b32 exec_lo, exec_lo, s6
	s_cbranch_execnz .LBB12_25
; %bb.26:
	s_or_b32 exec_lo, exec_lo, s6
.LBB12_27:
	s_delay_alu instid0(SALU_CYCLE_1) | instskip(SKIP_3) | instid1(VALU_DEP_1)
	s_or_b32 exec_lo, exec_lo, s0
	v_and_b32_e32 v31, 7, v61
	s_mov_b32 s2, 0
	s_mov_b32 s0, exec_lo
	v_cmpx_ne_u32_e32 0, v31
	s_cbranch_execz .LBB12_31
; %bb.28:
	v_lshl_add_u32 v32, v60, 2, 64
	v_mov_b32_e32 v61, 0
.LBB12_29:                              ; =>This Inner Loop Header: Depth=1
	v_cmp_eq_u32_e32 vcc_lo, 1, v60
	ds_load_b32 v62, v32
	v_dual_add_nc_u32 v32, 4, v32 :: v_dual_add_nc_u32 v31, -1, v31
	v_cndmask_b32_e32 v33, v18, v19, vcc_lo
	v_cmp_eq_u32_e32 vcc_lo, 2, v60
	s_delay_alu instid0(VALU_DEP_2) | instskip(SKIP_1) | instid1(VALU_DEP_2)
	v_cndmask_b32_e32 v33, v33, v20, vcc_lo
	v_cmp_eq_u32_e32 vcc_lo, 3, v60
	v_cndmask_b32_e32 v33, v33, v21, vcc_lo
	v_cmp_eq_u32_e32 vcc_lo, 4, v60
	s_delay_alu instid0(VALU_DEP_2) | instskip(SKIP_1) | instid1(VALU_DEP_2)
	v_cndmask_b32_e32 v33, v33, v22, vcc_lo
	v_cmp_eq_u32_e32 vcc_lo, 5, v60
	v_cndmask_b32_e32 v33, v33, v23, vcc_lo
	v_cmp_eq_u32_e32 vcc_lo, 6, v60
	s_delay_alu instid0(VALU_DEP_2) | instskip(SKIP_1) | instid1(VALU_DEP_2)
	v_cndmask_b32_e32 v33, v33, v24, vcc_lo
	v_cmp_eq_u32_e32 vcc_lo, 7, v60
	v_cndmask_b32_e32 v33, v33, v25, vcc_lo
	v_cmp_eq_u32_e32 vcc_lo, 8, v60
	s_delay_alu instid0(VALU_DEP_2) | instskip(SKIP_1) | instid1(VALU_DEP_2)
	v_cndmask_b32_e32 v33, v33, v26, vcc_lo
	v_cmp_eq_u32_e32 vcc_lo, 9, v60
	v_cndmask_b32_e32 v33, v33, v27, vcc_lo
	v_cmp_eq_u32_e32 vcc_lo, 10, v60
	s_delay_alu instid0(VALU_DEP_2) | instskip(SKIP_1) | instid1(VALU_DEP_2)
	v_cndmask_b32_e32 v33, v33, v28, vcc_lo
	v_cmp_eq_u32_e32 vcc_lo, 11, v60
	v_cndmask_b32_e32 v33, v33, v29, vcc_lo
	v_cmp_eq_u32_e32 vcc_lo, 12, v60
	v_add_nc_u64_e32 v[60:61], 1, v[60:61]
	s_delay_alu instid0(VALU_DEP_3) | instskip(SKIP_2) | instid1(VALU_DEP_2)
	v_cndmask_b32_e32 v33, v33, v30, vcc_lo
	v_cmp_eq_u32_e32 vcc_lo, 0, v31
	s_wait_dscnt 0x0
	v_fmac_f32_e32 v63, v33, v62
	s_or_b32 s2, vcc_lo, s2
	s_delay_alu instid0(SALU_CYCLE_1)
	s_and_not1_b32 exec_lo, exec_lo, s2
	s_cbranch_execnz .LBB12_29
; %bb.30:
	s_or_b32 exec_lo, exec_lo, s2
.LBB12_31:
	s_delay_alu instid0(SALU_CYCLE_1)
	s_or_b32 exec_lo, exec_lo, s0
.LBB12_32:
	s_delay_alu instid0(SALU_CYCLE_1)
	s_or_b32 exec_lo, exec_lo, s5
	v_mov_b32_e32 v27, 0
	ds_load_b32 v27, v27 offset:36
	s_wait_dscnt 0x0
	v_mul_f32_e32 v27, v63, v27
.LBB12_33:
	s_or_b32 exec_lo, exec_lo, s4
	v_cmp_lt_u32_e64 s0, 8, v0
	ds_store_b32 v64, v26
	s_wait_dscnt 0x0
	s_barrier_signal -1
	s_barrier_wait -1
	s_and_saveexec_b32 s4, s0
	s_cbranch_execz .LBB12_49
; %bb.34:
	s_and_not1_b32 vcc_lo, exec_lo, s13
	s_cbranch_vccnz .LBB12_36
; %bb.35:
	v_cmp_eq_u32_e32 vcc_lo, 1, v0
	ds_load_b32 v61, v64
	v_cndmask_b32_e32 v60, v18, v19, vcc_lo
	v_cmp_eq_u32_e32 vcc_lo, 2, v0
	s_delay_alu instid0(VALU_DEP_2) | instskip(SKIP_1) | instid1(VALU_DEP_2)
	v_cndmask_b32_e32 v60, v60, v20, vcc_lo
	v_cmp_eq_u32_e32 vcc_lo, 3, v0
	v_cndmask_b32_e32 v60, v60, v21, vcc_lo
	v_cmp_eq_u32_e32 vcc_lo, 4, v0
	s_delay_alu instid0(VALU_DEP_2) | instskip(SKIP_1) | instid1(VALU_DEP_2)
	v_cndmask_b32_e32 v60, v60, v22, vcc_lo
	v_cmp_eq_u32_e32 vcc_lo, 5, v0
	;; [unrolled: 5-line block ×5, first 2 shown]
	v_cndmask_b32_e32 v60, v60, v29, vcc_lo
	v_cmp_eq_u32_e32 vcc_lo, 12, v0
	s_delay_alu instid0(VALU_DEP_2) | instskip(SKIP_1) | instid1(VALU_DEP_1)
	v_cndmask_b32_e32 v60, v60, v30, vcc_lo
	s_wait_dscnt 0x0
	v_mul_f32_e32 v63, v60, v61
	s_cbranch_execz .LBB12_37
	s_branch .LBB12_38
.LBB12_36:
                                        ; implicit-def: $vgpr63
.LBB12_37:
	ds_load_b32 v63, v64
.LBB12_38:
	s_and_saveexec_b32 s5, s1
	s_cbranch_execz .LBB12_48
; %bb.39:
	v_dual_add_nc_u32 v60, -10, v0 :: v_dual_add_nc_u32 v61, -9, v0
	s_delay_alu instid0(VALU_DEP_1)
	v_cmp_lt_u32_e32 vcc_lo, 6, v60
	v_mov_b32_e32 v60, 9
	s_and_saveexec_b32 s1, vcc_lo
	s_cbranch_execz .LBB12_43
; %bb.40:
	v_and_b32_e32 v60, -8, v61
	s_mov_b32 s6, 0
	s_mov_b64 s[2:3], 16
	s_movk_i32 s7, 0x64
	s_delay_alu instid0(VALU_DEP_1)
	v_sub_nc_u32_e32 v62, 0, v60
.LBB12_41:                              ; =>This Inner Loop Header: Depth=1
	s_add_co_i32 m0, s2, -7
	v_movrels_b32_e32 v65, v18
	v_mov_b32_e32 v60, s7
	s_add_co_i32 m0, s2, -6
	s_add_co_i32 s7, s7, 32
	v_movrels_b32_e32 v74, v18
	ds_load_2addr_b32 v[66:67], v60 offset1:1
	ds_load_2addr_b32 v[68:69], v60 offset0:2 offset1:3
	s_add_co_i32 m0, s2, -5
	s_wait_dscnt 0x1
	v_fmac_f32_e32 v63, v65, v66
	ds_load_2addr_b32 v[70:71], v60 offset0:4 offset1:5
	ds_load_2addr_b32 v[72:73], v60 offset0:6 offset1:7
	v_movrels_b32_e32 v60, v18
	s_add_co_i32 m0, s2, -4
	v_fmac_f32_e32 v63, v74, v67
	v_movrels_b32_e32 v65, v18
	s_add_co_i32 m0, s2, -3
	s_wait_dscnt 0x2
	s_delay_alu instid0(VALU_DEP_2) | instskip(SKIP_2) | instid1(VALU_DEP_2)
	v_fmac_f32_e32 v63, v60, v68
	v_movrels_b32_e32 v60, v18
	s_add_co_i32 m0, s2, -2
	v_fmac_f32_e32 v63, v65, v69
	v_movrels_b32_e32 v65, v18
	s_add_co_i32 m0, s2, -1
	s_wait_dscnt 0x1
	s_delay_alu instid0(VALU_DEP_2)
	v_fmac_f32_e32 v63, v60, v70
	v_movrels_b32_e32 v60, v18
	s_mov_b32 m0, s2
	s_add_nc_u64 s[2:3], s[2:3], 8
	v_movrels_b32_e32 v66, v18
	v_dual_fmac_f32 v63, v65, v71 :: v_dual_add_nc_u32 v65, s2, v62
	s_add_co_i32 s8, s2, -7
	s_wait_dscnt 0x0
	s_delay_alu instid0(VALU_DEP_1) | instskip(NEXT) | instid1(VALU_DEP_2)
	v_fmac_f32_e32 v63, v60, v72
	v_cmp_eq_u32_e32 vcc_lo, 16, v65
	s_delay_alu instid0(VALU_DEP_2) | instskip(SKIP_1) | instid1(SALU_CYCLE_1)
	v_dual_mov_b32 v60, s8 :: v_dual_fmac_f32 v63, v66, v73
	s_or_b32 s6, vcc_lo, s6
	s_and_not1_b32 exec_lo, exec_lo, s6
	s_cbranch_execnz .LBB12_41
; %bb.42:
	s_or_b32 exec_lo, exec_lo, s6
.LBB12_43:
	s_delay_alu instid0(SALU_CYCLE_1) | instskip(SKIP_3) | instid1(VALU_DEP_1)
	s_or_b32 exec_lo, exec_lo, s1
	v_and_b32_e32 v31, 7, v61
	s_mov_b32 s2, 0
	s_mov_b32 s1, exec_lo
	v_cmpx_ne_u32_e32 0, v31
	s_cbranch_execz .LBB12_47
; %bb.44:
	v_lshl_add_u32 v32, v60, 2, 64
	v_mov_b32_e32 v61, 0
.LBB12_45:                              ; =>This Inner Loop Header: Depth=1
	v_cmp_eq_u32_e32 vcc_lo, 1, v60
	ds_load_b32 v62, v32
	v_dual_add_nc_u32 v32, 4, v32 :: v_dual_add_nc_u32 v31, -1, v31
	v_cndmask_b32_e32 v33, v18, v19, vcc_lo
	v_cmp_eq_u32_e32 vcc_lo, 2, v60
	s_delay_alu instid0(VALU_DEP_2) | instskip(SKIP_1) | instid1(VALU_DEP_2)
	v_cndmask_b32_e32 v33, v33, v20, vcc_lo
	v_cmp_eq_u32_e32 vcc_lo, 3, v60
	v_cndmask_b32_e32 v33, v33, v21, vcc_lo
	v_cmp_eq_u32_e32 vcc_lo, 4, v60
	s_delay_alu instid0(VALU_DEP_2) | instskip(SKIP_1) | instid1(VALU_DEP_2)
	v_cndmask_b32_e32 v33, v33, v22, vcc_lo
	v_cmp_eq_u32_e32 vcc_lo, 5, v60
	v_cndmask_b32_e32 v33, v33, v23, vcc_lo
	v_cmp_eq_u32_e32 vcc_lo, 6, v60
	s_delay_alu instid0(VALU_DEP_2) | instskip(SKIP_1) | instid1(VALU_DEP_2)
	v_cndmask_b32_e32 v33, v33, v24, vcc_lo
	v_cmp_eq_u32_e32 vcc_lo, 7, v60
	v_cndmask_b32_e32 v33, v33, v25, vcc_lo
	v_cmp_eq_u32_e32 vcc_lo, 8, v60
	s_delay_alu instid0(VALU_DEP_2) | instskip(SKIP_1) | instid1(VALU_DEP_2)
	v_cndmask_b32_e32 v33, v33, v26, vcc_lo
	v_cmp_eq_u32_e32 vcc_lo, 9, v60
	v_cndmask_b32_e32 v33, v33, v27, vcc_lo
	v_cmp_eq_u32_e32 vcc_lo, 10, v60
	s_delay_alu instid0(VALU_DEP_2) | instskip(SKIP_1) | instid1(VALU_DEP_2)
	v_cndmask_b32_e32 v33, v33, v28, vcc_lo
	v_cmp_eq_u32_e32 vcc_lo, 11, v60
	v_cndmask_b32_e32 v33, v33, v29, vcc_lo
	v_cmp_eq_u32_e32 vcc_lo, 12, v60
	v_add_nc_u64_e32 v[60:61], 1, v[60:61]
	s_delay_alu instid0(VALU_DEP_3) | instskip(SKIP_2) | instid1(VALU_DEP_2)
	v_cndmask_b32_e32 v33, v33, v30, vcc_lo
	v_cmp_eq_u32_e32 vcc_lo, 0, v31
	s_wait_dscnt 0x0
	v_fmac_f32_e32 v63, v33, v62
	s_or_b32 s2, vcc_lo, s2
	s_delay_alu instid0(SALU_CYCLE_1)
	s_and_not1_b32 exec_lo, exec_lo, s2
	s_cbranch_execnz .LBB12_45
; %bb.46:
	s_or_b32 exec_lo, exec_lo, s2
.LBB12_47:
	s_delay_alu instid0(SALU_CYCLE_1)
	s_or_b32 exec_lo, exec_lo, s1
.LBB12_48:
	s_delay_alu instid0(SALU_CYCLE_1)
	s_or_b32 exec_lo, exec_lo, s5
	v_mov_b32_e32 v26, 0
	ds_load_b32 v26, v26 offset:32
	s_wait_dscnt 0x0
	v_mul_f32_e32 v26, v63, v26
.LBB12_49:
	s_or_b32 exec_lo, exec_lo, s4
	v_cmp_lt_u32_e64 s1, 7, v0
	ds_store_b32 v64, v25
	s_wait_dscnt 0x0
	s_barrier_signal -1
	s_barrier_wait -1
	s_and_saveexec_b32 s4, s1
	s_cbranch_execz .LBB12_65
; %bb.50:
	s_and_not1_b32 vcc_lo, exec_lo, s13
	s_cbranch_vccnz .LBB12_52
; %bb.51:
	v_cmp_eq_u32_e32 vcc_lo, 1, v0
	ds_load_b32 v61, v64
	v_cndmask_b32_e32 v60, v18, v19, vcc_lo
	v_cmp_eq_u32_e32 vcc_lo, 2, v0
	s_delay_alu instid0(VALU_DEP_2) | instskip(SKIP_1) | instid1(VALU_DEP_2)
	v_cndmask_b32_e32 v60, v60, v20, vcc_lo
	v_cmp_eq_u32_e32 vcc_lo, 3, v0
	v_cndmask_b32_e32 v60, v60, v21, vcc_lo
	v_cmp_eq_u32_e32 vcc_lo, 4, v0
	s_delay_alu instid0(VALU_DEP_2) | instskip(SKIP_1) | instid1(VALU_DEP_2)
	v_cndmask_b32_e32 v60, v60, v22, vcc_lo
	v_cmp_eq_u32_e32 vcc_lo, 5, v0
	;; [unrolled: 5-line block ×5, first 2 shown]
	v_cndmask_b32_e32 v60, v60, v29, vcc_lo
	v_cmp_eq_u32_e32 vcc_lo, 12, v0
	s_delay_alu instid0(VALU_DEP_2) | instskip(SKIP_1) | instid1(VALU_DEP_1)
	v_cndmask_b32_e32 v60, v60, v30, vcc_lo
	s_wait_dscnt 0x0
	v_mul_f32_e32 v65, v60, v61
	s_cbranch_execz .LBB12_53
	s_branch .LBB12_54
.LBB12_52:
                                        ; implicit-def: $vgpr65
.LBB12_53:
	ds_load_b32 v65, v64
.LBB12_54:
	s_and_saveexec_b32 s5, s0
	s_cbranch_execz .LBB12_64
; %bb.55:
	v_add_nc_u32_e32 v60, -9, v0
	s_delay_alu instid0(VALU_DEP_1)
	v_cmp_lt_u32_e32 vcc_lo, 6, v60
	v_mov_b32_e32 v60, 8
	s_and_saveexec_b32 s0, vcc_lo
	s_cbranch_execz .LBB12_59
; %bb.56:
	v_bfe_u32 v60, v0, 3, 1
	v_mov_b32_e32 v61, 0
	s_mov_b64 s[2:3], 0xfffffff8
	s_movk_i32 s7, 0x60
	s_mov_b32 s6, 0
	s_delay_alu instid0(VALU_DEP_1)
	v_mul_u64_e32 v[62:63], s[2:3], v[60:61]
	s_mov_b64 s[2:3], 15
.LBB12_57:                              ; =>This Inner Loop Header: Depth=1
	s_delay_alu instid0(SALU_CYCLE_1)
	s_add_co_i32 m0, s2, -7
	v_movrels_b32_e32 v61, v18
	v_mov_b32_e32 v60, s7
	s_add_co_i32 m0, s2, -6
	s_add_co_i32 s7, s7, 32
	v_movrels_b32_e32 v63, v18
	s_add_co_i32 m0, s2, -5
	ds_load_b128 v[66:69], v60
	ds_load_b128 v[70:73], v60 offset:16
	v_movrels_b32_e32 v60, v18
	s_add_co_i32 m0, s2, -4
	s_wait_dscnt 0x1
	v_fmac_f32_e32 v65, v61, v66
	v_movrels_b32_e32 v61, v18
	s_add_co_i32 m0, s2, -3
	s_delay_alu instid0(VALU_DEP_2) | instskip(NEXT) | instid1(VALU_DEP_1)
	v_fmac_f32_e32 v65, v63, v67
	v_fmac_f32_e32 v65, v60, v68
	v_movrels_b32_e32 v60, v18
	s_add_co_i32 m0, s2, -2
	s_delay_alu instid0(VALU_DEP_2) | instskip(SKIP_3) | instid1(VALU_DEP_2)
	v_fmac_f32_e32 v65, v61, v69
	v_movrels_b32_e32 v61, v18
	s_add_co_i32 m0, s2, -1
	s_wait_dscnt 0x0
	v_fmac_f32_e32 v65, v60, v70
	v_movrels_b32_e32 v60, v18
	s_mov_b32 m0, s2
	s_add_nc_u64 s[2:3], s[2:3], 8
	v_movrels_b32_e32 v63, v18
	v_dual_fmac_f32 v65, v61, v71 :: v_dual_add_nc_u32 v61, s2, v62
	s_add_co_i32 s8, s2, -7
	s_delay_alu instid0(VALU_DEP_1) | instskip(NEXT) | instid1(VALU_DEP_2)
	v_fmac_f32_e32 v65, v60, v72
	v_cmp_eq_u32_e32 vcc_lo, 7, v61
	s_delay_alu instid0(VALU_DEP_2) | instskip(SKIP_1) | instid1(SALU_CYCLE_1)
	v_dual_mov_b32 v60, s8 :: v_dual_fmac_f32 v65, v63, v73
	s_or_b32 s6, vcc_lo, s6
	s_and_not1_b32 exec_lo, exec_lo, s6
	s_cbranch_execnz .LBB12_57
; %bb.58:
	s_or_b32 exec_lo, exec_lo, s6
.LBB12_59:
	s_delay_alu instid0(SALU_CYCLE_1) | instskip(SKIP_3) | instid1(VALU_DEP_1)
	s_or_b32 exec_lo, exec_lo, s0
	v_and_b32_e32 v31, 7, v0
	s_mov_b32 s2, 0
	s_mov_b32 s0, exec_lo
	v_cmpx_ne_u32_e32 0, v31
	s_cbranch_execz .LBB12_63
; %bb.60:
	v_lshl_add_u32 v32, v60, 2, 64
	v_mov_b32_e32 v61, 0
.LBB12_61:                              ; =>This Inner Loop Header: Depth=1
	v_cmp_eq_u32_e32 vcc_lo, 1, v60
	ds_load_b32 v62, v32
	v_dual_add_nc_u32 v32, 4, v32 :: v_dual_add_nc_u32 v31, -1, v31
	v_cndmask_b32_e32 v33, v18, v19, vcc_lo
	v_cmp_eq_u32_e32 vcc_lo, 2, v60
	s_delay_alu instid0(VALU_DEP_2) | instskip(SKIP_1) | instid1(VALU_DEP_2)
	v_cndmask_b32_e32 v33, v33, v20, vcc_lo
	v_cmp_eq_u32_e32 vcc_lo, 3, v60
	v_cndmask_b32_e32 v33, v33, v21, vcc_lo
	v_cmp_eq_u32_e32 vcc_lo, 4, v60
	s_delay_alu instid0(VALU_DEP_2) | instskip(SKIP_1) | instid1(VALU_DEP_2)
	v_cndmask_b32_e32 v33, v33, v22, vcc_lo
	v_cmp_eq_u32_e32 vcc_lo, 5, v60
	;; [unrolled: 5-line block ×5, first 2 shown]
	v_cndmask_b32_e32 v33, v33, v29, vcc_lo
	v_cmp_eq_u32_e32 vcc_lo, 12, v60
	v_add_nc_u64_e32 v[60:61], 1, v[60:61]
	s_delay_alu instid0(VALU_DEP_3) | instskip(SKIP_2) | instid1(VALU_DEP_2)
	v_cndmask_b32_e32 v33, v33, v30, vcc_lo
	v_cmp_eq_u32_e32 vcc_lo, 0, v31
	s_wait_dscnt 0x0
	v_fmac_f32_e32 v65, v33, v62
	s_or_b32 s2, vcc_lo, s2
	s_delay_alu instid0(SALU_CYCLE_1)
	s_and_not1_b32 exec_lo, exec_lo, s2
	s_cbranch_execnz .LBB12_61
; %bb.62:
	s_or_b32 exec_lo, exec_lo, s2
.LBB12_63:
	s_delay_alu instid0(SALU_CYCLE_1)
	s_or_b32 exec_lo, exec_lo, s0
.LBB12_64:
	s_delay_alu instid0(SALU_CYCLE_1)
	s_or_b32 exec_lo, exec_lo, s5
	v_mov_b32_e32 v25, 0
	ds_load_b32 v25, v25 offset:28
	s_wait_dscnt 0x0
	v_mul_f32_e32 v25, v65, v25
.LBB12_65:
	s_or_b32 exec_lo, exec_lo, s4
	v_cmp_lt_u32_e64 s0, 6, v0
	ds_store_b32 v64, v24
	s_wait_dscnt 0x0
	s_barrier_signal -1
	s_barrier_wait -1
	s_and_saveexec_b32 s4, s0
	s_cbranch_execz .LBB12_81
; %bb.66:
	s_and_not1_b32 vcc_lo, exec_lo, s13
	s_cbranch_vccnz .LBB12_68
; %bb.67:
	v_cmp_eq_u32_e32 vcc_lo, 1, v0
	ds_load_b32 v61, v64
	v_cndmask_b32_e32 v60, v18, v19, vcc_lo
	v_cmp_eq_u32_e32 vcc_lo, 2, v0
	s_delay_alu instid0(VALU_DEP_2) | instskip(SKIP_1) | instid1(VALU_DEP_2)
	v_cndmask_b32_e32 v60, v60, v20, vcc_lo
	v_cmp_eq_u32_e32 vcc_lo, 3, v0
	v_cndmask_b32_e32 v60, v60, v21, vcc_lo
	v_cmp_eq_u32_e32 vcc_lo, 4, v0
	s_delay_alu instid0(VALU_DEP_2) | instskip(SKIP_1) | instid1(VALU_DEP_2)
	v_cndmask_b32_e32 v60, v60, v22, vcc_lo
	v_cmp_eq_u32_e32 vcc_lo, 5, v0
	;; [unrolled: 5-line block ×5, first 2 shown]
	v_cndmask_b32_e32 v60, v60, v29, vcc_lo
	v_cmp_eq_u32_e32 vcc_lo, 12, v0
	s_delay_alu instid0(VALU_DEP_2) | instskip(SKIP_1) | instid1(VALU_DEP_1)
	v_cndmask_b32_e32 v60, v60, v30, vcc_lo
	s_wait_dscnt 0x0
	v_mul_f32_e32 v63, v60, v61
	s_cbranch_execz .LBB12_69
	s_branch .LBB12_70
.LBB12_68:
                                        ; implicit-def: $vgpr63
.LBB12_69:
	ds_load_b32 v63, v64
.LBB12_70:
	s_and_saveexec_b32 s5, s1
	s_cbranch_execz .LBB12_80
; %bb.71:
	v_dual_add_nc_u32 v60, -8, v0 :: v_dual_add_nc_u32 v61, -7, v0
	s_delay_alu instid0(VALU_DEP_1)
	v_cmp_lt_u32_e32 vcc_lo, 6, v60
	v_mov_b32_e32 v60, 7
	s_and_saveexec_b32 s1, vcc_lo
	s_cbranch_execz .LBB12_75
; %bb.72:
	v_and_b32_e32 v60, -8, v61
	s_mov_b32 s6, 0
	s_mov_b64 s[2:3], 14
	s_movk_i32 s7, 0x5c
	s_delay_alu instid0(VALU_DEP_1)
	v_sub_nc_u32_e32 v62, 0, v60
.LBB12_73:                              ; =>This Inner Loop Header: Depth=1
	s_add_co_i32 m0, s2, -7
	v_movrels_b32_e32 v65, v18
	v_mov_b32_e32 v60, s7
	s_add_co_i32 m0, s2, -6
	s_add_co_i32 s7, s7, 32
	v_movrels_b32_e32 v74, v18
	ds_load_2addr_b32 v[66:67], v60 offset1:1
	ds_load_2addr_b32 v[68:69], v60 offset0:2 offset1:3
	s_add_co_i32 m0, s2, -5
	s_wait_dscnt 0x1
	v_fmac_f32_e32 v63, v65, v66
	ds_load_2addr_b32 v[70:71], v60 offset0:4 offset1:5
	ds_load_2addr_b32 v[72:73], v60 offset0:6 offset1:7
	v_movrels_b32_e32 v60, v18
	s_add_co_i32 m0, s2, -4
	v_fmac_f32_e32 v63, v74, v67
	v_movrels_b32_e32 v65, v18
	s_add_co_i32 m0, s2, -3
	s_wait_dscnt 0x2
	s_delay_alu instid0(VALU_DEP_2) | instskip(SKIP_2) | instid1(VALU_DEP_2)
	v_fmac_f32_e32 v63, v60, v68
	v_movrels_b32_e32 v60, v18
	s_add_co_i32 m0, s2, -2
	v_fmac_f32_e32 v63, v65, v69
	v_movrels_b32_e32 v65, v18
	s_add_co_i32 m0, s2, -1
	s_wait_dscnt 0x1
	s_delay_alu instid0(VALU_DEP_2)
	v_fmac_f32_e32 v63, v60, v70
	v_movrels_b32_e32 v60, v18
	s_mov_b32 m0, s2
	s_add_nc_u64 s[2:3], s[2:3], 8
	v_movrels_b32_e32 v66, v18
	v_dual_fmac_f32 v63, v65, v71 :: v_dual_add_nc_u32 v65, s2, v62
	s_add_co_i32 s8, s2, -7
	s_wait_dscnt 0x0
	s_delay_alu instid0(VALU_DEP_1) | instskip(NEXT) | instid1(VALU_DEP_2)
	v_fmac_f32_e32 v63, v60, v72
	v_cmp_eq_u32_e32 vcc_lo, 14, v65
	s_delay_alu instid0(VALU_DEP_2) | instskip(SKIP_1) | instid1(SALU_CYCLE_1)
	v_dual_mov_b32 v60, s8 :: v_dual_fmac_f32 v63, v66, v73
	s_or_b32 s6, vcc_lo, s6
	s_and_not1_b32 exec_lo, exec_lo, s6
	s_cbranch_execnz .LBB12_73
; %bb.74:
	s_or_b32 exec_lo, exec_lo, s6
.LBB12_75:
	s_delay_alu instid0(SALU_CYCLE_1) | instskip(SKIP_3) | instid1(VALU_DEP_1)
	s_or_b32 exec_lo, exec_lo, s1
	v_and_b32_e32 v31, 7, v61
	s_mov_b32 s2, 0
	s_mov_b32 s1, exec_lo
	v_cmpx_ne_u32_e32 0, v31
	s_cbranch_execz .LBB12_79
; %bb.76:
	v_lshl_add_u32 v32, v60, 2, 64
	v_mov_b32_e32 v61, 0
.LBB12_77:                              ; =>This Inner Loop Header: Depth=1
	v_cmp_eq_u32_e32 vcc_lo, 1, v60
	ds_load_b32 v62, v32
	v_dual_add_nc_u32 v32, 4, v32 :: v_dual_add_nc_u32 v31, -1, v31
	v_cndmask_b32_e32 v33, v18, v19, vcc_lo
	v_cmp_eq_u32_e32 vcc_lo, 2, v60
	s_delay_alu instid0(VALU_DEP_2) | instskip(SKIP_1) | instid1(VALU_DEP_2)
	v_cndmask_b32_e32 v33, v33, v20, vcc_lo
	v_cmp_eq_u32_e32 vcc_lo, 3, v60
	v_cndmask_b32_e32 v33, v33, v21, vcc_lo
	v_cmp_eq_u32_e32 vcc_lo, 4, v60
	s_delay_alu instid0(VALU_DEP_2) | instskip(SKIP_1) | instid1(VALU_DEP_2)
	v_cndmask_b32_e32 v33, v33, v22, vcc_lo
	v_cmp_eq_u32_e32 vcc_lo, 5, v60
	;; [unrolled: 5-line block ×5, first 2 shown]
	v_cndmask_b32_e32 v33, v33, v29, vcc_lo
	v_cmp_eq_u32_e32 vcc_lo, 12, v60
	v_add_nc_u64_e32 v[60:61], 1, v[60:61]
	s_delay_alu instid0(VALU_DEP_3) | instskip(SKIP_2) | instid1(VALU_DEP_2)
	v_cndmask_b32_e32 v33, v33, v30, vcc_lo
	v_cmp_eq_u32_e32 vcc_lo, 0, v31
	s_wait_dscnt 0x0
	v_fmac_f32_e32 v63, v33, v62
	s_or_b32 s2, vcc_lo, s2
	s_delay_alu instid0(SALU_CYCLE_1)
	s_and_not1_b32 exec_lo, exec_lo, s2
	s_cbranch_execnz .LBB12_77
; %bb.78:
	s_or_b32 exec_lo, exec_lo, s2
.LBB12_79:
	s_delay_alu instid0(SALU_CYCLE_1)
	s_or_b32 exec_lo, exec_lo, s1
.LBB12_80:
	s_delay_alu instid0(SALU_CYCLE_1)
	s_or_b32 exec_lo, exec_lo, s5
	v_mov_b32_e32 v24, 0
	ds_load_b32 v24, v24 offset:24
	s_wait_dscnt 0x0
	v_mul_f32_e32 v24, v63, v24
.LBB12_81:
	s_or_b32 exec_lo, exec_lo, s4
	v_cmp_lt_u32_e64 s1, 5, v0
	ds_store_b32 v64, v23
	s_wait_dscnt 0x0
	s_barrier_signal -1
	s_barrier_wait -1
	s_and_saveexec_b32 s4, s1
	s_cbranch_execz .LBB12_97
; %bb.82:
	s_and_not1_b32 vcc_lo, exec_lo, s13
	s_cbranch_vccnz .LBB12_84
; %bb.83:
	v_cmp_eq_u32_e32 vcc_lo, 1, v0
	ds_load_b32 v61, v64
	v_cndmask_b32_e32 v60, v18, v19, vcc_lo
	v_cmp_eq_u32_e32 vcc_lo, 2, v0
	s_delay_alu instid0(VALU_DEP_2) | instskip(SKIP_1) | instid1(VALU_DEP_2)
	v_cndmask_b32_e32 v60, v60, v20, vcc_lo
	v_cmp_eq_u32_e32 vcc_lo, 3, v0
	v_cndmask_b32_e32 v60, v60, v21, vcc_lo
	v_cmp_eq_u32_e32 vcc_lo, 4, v0
	s_delay_alu instid0(VALU_DEP_2) | instskip(SKIP_1) | instid1(VALU_DEP_2)
	v_cndmask_b32_e32 v60, v60, v22, vcc_lo
	v_cmp_eq_u32_e32 vcc_lo, 5, v0
	;; [unrolled: 5-line block ×5, first 2 shown]
	v_cndmask_b32_e32 v60, v60, v29, vcc_lo
	v_cmp_eq_u32_e32 vcc_lo, 12, v0
	s_delay_alu instid0(VALU_DEP_2) | instskip(SKIP_1) | instid1(VALU_DEP_1)
	v_cndmask_b32_e32 v60, v60, v30, vcc_lo
	s_wait_dscnt 0x0
	v_mul_f32_e32 v63, v60, v61
	s_cbranch_execz .LBB12_85
	s_branch .LBB12_86
.LBB12_84:
                                        ; implicit-def: $vgpr63
.LBB12_85:
	ds_load_b32 v63, v64
.LBB12_86:
	s_and_saveexec_b32 s5, s0
	s_cbranch_execz .LBB12_96
; %bb.87:
	v_dual_add_nc_u32 v62, -7, v0 :: v_dual_add_nc_u32 v61, -6, v0
	v_mov_b32_e32 v60, 6
	s_mov_b32 s0, exec_lo
	s_delay_alu instid0(VALU_DEP_2)
	v_cmpx_lt_u32_e32 6, v62
	s_cbranch_execz .LBB12_91
; %bb.88:
	v_and_b32_e32 v60, -8, v61
	s_mov_b32 s6, 0
	s_mov_b64 s[2:3], 13
	s_movk_i32 s7, 0x58
	s_delay_alu instid0(VALU_DEP_1)
	v_sub_nc_u32_e32 v62, 0, v60
.LBB12_89:                              ; =>This Inner Loop Header: Depth=1
	s_add_co_i32 m0, s2, -7
	v_movrels_b32_e32 v65, v18
	v_mov_b32_e32 v60, s7
	s_add_co_i32 m0, s2, -6
	s_add_co_i32 s7, s7, 32
	v_movrels_b32_e32 v74, v18
	s_add_co_i32 m0, s2, -5
	ds_load_2addr_b64 v[66:69], v60 offset1:1
	ds_load_2addr_b64 v[70:73], v60 offset0:2 offset1:3
	v_movrels_b32_e32 v60, v18
	s_add_co_i32 m0, s2, -4
	s_wait_dscnt 0x1
	v_fmac_f32_e32 v63, v65, v66
	v_movrels_b32_e32 v65, v18
	s_add_co_i32 m0, s2, -3
	s_delay_alu instid0(VALU_DEP_2) | instskip(NEXT) | instid1(VALU_DEP_1)
	v_fmac_f32_e32 v63, v74, v67
	v_fmac_f32_e32 v63, v60, v68
	v_movrels_b32_e32 v60, v18
	s_add_co_i32 m0, s2, -2
	s_delay_alu instid0(VALU_DEP_2) | instskip(SKIP_3) | instid1(VALU_DEP_2)
	v_fmac_f32_e32 v63, v65, v69
	v_movrels_b32_e32 v65, v18
	s_add_co_i32 m0, s2, -1
	s_wait_dscnt 0x0
	v_fmac_f32_e32 v63, v60, v70
	v_movrels_b32_e32 v60, v18
	s_mov_b32 m0, s2
	s_add_nc_u64 s[2:3], s[2:3], 8
	v_movrels_b32_e32 v66, v18
	v_dual_fmac_f32 v63, v65, v71 :: v_dual_add_nc_u32 v65, s2, v62
	s_add_co_i32 s8, s2, -7
	s_delay_alu instid0(VALU_DEP_1) | instskip(NEXT) | instid1(VALU_DEP_2)
	v_fmac_f32_e32 v63, v60, v72
	v_cmp_eq_u32_e32 vcc_lo, 13, v65
	s_delay_alu instid0(VALU_DEP_2) | instskip(SKIP_1) | instid1(SALU_CYCLE_1)
	v_dual_mov_b32 v60, s8 :: v_dual_fmac_f32 v63, v66, v73
	s_or_b32 s6, vcc_lo, s6
	s_and_not1_b32 exec_lo, exec_lo, s6
	s_cbranch_execnz .LBB12_89
; %bb.90:
	s_or_b32 exec_lo, exec_lo, s6
.LBB12_91:
	s_delay_alu instid0(SALU_CYCLE_1) | instskip(SKIP_3) | instid1(VALU_DEP_1)
	s_or_b32 exec_lo, exec_lo, s0
	v_and_b32_e32 v31, 7, v61
	s_mov_b32 s2, 0
	s_mov_b32 s0, exec_lo
	v_cmpx_ne_u32_e32 0, v31
	s_cbranch_execz .LBB12_95
; %bb.92:
	v_lshl_add_u32 v32, v60, 2, 64
	v_mov_b32_e32 v61, 0
.LBB12_93:                              ; =>This Inner Loop Header: Depth=1
	v_cmp_eq_u32_e32 vcc_lo, 1, v60
	ds_load_b32 v62, v32
	v_dual_add_nc_u32 v32, 4, v32 :: v_dual_add_nc_u32 v31, -1, v31
	v_cndmask_b32_e32 v33, v18, v19, vcc_lo
	v_cmp_eq_u32_e32 vcc_lo, 2, v60
	s_delay_alu instid0(VALU_DEP_2) | instskip(SKIP_1) | instid1(VALU_DEP_2)
	v_cndmask_b32_e32 v33, v33, v20, vcc_lo
	v_cmp_eq_u32_e32 vcc_lo, 3, v60
	v_cndmask_b32_e32 v33, v33, v21, vcc_lo
	v_cmp_eq_u32_e32 vcc_lo, 4, v60
	s_delay_alu instid0(VALU_DEP_2) | instskip(SKIP_1) | instid1(VALU_DEP_2)
	v_cndmask_b32_e32 v33, v33, v22, vcc_lo
	v_cmp_eq_u32_e32 vcc_lo, 5, v60
	;; [unrolled: 5-line block ×5, first 2 shown]
	v_cndmask_b32_e32 v33, v33, v29, vcc_lo
	v_cmp_eq_u32_e32 vcc_lo, 12, v60
	v_add_nc_u64_e32 v[60:61], 1, v[60:61]
	s_delay_alu instid0(VALU_DEP_3) | instskip(SKIP_2) | instid1(VALU_DEP_2)
	v_cndmask_b32_e32 v33, v33, v30, vcc_lo
	v_cmp_eq_u32_e32 vcc_lo, 0, v31
	s_wait_dscnt 0x0
	v_fmac_f32_e32 v63, v33, v62
	s_or_b32 s2, vcc_lo, s2
	s_delay_alu instid0(SALU_CYCLE_1)
	s_and_not1_b32 exec_lo, exec_lo, s2
	s_cbranch_execnz .LBB12_93
; %bb.94:
	s_or_b32 exec_lo, exec_lo, s2
.LBB12_95:
	s_delay_alu instid0(SALU_CYCLE_1)
	s_or_b32 exec_lo, exec_lo, s0
.LBB12_96:
	s_delay_alu instid0(SALU_CYCLE_1)
	s_or_b32 exec_lo, exec_lo, s5
	v_mov_b32_e32 v23, 0
	ds_load_b32 v23, v23 offset:20
	s_wait_dscnt 0x0
	v_mul_f32_e32 v23, v63, v23
.LBB12_97:
	s_or_b32 exec_lo, exec_lo, s4
	v_cmp_lt_u32_e64 s0, 4, v0
	ds_store_b32 v64, v22
	s_wait_dscnt 0x0
	s_barrier_signal -1
	s_barrier_wait -1
	s_and_saveexec_b32 s4, s0
	s_cbranch_execz .LBB12_113
; %bb.98:
	s_and_not1_b32 vcc_lo, exec_lo, s13
	s_cbranch_vccnz .LBB12_100
; %bb.99:
	v_cmp_eq_u32_e32 vcc_lo, 1, v0
	ds_load_b32 v61, v64
	v_cndmask_b32_e32 v60, v18, v19, vcc_lo
	v_cmp_eq_u32_e32 vcc_lo, 2, v0
	s_delay_alu instid0(VALU_DEP_2) | instskip(SKIP_1) | instid1(VALU_DEP_2)
	v_cndmask_b32_e32 v60, v60, v20, vcc_lo
	v_cmp_eq_u32_e32 vcc_lo, 3, v0
	v_cndmask_b32_e32 v60, v60, v21, vcc_lo
	v_cmp_eq_u32_e32 vcc_lo, 4, v0
	s_delay_alu instid0(VALU_DEP_2) | instskip(SKIP_1) | instid1(VALU_DEP_2)
	v_cndmask_b32_e32 v60, v60, v22, vcc_lo
	v_cmp_eq_u32_e32 vcc_lo, 5, v0
	;; [unrolled: 5-line block ×5, first 2 shown]
	v_cndmask_b32_e32 v60, v60, v29, vcc_lo
	v_cmp_eq_u32_e32 vcc_lo, 12, v0
	s_delay_alu instid0(VALU_DEP_2) | instskip(SKIP_1) | instid1(VALU_DEP_1)
	v_cndmask_b32_e32 v60, v60, v30, vcc_lo
	s_wait_dscnt 0x0
	v_mul_f32_e32 v63, v60, v61
	s_cbranch_execz .LBB12_101
	s_branch .LBB12_102
.LBB12_100:
                                        ; implicit-def: $vgpr63
.LBB12_101:
	ds_load_b32 v63, v64
.LBB12_102:
	s_and_saveexec_b32 s5, s1
	s_cbranch_execz .LBB12_112
; %bb.103:
	v_dual_add_nc_u32 v60, -6, v0 :: v_dual_add_nc_u32 v61, -5, v0
	s_delay_alu instid0(VALU_DEP_1)
	v_cmp_lt_u32_e32 vcc_lo, 6, v60
	v_mov_b32_e32 v60, 5
	s_and_saveexec_b32 s1, vcc_lo
	s_cbranch_execz .LBB12_107
; %bb.104:
	v_and_b32_e32 v60, -8, v61
	s_mov_b32 s6, 0
	s_mov_b64 s[2:3], 12
	s_movk_i32 s7, 0x54
	s_delay_alu instid0(VALU_DEP_1)
	v_sub_nc_u32_e32 v62, 0, v60
.LBB12_105:                             ; =>This Inner Loop Header: Depth=1
	s_add_co_i32 m0, s2, -7
	v_movrels_b32_e32 v65, v18
	v_mov_b32_e32 v60, s7
	s_add_co_i32 m0, s2, -6
	s_add_co_i32 s7, s7, 32
	v_movrels_b32_e32 v74, v18
	ds_load_2addr_b32 v[66:67], v60 offset1:1
	ds_load_2addr_b32 v[68:69], v60 offset0:2 offset1:3
	s_add_co_i32 m0, s2, -5
	s_wait_dscnt 0x1
	v_fmac_f32_e32 v63, v65, v66
	ds_load_2addr_b32 v[70:71], v60 offset0:4 offset1:5
	ds_load_2addr_b32 v[72:73], v60 offset0:6 offset1:7
	v_movrels_b32_e32 v60, v18
	s_add_co_i32 m0, s2, -4
	v_fmac_f32_e32 v63, v74, v67
	v_movrels_b32_e32 v65, v18
	s_add_co_i32 m0, s2, -3
	s_wait_dscnt 0x2
	s_delay_alu instid0(VALU_DEP_2) | instskip(SKIP_2) | instid1(VALU_DEP_2)
	v_fmac_f32_e32 v63, v60, v68
	v_movrels_b32_e32 v60, v18
	s_add_co_i32 m0, s2, -2
	v_fmac_f32_e32 v63, v65, v69
	v_movrels_b32_e32 v65, v18
	s_add_co_i32 m0, s2, -1
	s_wait_dscnt 0x1
	s_delay_alu instid0(VALU_DEP_2)
	v_fmac_f32_e32 v63, v60, v70
	v_movrels_b32_e32 v60, v18
	s_mov_b32 m0, s2
	s_add_nc_u64 s[2:3], s[2:3], 8
	v_movrels_b32_e32 v66, v18
	v_dual_fmac_f32 v63, v65, v71 :: v_dual_add_nc_u32 v65, s2, v62
	s_add_co_i32 s8, s2, -7
	s_wait_dscnt 0x0
	s_delay_alu instid0(VALU_DEP_1) | instskip(NEXT) | instid1(VALU_DEP_2)
	v_fmac_f32_e32 v63, v60, v72
	v_cmp_eq_u32_e32 vcc_lo, 12, v65
	s_delay_alu instid0(VALU_DEP_2) | instskip(SKIP_1) | instid1(SALU_CYCLE_1)
	v_dual_mov_b32 v60, s8 :: v_dual_fmac_f32 v63, v66, v73
	s_or_b32 s6, vcc_lo, s6
	s_and_not1_b32 exec_lo, exec_lo, s6
	s_cbranch_execnz .LBB12_105
; %bb.106:
	s_or_b32 exec_lo, exec_lo, s6
.LBB12_107:
	s_delay_alu instid0(SALU_CYCLE_1) | instskip(SKIP_3) | instid1(VALU_DEP_1)
	s_or_b32 exec_lo, exec_lo, s1
	v_and_b32_e32 v31, 7, v61
	s_mov_b32 s2, 0
	s_mov_b32 s1, exec_lo
	v_cmpx_ne_u32_e32 0, v31
	s_cbranch_execz .LBB12_111
; %bb.108:
	v_lshl_add_u32 v32, v60, 2, 64
	v_mov_b32_e32 v61, 0
.LBB12_109:                             ; =>This Inner Loop Header: Depth=1
	v_cmp_eq_u32_e32 vcc_lo, 1, v60
	ds_load_b32 v62, v32
	v_dual_add_nc_u32 v32, 4, v32 :: v_dual_add_nc_u32 v31, -1, v31
	v_cndmask_b32_e32 v33, v18, v19, vcc_lo
	v_cmp_eq_u32_e32 vcc_lo, 2, v60
	s_delay_alu instid0(VALU_DEP_2) | instskip(SKIP_1) | instid1(VALU_DEP_2)
	v_cndmask_b32_e32 v33, v33, v20, vcc_lo
	v_cmp_eq_u32_e32 vcc_lo, 3, v60
	v_cndmask_b32_e32 v33, v33, v21, vcc_lo
	v_cmp_eq_u32_e32 vcc_lo, 4, v60
	s_delay_alu instid0(VALU_DEP_2) | instskip(SKIP_1) | instid1(VALU_DEP_2)
	v_cndmask_b32_e32 v33, v33, v22, vcc_lo
	v_cmp_eq_u32_e32 vcc_lo, 5, v60
	;; [unrolled: 5-line block ×5, first 2 shown]
	v_cndmask_b32_e32 v33, v33, v29, vcc_lo
	v_cmp_eq_u32_e32 vcc_lo, 12, v60
	v_add_nc_u64_e32 v[60:61], 1, v[60:61]
	s_delay_alu instid0(VALU_DEP_3) | instskip(SKIP_2) | instid1(VALU_DEP_2)
	v_cndmask_b32_e32 v33, v33, v30, vcc_lo
	v_cmp_eq_u32_e32 vcc_lo, 0, v31
	s_wait_dscnt 0x0
	v_fmac_f32_e32 v63, v33, v62
	s_or_b32 s2, vcc_lo, s2
	s_delay_alu instid0(SALU_CYCLE_1)
	s_and_not1_b32 exec_lo, exec_lo, s2
	s_cbranch_execnz .LBB12_109
; %bb.110:
	s_or_b32 exec_lo, exec_lo, s2
.LBB12_111:
	s_delay_alu instid0(SALU_CYCLE_1)
	s_or_b32 exec_lo, exec_lo, s1
.LBB12_112:
	s_delay_alu instid0(SALU_CYCLE_1)
	s_or_b32 exec_lo, exec_lo, s5
	v_mov_b32_e32 v22, 0
	ds_load_b32 v22, v22 offset:16
	s_wait_dscnt 0x0
	v_mul_f32_e32 v22, v63, v22
.LBB12_113:
	s_or_b32 exec_lo, exec_lo, s4
	v_cmp_lt_u32_e64 s1, 3, v0
	ds_store_b32 v64, v21
	s_wait_dscnt 0x0
	s_barrier_signal -1
	s_barrier_wait -1
	s_and_saveexec_b32 s4, s1
	s_cbranch_execz .LBB12_129
; %bb.114:
	s_and_not1_b32 vcc_lo, exec_lo, s13
	s_cbranch_vccnz .LBB12_116
; %bb.115:
	v_cmp_eq_u32_e32 vcc_lo, 1, v0
	ds_load_b32 v61, v64
	v_cndmask_b32_e32 v60, v18, v19, vcc_lo
	v_cmp_eq_u32_e32 vcc_lo, 2, v0
	s_delay_alu instid0(VALU_DEP_2) | instskip(SKIP_1) | instid1(VALU_DEP_2)
	v_cndmask_b32_e32 v60, v60, v20, vcc_lo
	v_cmp_eq_u32_e32 vcc_lo, 3, v0
	v_cndmask_b32_e32 v60, v60, v21, vcc_lo
	v_cmp_eq_u32_e32 vcc_lo, 4, v0
	s_delay_alu instid0(VALU_DEP_2) | instskip(SKIP_1) | instid1(VALU_DEP_2)
	v_cndmask_b32_e32 v60, v60, v22, vcc_lo
	v_cmp_eq_u32_e32 vcc_lo, 5, v0
	v_cndmask_b32_e32 v60, v60, v23, vcc_lo
	v_cmp_eq_u32_e32 vcc_lo, 6, v0
	s_delay_alu instid0(VALU_DEP_2) | instskip(SKIP_1) | instid1(VALU_DEP_2)
	v_cndmask_b32_e32 v60, v60, v24, vcc_lo
	v_cmp_eq_u32_e32 vcc_lo, 7, v0
	v_cndmask_b32_e32 v60, v60, v25, vcc_lo
	v_cmp_eq_u32_e32 vcc_lo, 8, v0
	s_delay_alu instid0(VALU_DEP_2) | instskip(SKIP_1) | instid1(VALU_DEP_2)
	v_cndmask_b32_e32 v60, v60, v26, vcc_lo
	v_cmp_eq_u32_e32 vcc_lo, 9, v0
	v_cndmask_b32_e32 v60, v60, v27, vcc_lo
	v_cmp_eq_u32_e32 vcc_lo, 10, v0
	s_delay_alu instid0(VALU_DEP_2) | instskip(SKIP_1) | instid1(VALU_DEP_2)
	v_cndmask_b32_e32 v60, v60, v28, vcc_lo
	v_cmp_eq_u32_e32 vcc_lo, 11, v0
	v_cndmask_b32_e32 v60, v60, v29, vcc_lo
	v_cmp_eq_u32_e32 vcc_lo, 12, v0
	s_delay_alu instid0(VALU_DEP_2) | instskip(SKIP_1) | instid1(VALU_DEP_1)
	v_cndmask_b32_e32 v60, v60, v30, vcc_lo
	s_wait_dscnt 0x0
	v_mul_f32_e32 v63, v60, v61
	s_cbranch_execz .LBB12_117
	s_branch .LBB12_118
.LBB12_116:
                                        ; implicit-def: $vgpr63
.LBB12_117:
	ds_load_b32 v63, v64
.LBB12_118:
	s_and_saveexec_b32 s5, s0
	s_cbranch_execz .LBB12_128
; %bb.119:
	v_dual_add_nc_u32 v60, -5, v0 :: v_dual_add_nc_u32 v61, -4, v0
	s_delay_alu instid0(VALU_DEP_1)
	v_cmp_lt_u32_e32 vcc_lo, 6, v60
	v_mov_b32_e32 v60, 4
	s_and_saveexec_b32 s0, vcc_lo
	s_cbranch_execz .LBB12_123
; %bb.120:
	v_and_b32_e32 v60, -8, v61
	s_mov_b32 s6, 0
	s_mov_b64 s[2:3], 5
	s_movk_i32 s7, 0x50
	s_delay_alu instid0(VALU_DEP_1)
	v_sub_nc_u32_e32 v62, 0, v60
.LBB12_121:                             ; =>This Inner Loop Header: Depth=1
	s_add_co_i32 m0, s2, -1
	v_movrels_b32_e32 v65, v18
	v_mov_b32_e32 v60, s7
	s_mov_b32 m0, s2
	s_add_co_i32 s7, s7, 32
	v_movrels_b32_e32 v74, v18
	s_add_co_i32 m0, s2, 1
	ds_load_b128 v[66:69], v60
	ds_load_b128 v[70:73], v60 offset:16
	v_movrels_b32_e32 v60, v18
	s_add_co_i32 m0, s2, 2
	s_wait_dscnt 0x1
	v_fmac_f32_e32 v63, v65, v66
	v_movrels_b32_e32 v65, v18
	s_add_co_i32 m0, s2, 3
	s_delay_alu instid0(VALU_DEP_2) | instskip(NEXT) | instid1(VALU_DEP_1)
	v_fmac_f32_e32 v63, v74, v67
	v_fmac_f32_e32 v63, v60, v68
	v_movrels_b32_e32 v60, v18
	s_add_co_i32 m0, s2, 4
	s_delay_alu instid0(VALU_DEP_2) | instskip(SKIP_3) | instid1(VALU_DEP_2)
	v_fmac_f32_e32 v63, v65, v69
	v_movrels_b32_e32 v65, v18
	s_add_co_i32 m0, s2, 5
	s_wait_dscnt 0x0
	v_fmac_f32_e32 v63, v60, v70
	v_movrels_b32_e32 v60, v18
	s_add_co_i32 m0, s2, 6
	s_add_nc_u64 s[2:3], s[2:3], 8
	v_movrels_b32_e32 v66, v18
	v_dual_fmac_f32 v63, v65, v71 :: v_dual_add_nc_u32 v65, s2, v62
	s_add_co_i32 s8, s2, -1
	s_delay_alu instid0(VALU_DEP_1) | instskip(NEXT) | instid1(VALU_DEP_2)
	v_fmac_f32_e32 v63, v60, v72
	v_cmp_eq_u32_e32 vcc_lo, 5, v65
	s_delay_alu instid0(VALU_DEP_2) | instskip(SKIP_1) | instid1(SALU_CYCLE_1)
	v_dual_mov_b32 v60, s8 :: v_dual_fmac_f32 v63, v66, v73
	s_or_b32 s6, vcc_lo, s6
	s_and_not1_b32 exec_lo, exec_lo, s6
	s_cbranch_execnz .LBB12_121
; %bb.122:
	s_or_b32 exec_lo, exec_lo, s6
.LBB12_123:
	s_delay_alu instid0(SALU_CYCLE_1) | instskip(SKIP_3) | instid1(VALU_DEP_1)
	s_or_b32 exec_lo, exec_lo, s0
	v_and_b32_e32 v31, 7, v61
	s_mov_b32 s2, 0
	s_mov_b32 s0, exec_lo
	v_cmpx_ne_u32_e32 0, v31
	s_cbranch_execz .LBB12_127
; %bb.124:
	v_lshl_add_u32 v32, v60, 2, 64
	v_mov_b32_e32 v61, 0
.LBB12_125:                             ; =>This Inner Loop Header: Depth=1
	v_cmp_eq_u32_e32 vcc_lo, 1, v60
	ds_load_b32 v62, v32
	v_dual_add_nc_u32 v32, 4, v32 :: v_dual_add_nc_u32 v31, -1, v31
	v_cndmask_b32_e32 v33, v18, v19, vcc_lo
	v_cmp_eq_u32_e32 vcc_lo, 2, v60
	s_delay_alu instid0(VALU_DEP_2) | instskip(SKIP_1) | instid1(VALU_DEP_2)
	v_cndmask_b32_e32 v33, v33, v20, vcc_lo
	v_cmp_eq_u32_e32 vcc_lo, 3, v60
	v_cndmask_b32_e32 v33, v33, v21, vcc_lo
	v_cmp_eq_u32_e32 vcc_lo, 4, v60
	s_delay_alu instid0(VALU_DEP_2) | instskip(SKIP_1) | instid1(VALU_DEP_2)
	v_cndmask_b32_e32 v33, v33, v22, vcc_lo
	v_cmp_eq_u32_e32 vcc_lo, 5, v60
	;; [unrolled: 5-line block ×5, first 2 shown]
	v_cndmask_b32_e32 v33, v33, v29, vcc_lo
	v_cmp_eq_u32_e32 vcc_lo, 12, v60
	v_add_nc_u64_e32 v[60:61], 1, v[60:61]
	s_delay_alu instid0(VALU_DEP_3) | instskip(SKIP_2) | instid1(VALU_DEP_2)
	v_cndmask_b32_e32 v33, v33, v30, vcc_lo
	v_cmp_eq_u32_e32 vcc_lo, 0, v31
	s_wait_dscnt 0x0
	v_fmac_f32_e32 v63, v33, v62
	s_or_b32 s2, vcc_lo, s2
	s_delay_alu instid0(SALU_CYCLE_1)
	s_and_not1_b32 exec_lo, exec_lo, s2
	s_cbranch_execnz .LBB12_125
; %bb.126:
	s_or_b32 exec_lo, exec_lo, s2
.LBB12_127:
	s_delay_alu instid0(SALU_CYCLE_1)
	s_or_b32 exec_lo, exec_lo, s0
.LBB12_128:
	s_delay_alu instid0(SALU_CYCLE_1)
	s_or_b32 exec_lo, exec_lo, s5
	v_mov_b32_e32 v21, 0
	ds_load_b32 v21, v21 offset:12
	s_wait_dscnt 0x0
	v_mul_f32_e32 v21, v63, v21
.LBB12_129:
	s_or_b32 exec_lo, exec_lo, s4
	v_cmp_lt_u32_e64 s0, 2, v0
	ds_store_b32 v64, v20
	s_wait_dscnt 0x0
	s_barrier_signal -1
	s_barrier_wait -1
	s_and_saveexec_b32 s4, s0
	s_cbranch_execz .LBB12_145
; %bb.130:
	s_and_not1_b32 vcc_lo, exec_lo, s13
	s_cbranch_vccnz .LBB12_132
; %bb.131:
	v_cmp_eq_u32_e32 vcc_lo, 1, v0
	ds_load_b32 v61, v64
	v_cndmask_b32_e32 v60, v18, v19, vcc_lo
	v_cmp_eq_u32_e32 vcc_lo, 2, v0
	s_delay_alu instid0(VALU_DEP_2) | instskip(SKIP_1) | instid1(VALU_DEP_2)
	v_cndmask_b32_e32 v60, v60, v20, vcc_lo
	v_cmp_eq_u32_e32 vcc_lo, 3, v0
	v_cndmask_b32_e32 v60, v60, v21, vcc_lo
	v_cmp_eq_u32_e32 vcc_lo, 4, v0
	s_delay_alu instid0(VALU_DEP_2) | instskip(SKIP_1) | instid1(VALU_DEP_2)
	v_cndmask_b32_e32 v60, v60, v22, vcc_lo
	v_cmp_eq_u32_e32 vcc_lo, 5, v0
	;; [unrolled: 5-line block ×5, first 2 shown]
	v_cndmask_b32_e32 v60, v60, v29, vcc_lo
	v_cmp_eq_u32_e32 vcc_lo, 12, v0
	s_delay_alu instid0(VALU_DEP_2) | instskip(SKIP_1) | instid1(VALU_DEP_1)
	v_cndmask_b32_e32 v60, v60, v30, vcc_lo
	s_wait_dscnt 0x0
	v_mul_f32_e32 v63, v60, v61
	s_cbranch_execz .LBB12_133
	s_branch .LBB12_134
.LBB12_132:
                                        ; implicit-def: $vgpr63
.LBB12_133:
	ds_load_b32 v63, v64
.LBB12_134:
	s_and_saveexec_b32 s5, s1
	s_cbranch_execz .LBB12_144
; %bb.135:
	v_dual_add_nc_u32 v60, -4, v0 :: v_dual_add_nc_u32 v61, -3, v0
	s_delay_alu instid0(VALU_DEP_1)
	v_cmp_lt_u32_e32 vcc_lo, 6, v60
	v_mov_b32_e32 v60, 3
	s_and_saveexec_b32 s1, vcc_lo
	s_cbranch_execz .LBB12_139
; %bb.136:
	v_and_b32_e32 v60, -8, v61
	s_mov_b32 s6, 0
	s_mov_b64 s[2:3], 10
	s_movk_i32 s7, 0x4c
	s_delay_alu instid0(VALU_DEP_1)
	v_sub_nc_u32_e32 v62, 0, v60
.LBB12_137:                             ; =>This Inner Loop Header: Depth=1
	s_add_co_i32 m0, s2, -7
	v_movrels_b32_e32 v65, v18
	v_mov_b32_e32 v60, s7
	s_add_co_i32 m0, s2, -6
	s_add_co_i32 s7, s7, 32
	v_movrels_b32_e32 v74, v18
	ds_load_2addr_b32 v[66:67], v60 offset1:1
	ds_load_2addr_b32 v[68:69], v60 offset0:2 offset1:3
	s_add_co_i32 m0, s2, -5
	s_wait_dscnt 0x1
	v_fmac_f32_e32 v63, v65, v66
	ds_load_2addr_b32 v[70:71], v60 offset0:4 offset1:5
	ds_load_2addr_b32 v[72:73], v60 offset0:6 offset1:7
	v_movrels_b32_e32 v60, v18
	s_add_co_i32 m0, s2, -4
	v_fmac_f32_e32 v63, v74, v67
	v_movrels_b32_e32 v65, v18
	s_add_co_i32 m0, s2, -3
	s_wait_dscnt 0x2
	s_delay_alu instid0(VALU_DEP_2) | instskip(SKIP_2) | instid1(VALU_DEP_2)
	v_fmac_f32_e32 v63, v60, v68
	v_movrels_b32_e32 v60, v18
	s_add_co_i32 m0, s2, -2
	v_fmac_f32_e32 v63, v65, v69
	v_movrels_b32_e32 v65, v18
	s_add_co_i32 m0, s2, -1
	s_wait_dscnt 0x1
	s_delay_alu instid0(VALU_DEP_2)
	v_fmac_f32_e32 v63, v60, v70
	v_movrels_b32_e32 v60, v18
	s_mov_b32 m0, s2
	s_add_nc_u64 s[2:3], s[2:3], 8
	v_movrels_b32_e32 v66, v18
	v_dual_fmac_f32 v63, v65, v71 :: v_dual_add_nc_u32 v65, s2, v62
	s_add_co_i32 s8, s2, -7
	s_wait_dscnt 0x0
	s_delay_alu instid0(VALU_DEP_1) | instskip(NEXT) | instid1(VALU_DEP_2)
	v_fmac_f32_e32 v63, v60, v72
	v_cmp_eq_u32_e32 vcc_lo, 10, v65
	s_delay_alu instid0(VALU_DEP_2) | instskip(SKIP_1) | instid1(SALU_CYCLE_1)
	v_dual_mov_b32 v60, s8 :: v_dual_fmac_f32 v63, v66, v73
	s_or_b32 s6, vcc_lo, s6
	s_and_not1_b32 exec_lo, exec_lo, s6
	s_cbranch_execnz .LBB12_137
; %bb.138:
	s_or_b32 exec_lo, exec_lo, s6
.LBB12_139:
	s_delay_alu instid0(SALU_CYCLE_1) | instskip(SKIP_3) | instid1(VALU_DEP_1)
	s_or_b32 exec_lo, exec_lo, s1
	v_and_b32_e32 v31, 7, v61
	s_mov_b32 s2, 0
	s_mov_b32 s1, exec_lo
	v_cmpx_ne_u32_e32 0, v31
	s_cbranch_execz .LBB12_143
; %bb.140:
	v_lshl_add_u32 v32, v60, 2, 64
	v_mov_b32_e32 v61, 0
.LBB12_141:                             ; =>This Inner Loop Header: Depth=1
	v_cmp_eq_u32_e32 vcc_lo, 1, v60
	ds_load_b32 v62, v32
	v_dual_add_nc_u32 v32, 4, v32 :: v_dual_add_nc_u32 v31, -1, v31
	v_cndmask_b32_e32 v33, v18, v19, vcc_lo
	v_cmp_eq_u32_e32 vcc_lo, 2, v60
	s_delay_alu instid0(VALU_DEP_2) | instskip(SKIP_1) | instid1(VALU_DEP_2)
	v_cndmask_b32_e32 v33, v33, v20, vcc_lo
	v_cmp_eq_u32_e32 vcc_lo, 3, v60
	v_cndmask_b32_e32 v33, v33, v21, vcc_lo
	v_cmp_eq_u32_e32 vcc_lo, 4, v60
	s_delay_alu instid0(VALU_DEP_2) | instskip(SKIP_1) | instid1(VALU_DEP_2)
	v_cndmask_b32_e32 v33, v33, v22, vcc_lo
	v_cmp_eq_u32_e32 vcc_lo, 5, v60
	;; [unrolled: 5-line block ×5, first 2 shown]
	v_cndmask_b32_e32 v33, v33, v29, vcc_lo
	v_cmp_eq_u32_e32 vcc_lo, 12, v60
	v_add_nc_u64_e32 v[60:61], 1, v[60:61]
	s_delay_alu instid0(VALU_DEP_3) | instskip(SKIP_2) | instid1(VALU_DEP_2)
	v_cndmask_b32_e32 v33, v33, v30, vcc_lo
	v_cmp_eq_u32_e32 vcc_lo, 0, v31
	s_wait_dscnt 0x0
	v_fmac_f32_e32 v63, v33, v62
	s_or_b32 s2, vcc_lo, s2
	s_delay_alu instid0(SALU_CYCLE_1)
	s_and_not1_b32 exec_lo, exec_lo, s2
	s_cbranch_execnz .LBB12_141
; %bb.142:
	s_or_b32 exec_lo, exec_lo, s2
.LBB12_143:
	s_delay_alu instid0(SALU_CYCLE_1)
	s_or_b32 exec_lo, exec_lo, s1
.LBB12_144:
	s_delay_alu instid0(SALU_CYCLE_1)
	s_or_b32 exec_lo, exec_lo, s5
	v_mov_b32_e32 v20, 0
	ds_load_b32 v20, v20 offset:8
	s_wait_dscnt 0x0
	v_mul_f32_e32 v20, v63, v20
.LBB12_145:
	s_or_b32 exec_lo, exec_lo, s4
	v_cmp_lt_u32_e64 s1, 1, v0
	ds_store_b32 v64, v19
	s_wait_dscnt 0x0
	s_barrier_signal -1
	s_barrier_wait -1
	s_and_saveexec_b32 s4, s1
	s_cbranch_execz .LBB12_161
; %bb.146:
	s_and_not1_b32 vcc_lo, exec_lo, s13
	s_cbranch_vccnz .LBB12_148
; %bb.147:
	v_cmp_eq_u32_e32 vcc_lo, 1, v0
	ds_load_b32 v61, v64
	v_cndmask_b32_e32 v60, v18, v19, vcc_lo
	v_cmp_eq_u32_e32 vcc_lo, 2, v0
	s_delay_alu instid0(VALU_DEP_2) | instskip(SKIP_1) | instid1(VALU_DEP_2)
	v_cndmask_b32_e32 v60, v60, v20, vcc_lo
	v_cmp_eq_u32_e32 vcc_lo, 3, v0
	v_cndmask_b32_e32 v60, v60, v21, vcc_lo
	v_cmp_eq_u32_e32 vcc_lo, 4, v0
	s_delay_alu instid0(VALU_DEP_2) | instskip(SKIP_1) | instid1(VALU_DEP_2)
	v_cndmask_b32_e32 v60, v60, v22, vcc_lo
	v_cmp_eq_u32_e32 vcc_lo, 5, v0
	;; [unrolled: 5-line block ×5, first 2 shown]
	v_cndmask_b32_e32 v60, v60, v29, vcc_lo
	v_cmp_eq_u32_e32 vcc_lo, 12, v0
	s_delay_alu instid0(VALU_DEP_2) | instskip(SKIP_1) | instid1(VALU_DEP_1)
	v_cndmask_b32_e32 v60, v60, v30, vcc_lo
	s_wait_dscnt 0x0
	v_mul_f32_e32 v63, v60, v61
	s_cbranch_execz .LBB12_149
	s_branch .LBB12_150
.LBB12_148:
                                        ; implicit-def: $vgpr63
.LBB12_149:
	ds_load_b32 v63, v64
.LBB12_150:
	s_and_saveexec_b32 s5, s0
	s_cbranch_execz .LBB12_160
; %bb.151:
	v_dual_add_nc_u32 v60, -3, v0 :: v_dual_add_nc_u32 v61, -2, v0
	s_delay_alu instid0(VALU_DEP_1)
	v_cmp_lt_u32_e32 vcc_lo, 6, v60
	v_mov_b32_e32 v60, 2
	s_and_saveexec_b32 s0, vcc_lo
	s_cbranch_execz .LBB12_155
; %bb.152:
	v_and_b32_e32 v60, -8, v61
	s_mov_b32 s6, 0
	s_mov_b64 s[2:3], 9
	s_movk_i32 s7, 0x48
	s_delay_alu instid0(VALU_DEP_1)
	v_sub_nc_u32_e32 v62, 0, v60
.LBB12_153:                             ; =>This Inner Loop Header: Depth=1
	s_add_co_i32 m0, s2, -7
	v_movrels_b32_e32 v65, v18
	v_mov_b32_e32 v60, s7
	s_add_co_i32 m0, s2, -6
	s_add_co_i32 s7, s7, 32
	v_movrels_b32_e32 v74, v18
	s_add_co_i32 m0, s2, -5
	ds_load_2addr_b64 v[66:69], v60 offset1:1
	ds_load_2addr_b64 v[70:73], v60 offset0:2 offset1:3
	v_movrels_b32_e32 v60, v18
	s_add_co_i32 m0, s2, -4
	s_wait_dscnt 0x1
	v_fmac_f32_e32 v63, v65, v66
	v_movrels_b32_e32 v65, v18
	s_add_co_i32 m0, s2, -3
	s_delay_alu instid0(VALU_DEP_2) | instskip(NEXT) | instid1(VALU_DEP_1)
	v_fmac_f32_e32 v63, v74, v67
	v_fmac_f32_e32 v63, v60, v68
	v_movrels_b32_e32 v60, v18
	s_add_co_i32 m0, s2, -2
	s_delay_alu instid0(VALU_DEP_2) | instskip(SKIP_3) | instid1(VALU_DEP_2)
	v_fmac_f32_e32 v63, v65, v69
	v_movrels_b32_e32 v65, v18
	s_add_co_i32 m0, s2, -1
	s_wait_dscnt 0x0
	v_fmac_f32_e32 v63, v60, v70
	v_movrels_b32_e32 v60, v18
	s_mov_b32 m0, s2
	s_add_nc_u64 s[2:3], s[2:3], 8
	v_movrels_b32_e32 v66, v18
	v_dual_fmac_f32 v63, v65, v71 :: v_dual_add_nc_u32 v65, s2, v62
	s_add_co_i32 s8, s2, -7
	s_delay_alu instid0(VALU_DEP_1) | instskip(NEXT) | instid1(VALU_DEP_2)
	v_fmac_f32_e32 v63, v60, v72
	v_cmp_eq_u32_e32 vcc_lo, 9, v65
	s_delay_alu instid0(VALU_DEP_2) | instskip(SKIP_1) | instid1(SALU_CYCLE_1)
	v_dual_mov_b32 v60, s8 :: v_dual_fmac_f32 v63, v66, v73
	s_or_b32 s6, vcc_lo, s6
	s_and_not1_b32 exec_lo, exec_lo, s6
	s_cbranch_execnz .LBB12_153
; %bb.154:
	s_or_b32 exec_lo, exec_lo, s6
.LBB12_155:
	s_delay_alu instid0(SALU_CYCLE_1) | instskip(SKIP_3) | instid1(VALU_DEP_1)
	s_or_b32 exec_lo, exec_lo, s0
	v_and_b32_e32 v31, 7, v61
	s_mov_b32 s2, 0
	s_mov_b32 s0, exec_lo
	v_cmpx_ne_u32_e32 0, v31
	s_cbranch_execz .LBB12_159
; %bb.156:
	v_lshl_add_u32 v32, v60, 2, 64
	v_mov_b32_e32 v61, 0
.LBB12_157:                             ; =>This Inner Loop Header: Depth=1
	v_cmp_eq_u32_e32 vcc_lo, 1, v60
	ds_load_b32 v62, v32
	v_dual_add_nc_u32 v32, 4, v32 :: v_dual_add_nc_u32 v31, -1, v31
	v_cndmask_b32_e32 v33, v18, v19, vcc_lo
	v_cmp_eq_u32_e32 vcc_lo, 2, v60
	s_delay_alu instid0(VALU_DEP_2) | instskip(SKIP_1) | instid1(VALU_DEP_2)
	v_cndmask_b32_e32 v33, v33, v20, vcc_lo
	v_cmp_eq_u32_e32 vcc_lo, 3, v60
	v_cndmask_b32_e32 v33, v33, v21, vcc_lo
	v_cmp_eq_u32_e32 vcc_lo, 4, v60
	s_delay_alu instid0(VALU_DEP_2) | instskip(SKIP_1) | instid1(VALU_DEP_2)
	v_cndmask_b32_e32 v33, v33, v22, vcc_lo
	v_cmp_eq_u32_e32 vcc_lo, 5, v60
	;; [unrolled: 5-line block ×5, first 2 shown]
	v_cndmask_b32_e32 v33, v33, v29, vcc_lo
	v_cmp_eq_u32_e32 vcc_lo, 12, v60
	v_add_nc_u64_e32 v[60:61], 1, v[60:61]
	s_delay_alu instid0(VALU_DEP_3) | instskip(SKIP_2) | instid1(VALU_DEP_2)
	v_cndmask_b32_e32 v33, v33, v30, vcc_lo
	v_cmp_eq_u32_e32 vcc_lo, 0, v31
	s_wait_dscnt 0x0
	v_fmac_f32_e32 v63, v33, v62
	s_or_b32 s2, vcc_lo, s2
	s_delay_alu instid0(SALU_CYCLE_1)
	s_and_not1_b32 exec_lo, exec_lo, s2
	s_cbranch_execnz .LBB12_157
; %bb.158:
	s_or_b32 exec_lo, exec_lo, s2
.LBB12_159:
	s_delay_alu instid0(SALU_CYCLE_1)
	s_or_b32 exec_lo, exec_lo, s0
.LBB12_160:
	s_delay_alu instid0(SALU_CYCLE_1)
	s_or_b32 exec_lo, exec_lo, s5
	v_mov_b32_e32 v19, 0
	ds_load_b32 v19, v19 offset:4
	s_wait_dscnt 0x0
	v_mul_f32_e32 v19, v63, v19
.LBB12_161:
	s_or_b32 exec_lo, exec_lo, s4
	s_mov_b32 s2, 0
	s_mov_b32 s3, exec_lo
	ds_store_b32 v64, v18
	s_wait_dscnt 0x0
	s_barrier_signal -1
	s_barrier_wait -1
	v_cmpx_ne_u32_e32 0, v0
	s_cbranch_execz .LBB12_177
; %bb.162:
	s_and_not1_b32 vcc_lo, exec_lo, s13
	s_cbranch_vccnz .LBB12_164
; %bb.163:
	v_cmp_eq_u32_e32 vcc_lo, 1, v0
	ds_load_b32 v61, v64
	v_cndmask_b32_e32 v60, v18, v19, vcc_lo
	v_cmp_eq_u32_e32 vcc_lo, 2, v0
	s_delay_alu instid0(VALU_DEP_2) | instskip(SKIP_1) | instid1(VALU_DEP_2)
	v_cndmask_b32_e32 v60, v60, v20, vcc_lo
	v_cmp_eq_u32_e32 vcc_lo, 3, v0
	v_cndmask_b32_e32 v60, v60, v21, vcc_lo
	v_cmp_eq_u32_e32 vcc_lo, 4, v0
	s_delay_alu instid0(VALU_DEP_2) | instskip(SKIP_1) | instid1(VALU_DEP_2)
	v_cndmask_b32_e32 v60, v60, v22, vcc_lo
	v_cmp_eq_u32_e32 vcc_lo, 5, v0
	;; [unrolled: 5-line block ×5, first 2 shown]
	v_cndmask_b32_e32 v60, v60, v29, vcc_lo
	v_cmp_eq_u32_e32 vcc_lo, 12, v0
	s_delay_alu instid0(VALU_DEP_2) | instskip(SKIP_1) | instid1(VALU_DEP_1)
	v_cndmask_b32_e32 v60, v60, v30, vcc_lo
	s_wait_dscnt 0x0
	v_mul_f32_e32 v63, v60, v61
	s_cbranch_execz .LBB12_165
	s_branch .LBB12_166
.LBB12_164:
                                        ; implicit-def: $vgpr63
.LBB12_165:
	ds_load_b32 v63, v64
.LBB12_166:
	s_and_saveexec_b32 s4, s1
	s_cbranch_execz .LBB12_176
; %bb.167:
	v_dual_add_nc_u32 v60, -2, v0 :: v_dual_add_nc_u32 v61, -1, v0
	s_delay_alu instid0(VALU_DEP_1)
	v_cmp_lt_u32_e32 vcc_lo, 6, v60
	v_mov_b32_e32 v60, 1
	s_and_saveexec_b32 s5, vcc_lo
	s_cbranch_execz .LBB12_171
; %bb.168:
	v_and_b32_e32 v60, -8, v61
	s_mov_b32 s6, 0
	s_mov_b64 s[0:1], 8
	s_movk_i32 s7, 0x44
	s_delay_alu instid0(VALU_DEP_1)
	v_sub_nc_u32_e32 v62, 0, v60
.LBB12_169:                             ; =>This Inner Loop Header: Depth=1
	s_add_co_i32 m0, s0, -7
	v_movrels_b32_e32 v65, v18
	v_mov_b32_e32 v60, s7
	s_add_co_i32 m0, s0, -6
	s_add_co_i32 s7, s7, 32
	v_movrels_b32_e32 v74, v18
	ds_load_2addr_b32 v[66:67], v60 offset1:1
	ds_load_2addr_b32 v[68:69], v60 offset0:2 offset1:3
	s_add_co_i32 m0, s0, -5
	s_wait_dscnt 0x1
	v_fmac_f32_e32 v63, v65, v66
	ds_load_2addr_b32 v[70:71], v60 offset0:4 offset1:5
	ds_load_2addr_b32 v[72:73], v60 offset0:6 offset1:7
	v_movrels_b32_e32 v60, v18
	s_add_co_i32 m0, s0, -4
	v_fmac_f32_e32 v63, v74, v67
	v_movrels_b32_e32 v65, v18
	s_add_co_i32 m0, s0, -3
	s_wait_dscnt 0x2
	s_delay_alu instid0(VALU_DEP_2) | instskip(SKIP_2) | instid1(VALU_DEP_2)
	v_fmac_f32_e32 v63, v60, v68
	v_movrels_b32_e32 v60, v18
	s_add_co_i32 m0, s0, -2
	v_fmac_f32_e32 v63, v65, v69
	v_movrels_b32_e32 v65, v18
	s_add_co_i32 m0, s0, -1
	s_wait_dscnt 0x1
	s_delay_alu instid0(VALU_DEP_2)
	v_fmac_f32_e32 v63, v60, v70
	v_movrels_b32_e32 v60, v18
	s_mov_b32 m0, s0
	s_add_nc_u64 s[0:1], s[0:1], 8
	v_movrels_b32_e32 v66, v18
	v_dual_fmac_f32 v63, v65, v71 :: v_dual_add_nc_u32 v65, s0, v62
	s_add_co_i32 s8, s0, -7
	s_wait_dscnt 0x0
	s_delay_alu instid0(VALU_DEP_1) | instskip(NEXT) | instid1(VALU_DEP_2)
	v_fmac_f32_e32 v63, v60, v72
	v_cmp_eq_u32_e32 vcc_lo, 8, v65
	s_delay_alu instid0(VALU_DEP_2) | instskip(SKIP_1) | instid1(SALU_CYCLE_1)
	v_dual_mov_b32 v60, s8 :: v_dual_fmac_f32 v63, v66, v73
	s_or_b32 s6, vcc_lo, s6
	s_and_not1_b32 exec_lo, exec_lo, s6
	s_cbranch_execnz .LBB12_169
; %bb.170:
	s_or_b32 exec_lo, exec_lo, s6
.LBB12_171:
	s_delay_alu instid0(SALU_CYCLE_1) | instskip(SKIP_3) | instid1(VALU_DEP_1)
	s_or_b32 exec_lo, exec_lo, s5
	v_and_b32_e32 v31, 7, v61
	s_mov_b32 s1, 0
	s_mov_b32 s0, exec_lo
	v_cmpx_ne_u32_e32 0, v31
	s_cbranch_execz .LBB12_175
; %bb.172:
	v_lshl_add_u32 v32, v60, 2, 64
	v_mov_b32_e32 v61, 0
.LBB12_173:                             ; =>This Inner Loop Header: Depth=1
	v_cmp_eq_u32_e32 vcc_lo, 1, v60
	ds_load_b32 v62, v32
	v_dual_add_nc_u32 v32, 4, v32 :: v_dual_add_nc_u32 v31, -1, v31
	v_cndmask_b32_e32 v33, v18, v19, vcc_lo
	v_cmp_eq_u32_e32 vcc_lo, 2, v60
	s_delay_alu instid0(VALU_DEP_2) | instskip(SKIP_1) | instid1(VALU_DEP_2)
	v_cndmask_b32_e32 v33, v33, v20, vcc_lo
	v_cmp_eq_u32_e32 vcc_lo, 3, v60
	v_cndmask_b32_e32 v33, v33, v21, vcc_lo
	v_cmp_eq_u32_e32 vcc_lo, 4, v60
	s_delay_alu instid0(VALU_DEP_2) | instskip(SKIP_1) | instid1(VALU_DEP_2)
	v_cndmask_b32_e32 v33, v33, v22, vcc_lo
	v_cmp_eq_u32_e32 vcc_lo, 5, v60
	;; [unrolled: 5-line block ×5, first 2 shown]
	v_cndmask_b32_e32 v33, v33, v29, vcc_lo
	v_cmp_eq_u32_e32 vcc_lo, 12, v60
	v_add_nc_u64_e32 v[60:61], 1, v[60:61]
	s_delay_alu instid0(VALU_DEP_3) | instskip(SKIP_2) | instid1(VALU_DEP_2)
	v_cndmask_b32_e32 v33, v33, v30, vcc_lo
	v_cmp_eq_u32_e32 vcc_lo, 0, v31
	s_wait_dscnt 0x0
	v_fmac_f32_e32 v63, v33, v62
	s_or_b32 s1, vcc_lo, s1
	s_delay_alu instid0(SALU_CYCLE_1)
	s_and_not1_b32 exec_lo, exec_lo, s1
	s_cbranch_execnz .LBB12_173
; %bb.174:
	s_or_b32 exec_lo, exec_lo, s1
.LBB12_175:
	s_delay_alu instid0(SALU_CYCLE_1)
	s_or_b32 exec_lo, exec_lo, s0
.LBB12_176:
	s_delay_alu instid0(SALU_CYCLE_1)
	s_or_b32 exec_lo, exec_lo, s4
	v_mov_b32_e32 v18, 0
	ds_load_b32 v18, v18
	s_wait_dscnt 0x0
	v_mul_f32_e32 v18, v63, v18
.LBB12_177:
	s_or_b32 exec_lo, exec_lo, s3
	s_delay_alu instid0(SALU_CYCLE_1)
	s_and_b32 vcc_lo, exec_lo, s2
	s_cbranch_vccz .LBB12_301
.LBB12_178:
	v_cmp_eq_u32_e64 s0, 0, v0
	s_wait_loadcnt 0xc
	ds_store_b32 v64, v3
	s_wait_loadcnt_dscnt 0x0
	s_barrier_signal -1
	s_barrier_wait -1
	s_and_saveexec_b32 s1, s0
	s_cbranch_execz .LBB12_184
; %bb.179:
	s_and_b32 vcc_lo, exec_lo, s13
	s_cbranch_vccz .LBB12_181
; %bb.180:
	v_cmp_eq_u32_e32 vcc_lo, 1, v0
	ds_load_b32 v15, v64
	v_cndmask_b32_e32 v3, v2, v3, vcc_lo
	v_cmp_eq_u32_e32 vcc_lo, 2, v0
	s_delay_alu instid0(VALU_DEP_2) | instskip(SKIP_1) | instid1(VALU_DEP_2)
	v_cndmask_b32_e32 v3, v3, v4, vcc_lo
	v_cmp_eq_u32_e32 vcc_lo, 3, v0
	v_cndmask_b32_e32 v3, v3, v5, vcc_lo
	v_cmp_eq_u32_e32 vcc_lo, 4, v0
	s_delay_alu instid0(VALU_DEP_2) | instskip(SKIP_1) | instid1(VALU_DEP_2)
	v_cndmask_b32_e32 v3, v3, v6, vcc_lo
	v_cmp_eq_u32_e32 vcc_lo, 5, v0
	;; [unrolled: 5-line block ×5, first 2 shown]
	v_cndmask_b32_e32 v3, v3, v13, vcc_lo
	v_cmp_eq_u32_e32 vcc_lo, 12, v0
	s_delay_alu instid0(VALU_DEP_2) | instskip(SKIP_1) | instid1(VALU_DEP_1)
	v_cndmask_b32_e32 v3, v3, v14, vcc_lo
	s_wait_dscnt 0x0
	v_mul_f32_e32 v3, v3, v15
	s_cbranch_execz .LBB12_182
	s_branch .LBB12_183
.LBB12_181:
                                        ; implicit-def: $vgpr3
.LBB12_182:
	ds_load_b32 v3, v64
.LBB12_183:
	v_mov_b32_e32 v15, 0
	ds_load_b32 v15, v15 offset:4
	s_wait_dscnt 0x0
	v_mul_f32_e32 v3, v3, v15
.LBB12_184:
	s_or_b32 exec_lo, exec_lo, s1
	v_cndmask_b32_e64 v18, 0, 1, s13
	s_mov_b32 s1, exec_lo
	ds_store_b32 v64, v4
	s_wait_dscnt 0x0
	s_barrier_signal -1
	s_barrier_wait -1
	v_cmpx_gt_u32_e32 2, v0
	s_cbranch_execz .LBB12_190
; %bb.185:
	s_and_not1_b32 vcc_lo, exec_lo, s13
	s_cbranch_vccnz .LBB12_187
; %bb.186:
	v_cmp_eq_u32_e32 vcc_lo, 1, v0
	v_cndmask_b32_e32 v15, v2, v3, vcc_lo
	v_cmp_eq_u32_e32 vcc_lo, 2, v0
	s_delay_alu instid0(VALU_DEP_2) | instskip(SKIP_4) | instid1(VALU_DEP_2)
	v_cndmask_b32_e32 v4, v15, v4, vcc_lo
	v_cmp_eq_u32_e32 vcc_lo, 3, v0
	ds_load_b32 v15, v64
	v_cndmask_b32_e32 v4, v4, v5, vcc_lo
	v_cmp_eq_u32_e32 vcc_lo, 4, v0
	v_cndmask_b32_e32 v4, v4, v6, vcc_lo
	v_cmp_eq_u32_e32 vcc_lo, 5, v0
	s_delay_alu instid0(VALU_DEP_2) | instskip(SKIP_1) | instid1(VALU_DEP_2)
	v_cndmask_b32_e32 v4, v4, v7, vcc_lo
	v_cmp_eq_u32_e32 vcc_lo, 6, v0
	v_cndmask_b32_e32 v4, v4, v8, vcc_lo
	v_cmp_eq_u32_e32 vcc_lo, 7, v0
	s_delay_alu instid0(VALU_DEP_2) | instskip(SKIP_1) | instid1(VALU_DEP_2)
	;; [unrolled: 5-line block ×4, first 2 shown]
	v_cndmask_b32_e32 v4, v4, v13, vcc_lo
	v_cmp_eq_u32_e32 vcc_lo, 12, v0
	v_cndmask_b32_e32 v4, v4, v14, vcc_lo
	s_wait_dscnt 0x0
	s_delay_alu instid0(VALU_DEP_1)
	v_mul_f32_e32 v4, v4, v15
	s_cbranch_execz .LBB12_188
	s_branch .LBB12_189
.LBB12_187:
                                        ; implicit-def: $vgpr4
.LBB12_188:
	ds_load_b32 v4, v64
.LBB12_189:
	v_mov_b32_e32 v15, 0
	ds_load_2addr_b32 v[16:17], v15 offset0:2 offset1:17
	s_wait_dscnt 0x0
	v_fma_f32 v15, v3, v17, v4
	s_delay_alu instid0(VALU_DEP_1) | instskip(NEXT) | instid1(VALU_DEP_1)
	v_cndmask_b32_e64 v4, v4, v15, s0
	v_mul_f32_e32 v4, v4, v16
.LBB12_190:
	s_or_b32 exec_lo, exec_lo, s1
	v_add_nc_u32_e32 v19, 1, v0
	v_cmp_gt_u32_e64 s1, 3, v0
	ds_store_b32 v64, v5
	s_wait_dscnt 0x0
	s_barrier_signal -1
	s_barrier_wait -1
	s_and_saveexec_b32 s2, s1
	s_cbranch_execz .LBB12_198
; %bb.191:
	v_cmp_ne_u32_e32 vcc_lo, 1, v18
	s_cbranch_vccnz .LBB12_193
; %bb.192:
	v_cmp_eq_u32_e32 vcc_lo, 1, v0
	ds_load_b32 v16, v64
	v_cndmask_b32_e32 v15, v2, v3, vcc_lo
	v_cmp_eq_u32_e32 vcc_lo, 2, v0
	s_delay_alu instid0(VALU_DEP_2) | instskip(SKIP_1) | instid1(VALU_DEP_2)
	v_cndmask_b32_e32 v15, v15, v4, vcc_lo
	v_cmp_eq_u32_e32 vcc_lo, 3, v0
	v_cndmask_b32_e32 v15, v15, v5, vcc_lo
	v_cmp_eq_u32_e32 vcc_lo, 4, v0
	s_delay_alu instid0(VALU_DEP_2) | instskip(SKIP_1) | instid1(VALU_DEP_2)
	v_cndmask_b32_e32 v15, v15, v6, vcc_lo
	v_cmp_eq_u32_e32 vcc_lo, 5, v0
	;; [unrolled: 5-line block ×5, first 2 shown]
	v_cndmask_b32_e32 v15, v15, v13, vcc_lo
	v_cmp_eq_u32_e32 vcc_lo, 12, v0
	s_delay_alu instid0(VALU_DEP_2) | instskip(SKIP_1) | instid1(VALU_DEP_1)
	v_cndmask_b32_e32 v15, v15, v14, vcc_lo
	s_wait_dscnt 0x0
	v_mul_f32_e32 v15, v15, v16
	s_cbranch_execz .LBB12_194
	s_branch .LBB12_195
.LBB12_193:
                                        ; implicit-def: $vgpr15
.LBB12_194:
	ds_load_b32 v15, v64
.LBB12_195:
	s_mov_b32 s3, exec_lo
	v_cmpx_ne_u32_e32 2, v0
	s_cbranch_execz .LBB12_197
; %bb.196:
	v_cmp_eq_u32_e32 vcc_lo, 1, v19
	v_dual_mov_b32 v17, 0 :: v_dual_cndmask_b32 v16, v2, v3
	v_cmp_eq_u32_e32 vcc_lo, 2, v19
	ds_load_b32 v17, v17 offset:72
	v_cndmask_b32_e32 v16, v16, v4, vcc_lo
	v_cmp_eq_u32_e32 vcc_lo, 3, v19
	s_delay_alu instid0(VALU_DEP_2) | instskip(SKIP_4) | instid1(VALU_DEP_2)
	v_cndmask_b32_e32 v5, v16, v5, vcc_lo
	v_cmp_eq_u32_e32 vcc_lo, 4, v19
	ds_load_b32 v16, v64 offset:4
	v_cndmask_b32_e32 v5, v5, v6, vcc_lo
	v_cmp_eq_u32_e32 vcc_lo, 5, v19
	v_cndmask_b32_e32 v5, v5, v7, vcc_lo
	v_cmp_eq_u32_e32 vcc_lo, 6, v19
	s_delay_alu instid0(VALU_DEP_2) | instskip(SKIP_1) | instid1(VALU_DEP_2)
	v_cndmask_b32_e32 v5, v5, v8, vcc_lo
	v_cmp_eq_u32_e32 vcc_lo, 7, v19
	v_cndmask_b32_e32 v5, v5, v9, vcc_lo
	v_cmp_eq_u32_e32 vcc_lo, 8, v19
	s_delay_alu instid0(VALU_DEP_2) | instskip(SKIP_1) | instid1(VALU_DEP_2)
	v_cndmask_b32_e32 v5, v5, v10, vcc_lo
	v_cmp_eq_u32_e32 vcc_lo, 9, v19
	v_cndmask_b32_e32 v5, v5, v11, vcc_lo
	v_cmp_eq_u32_e32 vcc_lo, 10, v19
	s_delay_alu instid0(VALU_DEP_2) | instskip(SKIP_1) | instid1(VALU_DEP_2)
	v_cndmask_b32_e32 v5, v5, v12, vcc_lo
	v_cmp_eq_u32_e32 vcc_lo, 11, v19
	v_cndmask_b32_e32 v5, v5, v13, vcc_lo
	v_cmp_eq_u32_e32 vcc_lo, 12, v19
	s_delay_alu instid0(VALU_DEP_2) | instskip(SKIP_1) | instid1(VALU_DEP_1)
	v_cndmask_b32_e32 v5, v5, v14, vcc_lo
	s_wait_dscnt 0x0
	v_fmac_f32_e32 v15, v5, v16
	s_delay_alu instid0(VALU_DEP_1) | instskip(NEXT) | instid1(VALU_DEP_1)
	v_fma_f32 v5, v4, v17, v15
	v_cndmask_b32_e64 v15, v15, v5, s0
.LBB12_197:
	s_or_b32 exec_lo, exec_lo, s3
	v_mov_b32_e32 v5, 0
	ds_load_b32 v5, v5 offset:12
	s_wait_dscnt 0x0
	v_mul_f32_e32 v5, v15, v5
.LBB12_198:
	s_or_b32 exec_lo, exec_lo, s2
	s_delay_alu instid0(SALU_CYCLE_1)
	s_mov_b32 s2, exec_lo
	ds_store_b32 v64, v6
	s_wait_dscnt 0x0
	s_barrier_signal -1
	s_barrier_wait -1
	v_cmpx_gt_u32_e32 4, v0
	s_cbranch_execz .LBB12_208
; %bb.199:
	v_cmp_ne_u32_e32 vcc_lo, 1, v18
	s_cbranch_vccnz .LBB12_201
; %bb.200:
	v_cmp_eq_u32_e32 vcc_lo, 1, v0
	ds_load_b32 v16, v64
	v_cndmask_b32_e32 v15, v2, v3, vcc_lo
	v_cmp_eq_u32_e32 vcc_lo, 2, v0
	s_delay_alu instid0(VALU_DEP_2) | instskip(SKIP_1) | instid1(VALU_DEP_2)
	v_cndmask_b32_e32 v15, v15, v4, vcc_lo
	v_cmp_eq_u32_e32 vcc_lo, 3, v0
	v_cndmask_b32_e32 v15, v15, v5, vcc_lo
	v_cmp_eq_u32_e32 vcc_lo, 4, v0
	s_delay_alu instid0(VALU_DEP_2) | instskip(SKIP_1) | instid1(VALU_DEP_2)
	v_cndmask_b32_e32 v15, v15, v6, vcc_lo
	v_cmp_eq_u32_e32 vcc_lo, 5, v0
	;; [unrolled: 5-line block ×5, first 2 shown]
	v_cndmask_b32_e32 v15, v15, v13, vcc_lo
	v_cmp_eq_u32_e32 vcc_lo, 12, v0
	s_delay_alu instid0(VALU_DEP_2) | instskip(SKIP_1) | instid1(VALU_DEP_1)
	v_cndmask_b32_e32 v15, v15, v14, vcc_lo
	s_wait_dscnt 0x0
	v_mul_f32_e32 v15, v15, v16
	s_cbranch_execz .LBB12_202
	s_branch .LBB12_203
.LBB12_201:
                                        ; implicit-def: $vgpr15
.LBB12_202:
	ds_load_b32 v15, v64
.LBB12_203:
	s_mov_b32 s3, exec_lo
	v_cmpx_ne_u32_e32 3, v0
	s_cbranch_execz .LBB12_207
; %bb.204:
	v_mov_b64_e32 v[16:17], v[0:1]
	v_lshl_add_u32 v20, v0, 2, 0x44
	s_mov_b32 s4, 0
.LBB12_205:                             ; =>This Inner Loop Header: Depth=1
	s_delay_alu instid0(VALU_DEP_2)
	v_add_nc_u64_e32 v[16:17], 1, v[16:17]
	ds_load_b32 v22, v20
	v_add_nc_u32_e32 v20, 4, v20
	v_cmp_eq_u32_e32 vcc_lo, 1, v16
	v_cndmask_b32_e32 v21, v2, v3, vcc_lo
	v_cmp_eq_u32_e32 vcc_lo, 2, v16
	s_delay_alu instid0(VALU_DEP_2) | instskip(SKIP_1) | instid1(VALU_DEP_2)
	v_cndmask_b32_e32 v21, v21, v4, vcc_lo
	v_cmp_eq_u32_e32 vcc_lo, 3, v16
	v_cndmask_b32_e32 v21, v21, v5, vcc_lo
	v_cmp_eq_u32_e32 vcc_lo, 4, v16
	s_delay_alu instid0(VALU_DEP_2) | instskip(SKIP_1) | instid1(VALU_DEP_2)
	v_cndmask_b32_e32 v21, v21, v6, vcc_lo
	v_cmp_eq_u32_e32 vcc_lo, 5, v16
	v_cndmask_b32_e32 v21, v21, v7, vcc_lo
	v_cmp_eq_u32_e32 vcc_lo, 6, v16
	s_delay_alu instid0(VALU_DEP_2) | instskip(SKIP_1) | instid1(VALU_DEP_2)
	v_cndmask_b32_e32 v21, v21, v8, vcc_lo
	v_cmp_eq_u32_e32 vcc_lo, 7, v16
	v_cndmask_b32_e32 v21, v21, v9, vcc_lo
	v_cmp_eq_u32_e32 vcc_lo, 8, v16
	s_delay_alu instid0(VALU_DEP_2) | instskip(SKIP_1) | instid1(VALU_DEP_2)
	v_cndmask_b32_e32 v21, v21, v10, vcc_lo
	v_cmp_eq_u32_e32 vcc_lo, 9, v16
	v_cndmask_b32_e32 v21, v21, v11, vcc_lo
	v_cmp_eq_u32_e32 vcc_lo, 10, v16
	s_delay_alu instid0(VALU_DEP_2) | instskip(SKIP_1) | instid1(VALU_DEP_2)
	v_cndmask_b32_e32 v21, v21, v12, vcc_lo
	v_cmp_eq_u32_e32 vcc_lo, 11, v16
	v_cndmask_b32_e32 v21, v21, v13, vcc_lo
	v_cmp_eq_u32_e32 vcc_lo, 12, v16
	s_delay_alu instid0(VALU_DEP_2) | instskip(SKIP_2) | instid1(VALU_DEP_2)
	v_cndmask_b32_e32 v21, v21, v14, vcc_lo
	v_cmp_lt_u32_e32 vcc_lo, 2, v16
	s_wait_dscnt 0x0
	v_fmac_f32_e32 v15, v21, v22
	s_or_b32 s4, vcc_lo, s4
	s_delay_alu instid0(SALU_CYCLE_1)
	s_and_not1_b32 exec_lo, exec_lo, s4
	s_cbranch_execnz .LBB12_205
; %bb.206:
	s_or_b32 exec_lo, exec_lo, s4
.LBB12_207:
	s_delay_alu instid0(SALU_CYCLE_1)
	s_or_b32 exec_lo, exec_lo, s3
	v_mov_b32_e32 v6, 0
	ds_load_b32 v6, v6 offset:16
	s_wait_dscnt 0x0
	v_mul_f32_e32 v6, v15, v6
.LBB12_208:
	s_or_b32 exec_lo, exec_lo, s2
	v_cmp_gt_u32_e64 s2, 5, v0
	ds_store_b32 v64, v7
	s_wait_dscnt 0x0
	s_barrier_signal -1
	s_barrier_wait -1
	s_and_saveexec_b32 s3, s2
	s_cbranch_execz .LBB12_218
; %bb.209:
	v_cmp_ne_u32_e32 vcc_lo, 1, v18
	s_cbranch_vccnz .LBB12_211
; %bb.210:
	v_cmp_eq_u32_e32 vcc_lo, 1, v0
	ds_load_b32 v16, v64
	v_cndmask_b32_e32 v15, v2, v3, vcc_lo
	v_cmp_eq_u32_e32 vcc_lo, 2, v0
	s_delay_alu instid0(VALU_DEP_2) | instskip(SKIP_1) | instid1(VALU_DEP_2)
	v_cndmask_b32_e32 v15, v15, v4, vcc_lo
	v_cmp_eq_u32_e32 vcc_lo, 3, v0
	v_cndmask_b32_e32 v15, v15, v5, vcc_lo
	v_cmp_eq_u32_e32 vcc_lo, 4, v0
	s_delay_alu instid0(VALU_DEP_2) | instskip(SKIP_1) | instid1(VALU_DEP_2)
	v_cndmask_b32_e32 v15, v15, v6, vcc_lo
	v_cmp_eq_u32_e32 vcc_lo, 5, v0
	;; [unrolled: 5-line block ×5, first 2 shown]
	v_cndmask_b32_e32 v15, v15, v13, vcc_lo
	v_cmp_eq_u32_e32 vcc_lo, 12, v0
	s_delay_alu instid0(VALU_DEP_2) | instskip(SKIP_1) | instid1(VALU_DEP_1)
	v_cndmask_b32_e32 v15, v15, v14, vcc_lo
	s_wait_dscnt 0x0
	v_mul_f32_e32 v15, v15, v16
	s_cbranch_execz .LBB12_212
	s_branch .LBB12_213
.LBB12_211:
                                        ; implicit-def: $vgpr15
.LBB12_212:
	ds_load_b32 v15, v64
.LBB12_213:
	s_mov_b32 s4, exec_lo
	v_cmpx_ne_u32_e32 4, v0
	s_cbranch_execz .LBB12_217
; %bb.214:
	v_mov_b64_e32 v[16:17], v[0:1]
	v_lshl_add_u32 v20, v0, 2, 0x44
	s_mov_b32 s5, 0
.LBB12_215:                             ; =>This Inner Loop Header: Depth=1
	s_delay_alu instid0(VALU_DEP_2)
	v_add_nc_u64_e32 v[16:17], 1, v[16:17]
	ds_load_b32 v22, v20
	v_add_nc_u32_e32 v20, 4, v20
	v_cmp_eq_u32_e32 vcc_lo, 1, v16
	v_cndmask_b32_e32 v21, v2, v3, vcc_lo
	v_cmp_eq_u32_e32 vcc_lo, 2, v16
	s_delay_alu instid0(VALU_DEP_2) | instskip(SKIP_1) | instid1(VALU_DEP_2)
	v_cndmask_b32_e32 v21, v21, v4, vcc_lo
	v_cmp_eq_u32_e32 vcc_lo, 3, v16
	v_cndmask_b32_e32 v21, v21, v5, vcc_lo
	v_cmp_eq_u32_e32 vcc_lo, 4, v16
	s_delay_alu instid0(VALU_DEP_2) | instskip(SKIP_1) | instid1(VALU_DEP_2)
	v_cndmask_b32_e32 v21, v21, v6, vcc_lo
	;; [unrolled: 5-line block ×5, first 2 shown]
	v_cmp_eq_u32_e32 vcc_lo, 11, v16
	v_cndmask_b32_e32 v21, v21, v13, vcc_lo
	v_cmp_eq_u32_e32 vcc_lo, 12, v16
	s_delay_alu instid0(VALU_DEP_2) | instskip(SKIP_2) | instid1(VALU_DEP_2)
	v_cndmask_b32_e32 v21, v21, v14, vcc_lo
	v_cmp_lt_u32_e32 vcc_lo, 3, v16
	s_wait_dscnt 0x0
	v_fmac_f32_e32 v15, v21, v22
	s_or_b32 s5, vcc_lo, s5
	s_delay_alu instid0(SALU_CYCLE_1)
	s_and_not1_b32 exec_lo, exec_lo, s5
	s_cbranch_execnz .LBB12_215
; %bb.216:
	s_or_b32 exec_lo, exec_lo, s5
.LBB12_217:
	s_delay_alu instid0(SALU_CYCLE_1)
	s_or_b32 exec_lo, exec_lo, s4
	v_mov_b32_e32 v7, 0
	ds_load_b32 v7, v7 offset:20
	s_wait_dscnt 0x0
	v_mul_f32_e32 v7, v15, v7
.LBB12_218:
	s_or_b32 exec_lo, exec_lo, s3
	s_delay_alu instid0(SALU_CYCLE_1)
	s_mov_b32 s3, exec_lo
	ds_store_b32 v64, v8
	s_wait_dscnt 0x0
	s_barrier_signal -1
	s_barrier_wait -1
	v_cmpx_gt_u32_e32 6, v0
	s_cbranch_execz .LBB12_228
; %bb.219:
	v_cmp_ne_u32_e32 vcc_lo, 1, v18
	s_cbranch_vccnz .LBB12_221
; %bb.220:
	v_cmp_eq_u32_e32 vcc_lo, 1, v0
	ds_load_b32 v16, v64
	v_cndmask_b32_e32 v15, v2, v3, vcc_lo
	v_cmp_eq_u32_e32 vcc_lo, 2, v0
	s_delay_alu instid0(VALU_DEP_2) | instskip(SKIP_1) | instid1(VALU_DEP_2)
	v_cndmask_b32_e32 v15, v15, v4, vcc_lo
	v_cmp_eq_u32_e32 vcc_lo, 3, v0
	v_cndmask_b32_e32 v15, v15, v5, vcc_lo
	v_cmp_eq_u32_e32 vcc_lo, 4, v0
	s_delay_alu instid0(VALU_DEP_2) | instskip(SKIP_1) | instid1(VALU_DEP_2)
	v_cndmask_b32_e32 v15, v15, v6, vcc_lo
	v_cmp_eq_u32_e32 vcc_lo, 5, v0
	;; [unrolled: 5-line block ×5, first 2 shown]
	v_cndmask_b32_e32 v15, v15, v13, vcc_lo
	v_cmp_eq_u32_e32 vcc_lo, 12, v0
	s_delay_alu instid0(VALU_DEP_2) | instskip(SKIP_1) | instid1(VALU_DEP_1)
	v_cndmask_b32_e32 v15, v15, v14, vcc_lo
	s_wait_dscnt 0x0
	v_mul_f32_e32 v15, v15, v16
	s_cbranch_execz .LBB12_222
	s_branch .LBB12_223
.LBB12_221:
                                        ; implicit-def: $vgpr15
.LBB12_222:
	ds_load_b32 v15, v64
.LBB12_223:
	s_mov_b32 s4, exec_lo
	v_cmpx_ne_u32_e32 5, v0
	s_cbranch_execz .LBB12_227
; %bb.224:
	v_mov_b64_e32 v[16:17], v[0:1]
	v_lshl_add_u32 v20, v0, 2, 0x44
	s_mov_b32 s5, 0
.LBB12_225:                             ; =>This Inner Loop Header: Depth=1
	s_delay_alu instid0(VALU_DEP_2)
	v_add_nc_u64_e32 v[16:17], 1, v[16:17]
	ds_load_b32 v22, v20
	v_add_nc_u32_e32 v20, 4, v20
	v_cmp_eq_u32_e32 vcc_lo, 1, v16
	v_cndmask_b32_e32 v21, v2, v3, vcc_lo
	v_cmp_eq_u32_e32 vcc_lo, 2, v16
	s_delay_alu instid0(VALU_DEP_2) | instskip(SKIP_1) | instid1(VALU_DEP_2)
	v_cndmask_b32_e32 v21, v21, v4, vcc_lo
	v_cmp_eq_u32_e32 vcc_lo, 3, v16
	v_cndmask_b32_e32 v21, v21, v5, vcc_lo
	v_cmp_eq_u32_e32 vcc_lo, 4, v16
	s_delay_alu instid0(VALU_DEP_2) | instskip(SKIP_1) | instid1(VALU_DEP_2)
	v_cndmask_b32_e32 v21, v21, v6, vcc_lo
	;; [unrolled: 5-line block ×5, first 2 shown]
	v_cmp_eq_u32_e32 vcc_lo, 11, v16
	v_cndmask_b32_e32 v21, v21, v13, vcc_lo
	v_cmp_eq_u32_e32 vcc_lo, 12, v16
	s_delay_alu instid0(VALU_DEP_2) | instskip(SKIP_2) | instid1(VALU_DEP_2)
	v_cndmask_b32_e32 v21, v21, v14, vcc_lo
	v_cmp_lt_u32_e32 vcc_lo, 4, v16
	s_wait_dscnt 0x0
	v_fmac_f32_e32 v15, v21, v22
	s_or_b32 s5, vcc_lo, s5
	s_delay_alu instid0(SALU_CYCLE_1)
	s_and_not1_b32 exec_lo, exec_lo, s5
	s_cbranch_execnz .LBB12_225
; %bb.226:
	s_or_b32 exec_lo, exec_lo, s5
.LBB12_227:
	s_delay_alu instid0(SALU_CYCLE_1)
	s_or_b32 exec_lo, exec_lo, s4
	v_mov_b32_e32 v8, 0
	ds_load_b32 v8, v8 offset:24
	s_wait_dscnt 0x0
	v_mul_f32_e32 v8, v15, v8
.LBB12_228:
	s_or_b32 exec_lo, exec_lo, s3
	v_cmp_gt_u32_e64 s3, 7, v0
	ds_store_b32 v64, v9
	s_wait_dscnt 0x0
	s_barrier_signal -1
	s_barrier_wait -1
	s_and_saveexec_b32 s4, s3
	s_cbranch_execz .LBB12_238
; %bb.229:
	v_cmp_ne_u32_e32 vcc_lo, 1, v18
	s_cbranch_vccnz .LBB12_231
; %bb.230:
	v_cmp_eq_u32_e32 vcc_lo, 1, v0
	ds_load_b32 v16, v64
	v_cndmask_b32_e32 v15, v2, v3, vcc_lo
	v_cmp_eq_u32_e32 vcc_lo, 2, v0
	s_delay_alu instid0(VALU_DEP_2) | instskip(SKIP_1) | instid1(VALU_DEP_2)
	v_cndmask_b32_e32 v15, v15, v4, vcc_lo
	v_cmp_eq_u32_e32 vcc_lo, 3, v0
	v_cndmask_b32_e32 v15, v15, v5, vcc_lo
	v_cmp_eq_u32_e32 vcc_lo, 4, v0
	s_delay_alu instid0(VALU_DEP_2) | instskip(SKIP_1) | instid1(VALU_DEP_2)
	v_cndmask_b32_e32 v15, v15, v6, vcc_lo
	v_cmp_eq_u32_e32 vcc_lo, 5, v0
	;; [unrolled: 5-line block ×5, first 2 shown]
	v_cndmask_b32_e32 v15, v15, v13, vcc_lo
	v_cmp_eq_u32_e32 vcc_lo, 12, v0
	s_delay_alu instid0(VALU_DEP_2) | instskip(SKIP_1) | instid1(VALU_DEP_1)
	v_cndmask_b32_e32 v15, v15, v14, vcc_lo
	s_wait_dscnt 0x0
	v_mul_f32_e32 v15, v15, v16
	s_cbranch_execz .LBB12_232
	s_branch .LBB12_233
.LBB12_231:
                                        ; implicit-def: $vgpr15
.LBB12_232:
	ds_load_b32 v15, v64
.LBB12_233:
	s_mov_b32 s5, exec_lo
	v_cmpx_ne_u32_e32 6, v0
	s_cbranch_execz .LBB12_237
; %bb.234:
	v_mov_b64_e32 v[16:17], v[0:1]
	v_lshl_add_u32 v20, v0, 2, 0x44
	s_mov_b32 s6, 0
.LBB12_235:                             ; =>This Inner Loop Header: Depth=1
	s_delay_alu instid0(VALU_DEP_2)
	v_add_nc_u64_e32 v[16:17], 1, v[16:17]
	ds_load_b32 v22, v20
	v_add_nc_u32_e32 v20, 4, v20
	v_cmp_eq_u32_e32 vcc_lo, 1, v16
	v_cndmask_b32_e32 v21, v2, v3, vcc_lo
	v_cmp_eq_u32_e32 vcc_lo, 2, v16
	s_delay_alu instid0(VALU_DEP_2) | instskip(SKIP_1) | instid1(VALU_DEP_2)
	v_cndmask_b32_e32 v21, v21, v4, vcc_lo
	v_cmp_eq_u32_e32 vcc_lo, 3, v16
	v_cndmask_b32_e32 v21, v21, v5, vcc_lo
	v_cmp_eq_u32_e32 vcc_lo, 4, v16
	s_delay_alu instid0(VALU_DEP_2) | instskip(SKIP_1) | instid1(VALU_DEP_2)
	v_cndmask_b32_e32 v21, v21, v6, vcc_lo
	;; [unrolled: 5-line block ×5, first 2 shown]
	v_cmp_eq_u32_e32 vcc_lo, 11, v16
	v_cndmask_b32_e32 v21, v21, v13, vcc_lo
	v_cmp_eq_u32_e32 vcc_lo, 12, v16
	s_delay_alu instid0(VALU_DEP_2) | instskip(SKIP_2) | instid1(VALU_DEP_2)
	v_cndmask_b32_e32 v21, v21, v14, vcc_lo
	v_cmp_lt_u32_e32 vcc_lo, 5, v16
	s_wait_dscnt 0x0
	v_fmac_f32_e32 v15, v21, v22
	s_or_b32 s6, vcc_lo, s6
	s_delay_alu instid0(SALU_CYCLE_1)
	s_and_not1_b32 exec_lo, exec_lo, s6
	s_cbranch_execnz .LBB12_235
; %bb.236:
	s_or_b32 exec_lo, exec_lo, s6
.LBB12_237:
	s_delay_alu instid0(SALU_CYCLE_1)
	s_or_b32 exec_lo, exec_lo, s5
	v_mov_b32_e32 v9, 0
	ds_load_b32 v9, v9 offset:28
	s_wait_dscnt 0x0
	v_mul_f32_e32 v9, v15, v9
.LBB12_238:
	s_or_b32 exec_lo, exec_lo, s4
	s_delay_alu instid0(SALU_CYCLE_1)
	s_mov_b32 s4, exec_lo
	ds_store_b32 v64, v10
	s_wait_dscnt 0x0
	s_barrier_signal -1
	s_barrier_wait -1
	v_cmpx_gt_u32_e32 8, v0
	s_cbranch_execz .LBB12_248
; %bb.239:
	v_cmp_ne_u32_e32 vcc_lo, 1, v18
	s_cbranch_vccnz .LBB12_241
; %bb.240:
	v_cmp_eq_u32_e32 vcc_lo, 1, v0
	ds_load_b32 v16, v64
	v_cndmask_b32_e32 v15, v2, v3, vcc_lo
	v_cmp_eq_u32_e32 vcc_lo, 2, v0
	s_delay_alu instid0(VALU_DEP_2) | instskip(SKIP_1) | instid1(VALU_DEP_2)
	v_cndmask_b32_e32 v15, v15, v4, vcc_lo
	v_cmp_eq_u32_e32 vcc_lo, 3, v0
	v_cndmask_b32_e32 v15, v15, v5, vcc_lo
	v_cmp_eq_u32_e32 vcc_lo, 4, v0
	s_delay_alu instid0(VALU_DEP_2) | instskip(SKIP_1) | instid1(VALU_DEP_2)
	v_cndmask_b32_e32 v15, v15, v6, vcc_lo
	v_cmp_eq_u32_e32 vcc_lo, 5, v0
	;; [unrolled: 5-line block ×5, first 2 shown]
	v_cndmask_b32_e32 v15, v15, v13, vcc_lo
	v_cmp_eq_u32_e32 vcc_lo, 12, v0
	s_delay_alu instid0(VALU_DEP_2) | instskip(SKIP_1) | instid1(VALU_DEP_1)
	v_cndmask_b32_e32 v15, v15, v14, vcc_lo
	s_wait_dscnt 0x0
	v_mul_f32_e32 v15, v15, v16
	s_cbranch_execz .LBB12_242
	s_branch .LBB12_243
.LBB12_241:
                                        ; implicit-def: $vgpr15
.LBB12_242:
	ds_load_b32 v15, v64
.LBB12_243:
	s_mov_b32 s5, exec_lo
	v_cmpx_ne_u32_e32 7, v0
	s_cbranch_execz .LBB12_247
; %bb.244:
	v_mov_b64_e32 v[16:17], v[0:1]
	v_lshl_add_u32 v20, v0, 2, 0x44
	s_mov_b32 s6, 0
.LBB12_245:                             ; =>This Inner Loop Header: Depth=1
	s_delay_alu instid0(VALU_DEP_2)
	v_add_nc_u64_e32 v[16:17], 1, v[16:17]
	ds_load_b32 v22, v20
	v_add_nc_u32_e32 v20, 4, v20
	v_cmp_eq_u32_e32 vcc_lo, 1, v16
	v_cndmask_b32_e32 v21, v2, v3, vcc_lo
	v_cmp_eq_u32_e32 vcc_lo, 2, v16
	s_delay_alu instid0(VALU_DEP_2) | instskip(SKIP_1) | instid1(VALU_DEP_2)
	v_cndmask_b32_e32 v21, v21, v4, vcc_lo
	v_cmp_eq_u32_e32 vcc_lo, 3, v16
	v_cndmask_b32_e32 v21, v21, v5, vcc_lo
	v_cmp_eq_u32_e32 vcc_lo, 4, v16
	s_delay_alu instid0(VALU_DEP_2) | instskip(SKIP_1) | instid1(VALU_DEP_2)
	v_cndmask_b32_e32 v21, v21, v6, vcc_lo
	;; [unrolled: 5-line block ×5, first 2 shown]
	v_cmp_eq_u32_e32 vcc_lo, 11, v16
	v_cndmask_b32_e32 v21, v21, v13, vcc_lo
	v_cmp_eq_u32_e32 vcc_lo, 12, v16
	s_delay_alu instid0(VALU_DEP_2) | instskip(SKIP_2) | instid1(VALU_DEP_2)
	v_cndmask_b32_e32 v21, v21, v14, vcc_lo
	v_cmp_lt_u32_e32 vcc_lo, 6, v16
	s_wait_dscnt 0x0
	v_fmac_f32_e32 v15, v21, v22
	s_or_b32 s6, vcc_lo, s6
	s_delay_alu instid0(SALU_CYCLE_1)
	s_and_not1_b32 exec_lo, exec_lo, s6
	s_cbranch_execnz .LBB12_245
; %bb.246:
	s_or_b32 exec_lo, exec_lo, s6
.LBB12_247:
	s_delay_alu instid0(SALU_CYCLE_1)
	s_or_b32 exec_lo, exec_lo, s5
	v_mov_b32_e32 v10, 0
	ds_load_b32 v10, v10 offset:32
	s_wait_dscnt 0x0
	v_mul_f32_e32 v10, v15, v10
.LBB12_248:
	s_or_b32 exec_lo, exec_lo, s4
	s_delay_alu instid0(SALU_CYCLE_1)
	s_mov_b32 s4, exec_lo
	ds_store_b32 v64, v11
	s_wait_dscnt 0x0
	s_barrier_signal -1
	s_barrier_wait -1
	v_cmpx_gt_u32_e32 9, v0
	s_cbranch_execz .LBB12_270
; %bb.249:
	v_cmp_ne_u32_e32 vcc_lo, 1, v18
	s_cbranch_vccnz .LBB12_251
; %bb.250:
	v_cmp_eq_u32_e32 vcc_lo, 1, v0
	ds_load_b32 v16, v64
	v_cndmask_b32_e32 v15, v2, v3, vcc_lo
	v_cmp_eq_u32_e32 vcc_lo, 2, v0
	s_delay_alu instid0(VALU_DEP_2) | instskip(SKIP_1) | instid1(VALU_DEP_2)
	v_cndmask_b32_e32 v15, v15, v4, vcc_lo
	v_cmp_eq_u32_e32 vcc_lo, 3, v0
	v_cndmask_b32_e32 v15, v15, v5, vcc_lo
	v_cmp_eq_u32_e32 vcc_lo, 4, v0
	s_delay_alu instid0(VALU_DEP_2) | instskip(SKIP_1) | instid1(VALU_DEP_2)
	v_cndmask_b32_e32 v15, v15, v6, vcc_lo
	v_cmp_eq_u32_e32 vcc_lo, 5, v0
	;; [unrolled: 5-line block ×5, first 2 shown]
	v_cndmask_b32_e32 v15, v15, v13, vcc_lo
	v_cmp_eq_u32_e32 vcc_lo, 12, v0
	s_delay_alu instid0(VALU_DEP_2) | instskip(SKIP_1) | instid1(VALU_DEP_1)
	v_cndmask_b32_e32 v15, v15, v14, vcc_lo
	s_wait_dscnt 0x0
	v_mul_f32_e32 v15, v15, v16
	s_cbranch_execz .LBB12_252
	s_branch .LBB12_253
.LBB12_251:
                                        ; implicit-def: $vgpr15
.LBB12_252:
	ds_load_b32 v15, v64
.LBB12_253:
	s_mov_b32 s5, exec_lo
	v_cmpx_ne_u32_e32 8, v0
	s_cbranch_execz .LBB12_269
; %bb.254:
	v_cmp_eq_u32_e32 vcc_lo, 1, v19
	ds_load_b32 v17, v64 offset:4
	v_cndmask_b32_e32 v16, v2, v3, vcc_lo
	v_cmp_eq_u32_e32 vcc_lo, 2, v19
	s_delay_alu instid0(VALU_DEP_2) | instskip(SKIP_1) | instid1(VALU_DEP_2)
	v_cndmask_b32_e32 v16, v16, v4, vcc_lo
	v_cmp_eq_u32_e32 vcc_lo, 3, v19
	v_cndmask_b32_e32 v16, v16, v5, vcc_lo
	v_cmp_eq_u32_e32 vcc_lo, 4, v19
	s_delay_alu instid0(VALU_DEP_2) | instskip(SKIP_1) | instid1(VALU_DEP_2)
	v_cndmask_b32_e32 v16, v16, v6, vcc_lo
	v_cmp_eq_u32_e32 vcc_lo, 5, v19
	v_cndmask_b32_e32 v16, v16, v7, vcc_lo
	v_cmp_eq_u32_e32 vcc_lo, 6, v19
	s_delay_alu instid0(VALU_DEP_2) | instskip(SKIP_1) | instid1(VALU_DEP_2)
	v_cndmask_b32_e32 v16, v16, v8, vcc_lo
	v_cmp_eq_u32_e32 vcc_lo, 7, v19
	v_cndmask_b32_e32 v16, v16, v9, vcc_lo
	v_cmp_eq_u32_e32 vcc_lo, 8, v19
	s_delay_alu instid0(VALU_DEP_2) | instskip(SKIP_1) | instid1(VALU_DEP_2)
	v_cndmask_b32_e32 v16, v16, v10, vcc_lo
	v_cmp_eq_u32_e32 vcc_lo, 9, v19
	v_cndmask_b32_e32 v16, v16, v11, vcc_lo
	v_cmp_eq_u32_e32 vcc_lo, 10, v19
	s_delay_alu instid0(VALU_DEP_2) | instskip(SKIP_1) | instid1(VALU_DEP_2)
	v_cndmask_b32_e32 v16, v16, v12, vcc_lo
	v_cmp_eq_u32_e32 vcc_lo, 11, v19
	v_cndmask_b32_e32 v16, v16, v13, vcc_lo
	v_cmp_eq_u32_e32 vcc_lo, 12, v19
	s_delay_alu instid0(VALU_DEP_2) | instskip(SKIP_1) | instid1(VALU_DEP_1)
	v_cndmask_b32_e32 v16, v16, v14, vcc_lo
	s_wait_dscnt 0x0
	v_fmac_f32_e32 v15, v16, v17
	s_and_saveexec_b32 s6, s3
	s_cbranch_execz .LBB12_268
; %bb.255:
	v_add_nc_u32_e32 v16, 2, v0
	ds_load_b32 v19, v64 offset:8
	s_mov_b32 s3, exec_lo
	v_cmp_eq_u32_e32 vcc_lo, 1, v16
	v_cndmask_b32_e32 v17, v2, v3, vcc_lo
	v_cmp_eq_u32_e32 vcc_lo, 2, v16
	s_delay_alu instid0(VALU_DEP_2) | instskip(SKIP_1) | instid1(VALU_DEP_2)
	v_cndmask_b32_e32 v17, v17, v4, vcc_lo
	v_cmp_eq_u32_e32 vcc_lo, 3, v16
	v_cndmask_b32_e32 v17, v17, v5, vcc_lo
	v_cmp_eq_u32_e32 vcc_lo, 4, v16
	s_delay_alu instid0(VALU_DEP_2) | instskip(SKIP_1) | instid1(VALU_DEP_2)
	v_cndmask_b32_e32 v17, v17, v6, vcc_lo
	;; [unrolled: 5-line block ×5, first 2 shown]
	v_cmp_eq_u32_e32 vcc_lo, 11, v16
	v_cndmask_b32_e32 v17, v17, v13, vcc_lo
	v_cmp_eq_u32_e32 vcc_lo, 12, v16
	s_delay_alu instid0(VALU_DEP_2) | instskip(SKIP_1) | instid1(VALU_DEP_1)
	v_cndmask_b32_e32 v16, v17, v14, vcc_lo
	s_wait_dscnt 0x0
	v_fmac_f32_e32 v15, v16, v19
	v_cmpx_ne_u32_e32 6, v0
	s_cbranch_execz .LBB12_267
; %bb.256:
	v_add_nc_u32_e32 v16, 3, v0
	ds_load_b32 v19, v64 offset:12
	v_cmp_eq_u32_e32 vcc_lo, 1, v16
	v_cndmask_b32_e32 v17, v2, v3, vcc_lo
	v_cmp_eq_u32_e32 vcc_lo, 2, v16
	s_delay_alu instid0(VALU_DEP_2) | instskip(SKIP_1) | instid1(VALU_DEP_2)
	v_cndmask_b32_e32 v17, v17, v4, vcc_lo
	v_cmp_eq_u32_e32 vcc_lo, 3, v16
	v_cndmask_b32_e32 v17, v17, v5, vcc_lo
	v_cmp_eq_u32_e32 vcc_lo, 4, v16
	s_delay_alu instid0(VALU_DEP_2) | instskip(SKIP_1) | instid1(VALU_DEP_2)
	v_cndmask_b32_e32 v17, v17, v6, vcc_lo
	;; [unrolled: 5-line block ×5, first 2 shown]
	v_cmp_eq_u32_e32 vcc_lo, 11, v16
	v_cndmask_b32_e32 v17, v17, v13, vcc_lo
	v_cmp_eq_u32_e32 vcc_lo, 12, v16
	s_delay_alu instid0(VALU_DEP_2) | instskip(SKIP_1) | instid1(VALU_DEP_1)
	v_cndmask_b32_e32 v16, v17, v14, vcc_lo
	s_wait_dscnt 0x0
	v_fmac_f32_e32 v15, v16, v19
	s_and_saveexec_b32 s7, s2
	s_cbranch_execz .LBB12_266
; %bb.257:
	v_add_nc_u32_e32 v16, 4, v0
	ds_load_b32 v19, v64 offset:16
	s_mov_b32 s2, exec_lo
	v_cmp_eq_u32_e32 vcc_lo, 1, v16
	v_cndmask_b32_e32 v17, v2, v3, vcc_lo
	v_cmp_eq_u32_e32 vcc_lo, 2, v16
	s_delay_alu instid0(VALU_DEP_2) | instskip(SKIP_1) | instid1(VALU_DEP_2)
	v_cndmask_b32_e32 v17, v17, v4, vcc_lo
	v_cmp_eq_u32_e32 vcc_lo, 3, v16
	v_cndmask_b32_e32 v17, v17, v5, vcc_lo
	v_cmp_eq_u32_e32 vcc_lo, 4, v16
	s_delay_alu instid0(VALU_DEP_2) | instskip(SKIP_1) | instid1(VALU_DEP_2)
	v_cndmask_b32_e32 v17, v17, v6, vcc_lo
	;; [unrolled: 5-line block ×5, first 2 shown]
	v_cmp_eq_u32_e32 vcc_lo, 11, v16
	v_cndmask_b32_e32 v17, v17, v13, vcc_lo
	v_cmp_eq_u32_e32 vcc_lo, 12, v16
	s_delay_alu instid0(VALU_DEP_2) | instskip(SKIP_1) | instid1(VALU_DEP_1)
	v_cndmask_b32_e32 v16, v17, v14, vcc_lo
	s_wait_dscnt 0x0
	v_fmac_f32_e32 v15, v16, v19
	v_cmpx_ne_u32_e32 4, v0
	s_cbranch_execz .LBB12_265
; %bb.258:
	v_add_nc_u32_e32 v16, 5, v0
	ds_load_b32 v19, v64 offset:20
	v_cmp_eq_u32_e32 vcc_lo, 1, v16
	v_cndmask_b32_e32 v17, v2, v3, vcc_lo
	v_cmp_eq_u32_e32 vcc_lo, 2, v16
	s_delay_alu instid0(VALU_DEP_2) | instskip(SKIP_1) | instid1(VALU_DEP_2)
	v_cndmask_b32_e32 v17, v17, v4, vcc_lo
	v_cmp_eq_u32_e32 vcc_lo, 3, v16
	v_cndmask_b32_e32 v17, v17, v5, vcc_lo
	v_cmp_eq_u32_e32 vcc_lo, 4, v16
	s_delay_alu instid0(VALU_DEP_2) | instskip(SKIP_1) | instid1(VALU_DEP_2)
	v_cndmask_b32_e32 v17, v17, v6, vcc_lo
	;; [unrolled: 5-line block ×5, first 2 shown]
	v_cmp_eq_u32_e32 vcc_lo, 11, v16
	v_cndmask_b32_e32 v17, v17, v13, vcc_lo
	v_cmp_eq_u32_e32 vcc_lo, 12, v16
	s_delay_alu instid0(VALU_DEP_2) | instskip(SKIP_1) | instid1(VALU_DEP_1)
	v_cndmask_b32_e32 v16, v17, v14, vcc_lo
	s_wait_dscnt 0x0
	v_fmac_f32_e32 v15, v16, v19
	s_and_saveexec_b32 s8, s1
	s_cbranch_execz .LBB12_264
; %bb.259:
	v_add_nc_u32_e32 v16, 6, v0
	ds_load_b32 v19, v64 offset:24
	s_mov_b32 s1, exec_lo
	v_cmp_eq_u32_e32 vcc_lo, 1, v16
	v_cndmask_b32_e32 v17, v2, v3, vcc_lo
	v_cmp_eq_u32_e32 vcc_lo, 2, v16
	s_delay_alu instid0(VALU_DEP_2) | instskip(SKIP_1) | instid1(VALU_DEP_2)
	v_cndmask_b32_e32 v17, v17, v4, vcc_lo
	v_cmp_eq_u32_e32 vcc_lo, 3, v16
	v_cndmask_b32_e32 v17, v17, v5, vcc_lo
	v_cmp_eq_u32_e32 vcc_lo, 4, v16
	s_delay_alu instid0(VALU_DEP_2) | instskip(SKIP_1) | instid1(VALU_DEP_2)
	v_cndmask_b32_e32 v17, v17, v6, vcc_lo
	;; [unrolled: 5-line block ×5, first 2 shown]
	v_cmp_eq_u32_e32 vcc_lo, 11, v16
	v_cndmask_b32_e32 v17, v17, v13, vcc_lo
	v_cmp_eq_u32_e32 vcc_lo, 12, v16
	s_delay_alu instid0(VALU_DEP_2) | instskip(SKIP_1) | instid1(VALU_DEP_1)
	v_cndmask_b32_e32 v16, v17, v14, vcc_lo
	s_wait_dscnt 0x0
	v_fmac_f32_e32 v15, v16, v19
	v_cmpx_ne_u32_e32 2, v0
	s_cbranch_execz .LBB12_263
; %bb.260:
	v_add_nc_u32_e32 v16, 7, v0
	s_delay_alu instid0(VALU_DEP_1) | instskip(SKIP_2) | instid1(VALU_DEP_2)
	v_cmp_eq_u32_e32 vcc_lo, 1, v16
	v_cndmask_b32_e32 v17, v2, v3, vcc_lo
	v_cmp_eq_u32_e32 vcc_lo, 2, v16
	v_cndmask_b32_e32 v17, v17, v4, vcc_lo
	v_cmp_eq_u32_e32 vcc_lo, 3, v16
	s_delay_alu instid0(VALU_DEP_2) | instskip(SKIP_1) | instid1(VALU_DEP_2)
	v_cndmask_b32_e32 v17, v17, v5, vcc_lo
	v_cmp_eq_u32_e32 vcc_lo, 4, v16
	v_cndmask_b32_e32 v17, v17, v6, vcc_lo
	v_cmp_eq_u32_e32 vcc_lo, 5, v16
	s_delay_alu instid0(VALU_DEP_2) | instskip(SKIP_1) | instid1(VALU_DEP_2)
	;; [unrolled: 5-line block ×3, first 2 shown]
	v_cndmask_b32_e32 v17, v17, v9, vcc_lo
	v_cmp_eq_u32_e32 vcc_lo, 8, v16
	v_cndmask_b32_e32 v17, v17, v10, vcc_lo
	v_cmp_eq_u32_e32 vcc_lo, 9, v16
	s_delay_alu instid0(VALU_DEP_2) | instskip(SKIP_4) | instid1(VALU_DEP_2)
	v_cndmask_b32_e32 v11, v17, v11, vcc_lo
	ds_load_b32 v17, v64 offset:28
	v_cmp_eq_u32_e32 vcc_lo, 10, v16
	v_cndmask_b32_e32 v11, v11, v12, vcc_lo
	v_cmp_eq_u32_e32 vcc_lo, 11, v16
	v_cndmask_b32_e32 v11, v11, v13, vcc_lo
	v_cmp_eq_u32_e32 vcc_lo, 12, v16
	s_delay_alu instid0(VALU_DEP_2) | instskip(SKIP_1) | instid1(VALU_DEP_1)
	v_cndmask_b32_e32 v11, v11, v14, vcc_lo
	s_wait_dscnt 0x0
	v_fmac_f32_e32 v15, v11, v17
	s_and_saveexec_b32 s9, s0
	s_cbranch_execz .LBB12_262
; %bb.261:
	ds_load_b32 v11, v64 offset:32
	s_wait_dscnt 0x0
	v_fmac_f32_e32 v15, v10, v11
.LBB12_262:
	s_or_b32 exec_lo, exec_lo, s9
.LBB12_263:
	s_delay_alu instid0(SALU_CYCLE_1)
	s_or_b32 exec_lo, exec_lo, s1
.LBB12_264:
	s_delay_alu instid0(SALU_CYCLE_1)
	s_or_b32 exec_lo, exec_lo, s8
.LBB12_265:
	s_delay_alu instid0(SALU_CYCLE_1)
	s_or_b32 exec_lo, exec_lo, s2
.LBB12_266:
	s_delay_alu instid0(SALU_CYCLE_1)
	s_or_b32 exec_lo, exec_lo, s7
.LBB12_267:
	s_delay_alu instid0(SALU_CYCLE_1)
	s_or_b32 exec_lo, exec_lo, s3
.LBB12_268:
	s_delay_alu instid0(SALU_CYCLE_1)
	s_or_b32 exec_lo, exec_lo, s6
.LBB12_269:
	s_delay_alu instid0(SALU_CYCLE_1)
	s_or_b32 exec_lo, exec_lo, s5
	v_mov_b32_e32 v11, 0
	ds_load_b32 v11, v11 offset:36
	s_wait_dscnt 0x0
	v_mul_f32_e32 v11, v15, v11
.LBB12_270:
	s_or_b32 exec_lo, exec_lo, s4
	s_delay_alu instid0(SALU_CYCLE_1)
	s_mov_b32 s0, exec_lo
	ds_store_b32 v64, v12
	s_wait_dscnt 0x0
	s_barrier_signal -1
	s_barrier_wait -1
	v_cmpx_gt_u32_e32 10, v0
	s_cbranch_execz .LBB12_280
; %bb.271:
	v_cmp_ne_u32_e32 vcc_lo, 1, v18
	s_cbranch_vccnz .LBB12_273
; %bb.272:
	v_cmp_eq_u32_e32 vcc_lo, 1, v0
	ds_load_b32 v16, v64
	v_cndmask_b32_e32 v15, v2, v3, vcc_lo
	v_cmp_eq_u32_e32 vcc_lo, 2, v0
	s_delay_alu instid0(VALU_DEP_2) | instskip(SKIP_1) | instid1(VALU_DEP_2)
	v_cndmask_b32_e32 v15, v15, v4, vcc_lo
	v_cmp_eq_u32_e32 vcc_lo, 3, v0
	v_cndmask_b32_e32 v15, v15, v5, vcc_lo
	v_cmp_eq_u32_e32 vcc_lo, 4, v0
	s_delay_alu instid0(VALU_DEP_2) | instskip(SKIP_1) | instid1(VALU_DEP_2)
	v_cndmask_b32_e32 v15, v15, v6, vcc_lo
	v_cmp_eq_u32_e32 vcc_lo, 5, v0
	;; [unrolled: 5-line block ×5, first 2 shown]
	v_cndmask_b32_e32 v15, v15, v13, vcc_lo
	v_cmp_eq_u32_e32 vcc_lo, 12, v0
	s_delay_alu instid0(VALU_DEP_2) | instskip(SKIP_1) | instid1(VALU_DEP_1)
	v_cndmask_b32_e32 v15, v15, v14, vcc_lo
	s_wait_dscnt 0x0
	v_mul_f32_e32 v15, v15, v16
	s_cbranch_execz .LBB12_274
	s_branch .LBB12_275
.LBB12_273:
                                        ; implicit-def: $vgpr15
.LBB12_274:
	ds_load_b32 v15, v64
.LBB12_275:
	s_mov_b32 s1, exec_lo
	v_cmpx_ne_u32_e32 9, v0
	s_cbranch_execz .LBB12_279
; %bb.276:
	v_mov_b64_e32 v[16:17], v[0:1]
	v_lshl_add_u32 v19, v0, 2, 0x44
	s_mov_b32 s2, 0
.LBB12_277:                             ; =>This Inner Loop Header: Depth=1
	s_delay_alu instid0(VALU_DEP_2)
	v_add_nc_u64_e32 v[16:17], 1, v[16:17]
	ds_load_b32 v21, v19
	v_add_nc_u32_e32 v19, 4, v19
	v_cmp_eq_u32_e32 vcc_lo, 1, v16
	v_cndmask_b32_e32 v20, v2, v3, vcc_lo
	v_cmp_eq_u32_e32 vcc_lo, 2, v16
	s_delay_alu instid0(VALU_DEP_2) | instskip(SKIP_1) | instid1(VALU_DEP_2)
	v_cndmask_b32_e32 v20, v20, v4, vcc_lo
	v_cmp_eq_u32_e32 vcc_lo, 3, v16
	v_cndmask_b32_e32 v20, v20, v5, vcc_lo
	v_cmp_eq_u32_e32 vcc_lo, 4, v16
	s_delay_alu instid0(VALU_DEP_2) | instskip(SKIP_1) | instid1(VALU_DEP_2)
	v_cndmask_b32_e32 v20, v20, v6, vcc_lo
	;; [unrolled: 5-line block ×5, first 2 shown]
	v_cmp_eq_u32_e32 vcc_lo, 11, v16
	v_cndmask_b32_e32 v20, v20, v13, vcc_lo
	v_cmp_eq_u32_e32 vcc_lo, 12, v16
	s_delay_alu instid0(VALU_DEP_2) | instskip(SKIP_2) | instid1(VALU_DEP_2)
	v_cndmask_b32_e32 v20, v20, v14, vcc_lo
	v_cmp_lt_u32_e32 vcc_lo, 8, v16
	s_wait_dscnt 0x0
	v_fmac_f32_e32 v15, v20, v21
	s_or_b32 s2, vcc_lo, s2
	s_delay_alu instid0(SALU_CYCLE_1)
	s_and_not1_b32 exec_lo, exec_lo, s2
	s_cbranch_execnz .LBB12_277
; %bb.278:
	s_or_b32 exec_lo, exec_lo, s2
.LBB12_279:
	s_delay_alu instid0(SALU_CYCLE_1)
	s_or_b32 exec_lo, exec_lo, s1
	v_mov_b32_e32 v12, 0
	ds_load_b32 v12, v12 offset:40
	s_wait_dscnt 0x0
	v_mul_f32_e32 v12, v15, v12
.LBB12_280:
	s_or_b32 exec_lo, exec_lo, s0
	v_cmp_gt_u32_e64 s0, 11, v0
	ds_store_b32 v64, v13
	s_wait_dscnt 0x0
	s_barrier_signal -1
	s_barrier_wait -1
	s_and_saveexec_b32 s1, s0
	s_cbranch_execz .LBB12_290
; %bb.281:
	v_cmp_ne_u32_e32 vcc_lo, 1, v18
	s_cbranch_vccnz .LBB12_283
; %bb.282:
	v_cmp_eq_u32_e32 vcc_lo, 1, v0
	ds_load_b32 v16, v64
	v_cndmask_b32_e32 v15, v2, v3, vcc_lo
	v_cmp_eq_u32_e32 vcc_lo, 2, v0
	s_delay_alu instid0(VALU_DEP_2) | instskip(SKIP_1) | instid1(VALU_DEP_2)
	v_cndmask_b32_e32 v15, v15, v4, vcc_lo
	v_cmp_eq_u32_e32 vcc_lo, 3, v0
	v_cndmask_b32_e32 v15, v15, v5, vcc_lo
	v_cmp_eq_u32_e32 vcc_lo, 4, v0
	s_delay_alu instid0(VALU_DEP_2) | instskip(SKIP_1) | instid1(VALU_DEP_2)
	v_cndmask_b32_e32 v15, v15, v6, vcc_lo
	v_cmp_eq_u32_e32 vcc_lo, 5, v0
	;; [unrolled: 5-line block ×5, first 2 shown]
	v_cndmask_b32_e32 v15, v15, v13, vcc_lo
	v_cmp_eq_u32_e32 vcc_lo, 12, v0
	s_delay_alu instid0(VALU_DEP_2) | instskip(SKIP_1) | instid1(VALU_DEP_1)
	v_cndmask_b32_e32 v15, v15, v14, vcc_lo
	s_wait_dscnt 0x0
	v_mul_f32_e32 v15, v15, v16
	s_cbranch_execz .LBB12_284
	s_branch .LBB12_285
.LBB12_283:
                                        ; implicit-def: $vgpr15
.LBB12_284:
	ds_load_b32 v15, v64
.LBB12_285:
	s_mov_b32 s2, exec_lo
	v_cmpx_ne_u32_e32 10, v0
	s_cbranch_execz .LBB12_289
; %bb.286:
	v_mov_b64_e32 v[16:17], v[0:1]
	v_lshl_add_u32 v19, v0, 2, 0x44
	s_mov_b32 s3, 0
.LBB12_287:                             ; =>This Inner Loop Header: Depth=1
	s_delay_alu instid0(VALU_DEP_2)
	v_add_nc_u64_e32 v[16:17], 1, v[16:17]
	ds_load_b32 v21, v19
	v_add_nc_u32_e32 v19, 4, v19
	v_cmp_eq_u32_e32 vcc_lo, 1, v16
	v_cndmask_b32_e32 v20, v2, v3, vcc_lo
	v_cmp_eq_u32_e32 vcc_lo, 2, v16
	s_delay_alu instid0(VALU_DEP_2) | instskip(SKIP_1) | instid1(VALU_DEP_2)
	v_cndmask_b32_e32 v20, v20, v4, vcc_lo
	v_cmp_eq_u32_e32 vcc_lo, 3, v16
	v_cndmask_b32_e32 v20, v20, v5, vcc_lo
	v_cmp_eq_u32_e32 vcc_lo, 4, v16
	s_delay_alu instid0(VALU_DEP_2) | instskip(SKIP_1) | instid1(VALU_DEP_2)
	v_cndmask_b32_e32 v20, v20, v6, vcc_lo
	;; [unrolled: 5-line block ×5, first 2 shown]
	v_cmp_eq_u32_e32 vcc_lo, 11, v16
	v_cndmask_b32_e32 v20, v20, v13, vcc_lo
	v_cmp_eq_u32_e32 vcc_lo, 12, v16
	s_delay_alu instid0(VALU_DEP_2) | instskip(SKIP_2) | instid1(VALU_DEP_2)
	v_cndmask_b32_e32 v20, v20, v14, vcc_lo
	v_cmp_lt_u32_e32 vcc_lo, 9, v16
	s_wait_dscnt 0x0
	v_fmac_f32_e32 v15, v20, v21
	s_or_b32 s3, vcc_lo, s3
	s_delay_alu instid0(SALU_CYCLE_1)
	s_and_not1_b32 exec_lo, exec_lo, s3
	s_cbranch_execnz .LBB12_287
; %bb.288:
	s_or_b32 exec_lo, exec_lo, s3
.LBB12_289:
	s_delay_alu instid0(SALU_CYCLE_1)
	s_or_b32 exec_lo, exec_lo, s2
	v_mov_b32_e32 v13, 0
	ds_load_b32 v13, v13 offset:44
	s_wait_dscnt 0x0
	v_mul_f32_e32 v13, v15, v13
.LBB12_290:
	s_or_b32 exec_lo, exec_lo, s1
	s_delay_alu instid0(SALU_CYCLE_1)
	s_mov_b32 s1, exec_lo
	ds_store_b32 v64, v14
	s_wait_dscnt 0x0
	s_barrier_signal -1
	s_barrier_wait -1
	v_cmpx_ne_u32_e32 12, v0
	s_cbranch_execz .LBB12_300
; %bb.291:
	v_cmp_ne_u32_e32 vcc_lo, 1, v18
	s_cbranch_vccnz .LBB12_293
; %bb.292:
	v_cmp_eq_u32_e32 vcc_lo, 1, v0
	ds_load_b32 v16, v64
	v_cndmask_b32_e32 v15, v2, v3, vcc_lo
	v_cmp_eq_u32_e32 vcc_lo, 2, v0
	s_delay_alu instid0(VALU_DEP_2) | instskip(SKIP_1) | instid1(VALU_DEP_2)
	v_cndmask_b32_e32 v15, v15, v4, vcc_lo
	v_cmp_eq_u32_e32 vcc_lo, 3, v0
	v_cndmask_b32_e32 v15, v15, v5, vcc_lo
	v_cmp_eq_u32_e32 vcc_lo, 4, v0
	s_delay_alu instid0(VALU_DEP_2) | instskip(SKIP_1) | instid1(VALU_DEP_2)
	v_cndmask_b32_e32 v15, v15, v6, vcc_lo
	v_cmp_eq_u32_e32 vcc_lo, 5, v0
	;; [unrolled: 5-line block ×5, first 2 shown]
	v_cndmask_b32_e32 v15, v15, v13, vcc_lo
	v_cmp_eq_u32_e32 vcc_lo, 12, v0
	s_delay_alu instid0(VALU_DEP_2) | instskip(SKIP_1) | instid1(VALU_DEP_1)
	v_cndmask_b32_e32 v15, v15, v14, vcc_lo
	s_wait_dscnt 0x0
	v_mul_f32_e32 v15, v15, v16
	s_cbranch_execz .LBB12_294
	s_branch .LBB12_295
.LBB12_293:
                                        ; implicit-def: $vgpr15
.LBB12_294:
	ds_load_b32 v15, v64
.LBB12_295:
	s_and_saveexec_b32 s2, s0
	s_cbranch_execz .LBB12_299
; %bb.296:
	v_lshl_add_u32 v16, v0, 2, 0x44
	s_mov_b32 s0, 0
.LBB12_297:                             ; =>This Inner Loop Header: Depth=1
	v_add_nc_u64_e32 v[0:1], 1, v[0:1]
	ds_load_b32 v18, v16
	v_add_nc_u32_e32 v16, 4, v16
	v_cmp_eq_u32_e32 vcc_lo, 1, v0
	v_cndmask_b32_e32 v17, v2, v3, vcc_lo
	v_cmp_eq_u32_e32 vcc_lo, 2, v0
	s_delay_alu instid0(VALU_DEP_2) | instskip(SKIP_1) | instid1(VALU_DEP_2)
	v_cndmask_b32_e32 v17, v17, v4, vcc_lo
	v_cmp_eq_u32_e32 vcc_lo, 3, v0
	v_cndmask_b32_e32 v17, v17, v5, vcc_lo
	v_cmp_eq_u32_e32 vcc_lo, 4, v0
	s_delay_alu instid0(VALU_DEP_2) | instskip(SKIP_1) | instid1(VALU_DEP_2)
	v_cndmask_b32_e32 v17, v17, v6, vcc_lo
	;; [unrolled: 5-line block ×5, first 2 shown]
	v_cmp_eq_u32_e32 vcc_lo, 11, v0
	v_cndmask_b32_e32 v17, v17, v13, vcc_lo
	v_cmp_eq_u32_e32 vcc_lo, 12, v0
	s_delay_alu instid0(VALU_DEP_2) | instskip(SKIP_2) | instid1(VALU_DEP_2)
	v_cndmask_b32_e32 v17, v17, v14, vcc_lo
	v_cmp_lt_u32_e32 vcc_lo, 10, v0
	s_wait_dscnt 0x0
	v_fmac_f32_e32 v15, v17, v18
	s_or_b32 s0, vcc_lo, s0
	s_delay_alu instid0(SALU_CYCLE_1)
	s_and_not1_b32 exec_lo, exec_lo, s0
	s_cbranch_execnz .LBB12_297
; %bb.298:
	s_or_b32 exec_lo, exec_lo, s0
.LBB12_299:
	s_delay_alu instid0(SALU_CYCLE_1)
	s_or_b32 exec_lo, exec_lo, s2
	v_mov_b32_e32 v0, 0
	ds_load_b32 v0, v0 offset:48
	s_wait_dscnt 0x0
	v_mul_f32_e32 v14, v15, v0
.LBB12_300:
	s_or_b32 exec_lo, exec_lo, s1
	v_mov_b64_e32 v[32:33], v[16:17]
	s_delay_alu instid0(VALU_DEP_2)
	v_mov_b64_e32 v[30:31], v[14:15]
	v_mov_b64_e32 v[28:29], v[12:13]
	;; [unrolled: 1-line block ×7, first 2 shown]
.LBB12_301:
	s_wait_xcnt 0x4
	v_lshl_add_u64 v[0:1], v[34:35], 2, s[14:15]
	s_wait_loadcnt 0x4
	v_lshl_add_u64 v[2:3], v[36:37], 2, s[14:15]
	v_lshl_add_u64 v[4:5], v[38:39], 2, s[14:15]
	v_lshl_add_u64 v[6:7], v[40:41], 2, s[14:15]
	v_lshl_add_u64 v[8:9], v[42:43], 2, s[14:15]
	s_wait_loadcnt 0x3
	v_lshl_add_u64 v[10:11], v[46:47], 2, s[14:15]
	s_wait_loadcnt 0x1
	v_lshl_add_u64 v[12:13], v[48:49], 2, s[14:15]
	;; [unrolled: 2-line block ×3, first 2 shown]
	v_lshl_add_u64 v[16:17], v[54:55], 2, s[14:15]
	v_lshl_add_u64 v[32:33], v[56:57], 2, s[14:15]
	;; [unrolled: 1-line block ×3, first 2 shown]
	s_clause 0xc
	global_store_b32 v[44:45], v18, off
	global_store_b32 v[50:51], v19, off
	;; [unrolled: 1-line block ×13, first 2 shown]
.LBB12_302:
	s_sendmsg sendmsg(MSG_DEALLOC_VGPRS)
	s_endpgm
	.section	.rodata,"a",@progbits
	.p2align	6, 0x0
	.amdhsa_kernel _ZN9rocsolver6v33100L18trti2_kernel_smallILi13EfPfEEv13rocblas_fill_17rocblas_diagonal_T1_iil
		.amdhsa_group_segment_fixed_size 116
		.amdhsa_private_segment_fixed_size 0
		.amdhsa_kernarg_size 32
		.amdhsa_user_sgpr_count 2
		.amdhsa_user_sgpr_dispatch_ptr 0
		.amdhsa_user_sgpr_queue_ptr 0
		.amdhsa_user_sgpr_kernarg_segment_ptr 1
		.amdhsa_user_sgpr_dispatch_id 0
		.amdhsa_user_sgpr_kernarg_preload_length 0
		.amdhsa_user_sgpr_kernarg_preload_offset 0
		.amdhsa_user_sgpr_private_segment_size 0
		.amdhsa_wavefront_size32 1
		.amdhsa_uses_dynamic_stack 0
		.amdhsa_enable_private_segment 0
		.amdhsa_system_sgpr_workgroup_id_x 1
		.amdhsa_system_sgpr_workgroup_id_y 0
		.amdhsa_system_sgpr_workgroup_id_z 0
		.amdhsa_system_sgpr_workgroup_info 0
		.amdhsa_system_vgpr_workitem_id 0
		.amdhsa_next_free_vgpr 75
		.amdhsa_next_free_sgpr 24
		.amdhsa_named_barrier_count 0
		.amdhsa_reserve_vcc 1
		.amdhsa_float_round_mode_32 0
		.amdhsa_float_round_mode_16_64 0
		.amdhsa_float_denorm_mode_32 3
		.amdhsa_float_denorm_mode_16_64 3
		.amdhsa_fp16_overflow 0
		.amdhsa_memory_ordered 1
		.amdhsa_forward_progress 1
		.amdhsa_inst_pref_size 114
		.amdhsa_round_robin_scheduling 0
		.amdhsa_exception_fp_ieee_invalid_op 0
		.amdhsa_exception_fp_denorm_src 0
		.amdhsa_exception_fp_ieee_div_zero 0
		.amdhsa_exception_fp_ieee_overflow 0
		.amdhsa_exception_fp_ieee_underflow 0
		.amdhsa_exception_fp_ieee_inexact 0
		.amdhsa_exception_int_div_zero 0
	.end_amdhsa_kernel
	.section	.text._ZN9rocsolver6v33100L18trti2_kernel_smallILi13EfPfEEv13rocblas_fill_17rocblas_diagonal_T1_iil,"axG",@progbits,_ZN9rocsolver6v33100L18trti2_kernel_smallILi13EfPfEEv13rocblas_fill_17rocblas_diagonal_T1_iil,comdat
.Lfunc_end12:
	.size	_ZN9rocsolver6v33100L18trti2_kernel_smallILi13EfPfEEv13rocblas_fill_17rocblas_diagonal_T1_iil, .Lfunc_end12-_ZN9rocsolver6v33100L18trti2_kernel_smallILi13EfPfEEv13rocblas_fill_17rocblas_diagonal_T1_iil
                                        ; -- End function
	.set _ZN9rocsolver6v33100L18trti2_kernel_smallILi13EfPfEEv13rocblas_fill_17rocblas_diagonal_T1_iil.num_vgpr, 75
	.set _ZN9rocsolver6v33100L18trti2_kernel_smallILi13EfPfEEv13rocblas_fill_17rocblas_diagonal_T1_iil.num_agpr, 0
	.set _ZN9rocsolver6v33100L18trti2_kernel_smallILi13EfPfEEv13rocblas_fill_17rocblas_diagonal_T1_iil.numbered_sgpr, 24
	.set _ZN9rocsolver6v33100L18trti2_kernel_smallILi13EfPfEEv13rocblas_fill_17rocblas_diagonal_T1_iil.num_named_barrier, 0
	.set _ZN9rocsolver6v33100L18trti2_kernel_smallILi13EfPfEEv13rocblas_fill_17rocblas_diagonal_T1_iil.private_seg_size, 0
	.set _ZN9rocsolver6v33100L18trti2_kernel_smallILi13EfPfEEv13rocblas_fill_17rocblas_diagonal_T1_iil.uses_vcc, 1
	.set _ZN9rocsolver6v33100L18trti2_kernel_smallILi13EfPfEEv13rocblas_fill_17rocblas_diagonal_T1_iil.uses_flat_scratch, 0
	.set _ZN9rocsolver6v33100L18trti2_kernel_smallILi13EfPfEEv13rocblas_fill_17rocblas_diagonal_T1_iil.has_dyn_sized_stack, 0
	.set _ZN9rocsolver6v33100L18trti2_kernel_smallILi13EfPfEEv13rocblas_fill_17rocblas_diagonal_T1_iil.has_recursion, 0
	.set _ZN9rocsolver6v33100L18trti2_kernel_smallILi13EfPfEEv13rocblas_fill_17rocblas_diagonal_T1_iil.has_indirect_call, 0
	.section	.AMDGPU.csdata,"",@progbits
; Kernel info:
; codeLenInByte = 14588
; TotalNumSgprs: 26
; NumVgprs: 75
; ScratchSize: 0
; MemoryBound: 0
; FloatMode: 240
; IeeeMode: 1
; LDSByteSize: 116 bytes/workgroup (compile time only)
; SGPRBlocks: 0
; VGPRBlocks: 4
; NumSGPRsForWavesPerEU: 26
; NumVGPRsForWavesPerEU: 75
; NamedBarCnt: 0
; Occupancy: 12
; WaveLimiterHint : 0
; COMPUTE_PGM_RSRC2:SCRATCH_EN: 0
; COMPUTE_PGM_RSRC2:USER_SGPR: 2
; COMPUTE_PGM_RSRC2:TRAP_HANDLER: 0
; COMPUTE_PGM_RSRC2:TGID_X_EN: 1
; COMPUTE_PGM_RSRC2:TGID_Y_EN: 0
; COMPUTE_PGM_RSRC2:TGID_Z_EN: 0
; COMPUTE_PGM_RSRC2:TIDIG_COMP_CNT: 0
	.section	.text._ZN9rocsolver6v33100L18trti2_kernel_smallILi14EfPfEEv13rocblas_fill_17rocblas_diagonal_T1_iil,"axG",@progbits,_ZN9rocsolver6v33100L18trti2_kernel_smallILi14EfPfEEv13rocblas_fill_17rocblas_diagonal_T1_iil,comdat
	.globl	_ZN9rocsolver6v33100L18trti2_kernel_smallILi14EfPfEEv13rocblas_fill_17rocblas_diagonal_T1_iil ; -- Begin function _ZN9rocsolver6v33100L18trti2_kernel_smallILi14EfPfEEv13rocblas_fill_17rocblas_diagonal_T1_iil
	.p2align	8
	.type	_ZN9rocsolver6v33100L18trti2_kernel_smallILi14EfPfEEv13rocblas_fill_17rocblas_diagonal_T1_iil,@function
_ZN9rocsolver6v33100L18trti2_kernel_smallILi14EfPfEEv13rocblas_fill_17rocblas_diagonal_T1_iil: ; @_ZN9rocsolver6v33100L18trti2_kernel_smallILi14EfPfEEv13rocblas_fill_17rocblas_diagonal_T1_iil
; %bb.0:
	s_mov_b32 s2, exec_lo
	v_cmpx_gt_u32_e32 14, v0
	s_cbranch_execz .LBB13_328
; %bb.1:
	s_load_b256 s[16:23], s[0:1], 0x0
	s_wait_xcnt 0x0
	s_bfe_u32 s0, ttmp6, 0x4000c
	s_and_b32 s1, ttmp6, 15
	s_add_co_i32 s0, s0, 1
	s_getreg_b32 s2, hwreg(HW_REG_IB_STS2, 6, 4)
	s_mul_i32 s0, ttmp9, s0
	v_mov_b32_e32 v1, 0
	s_add_co_i32 s0, s1, s0
	s_delay_alu instid0(VALU_DEP_1)
	v_dual_mov_b32 v19, v1 :: v_dual_lshlrev_b32 v18, 2, v0
	s_wait_kmcnt 0x0
	v_add3_u32 v34, s21, s21, v0
	s_ashr_i32 s1, s20, 31
	s_cmp_eq_u32 s2, 0
	s_cselect_b32 s2, ttmp9, s0
	s_delay_alu instid0(VALU_DEP_1)
	v_add_nc_u32_e32 v36, s21, v34
	s_ashr_i32 s3, s2, 31
	s_mov_b32 s0, s20
	s_mul_u64 s[2:3], s[22:23], s[2:3]
	s_lshl_b64 s[0:1], s[0:1], 2
	v_add_nc_u32_e32 v38, s21, v36
	s_lshl_b64 s[2:3], s[2:3], 2
	s_delay_alu instid0(SALU_CYCLE_1) | instskip(NEXT) | instid1(VALU_DEP_1)
	s_add_nc_u64 s[2:3], s[18:19], s[2:3]
	v_add_nc_u32_e32 v40, s21, v38
	s_add_nc_u64 s[14:15], s[2:3], s[0:1]
	s_mov_b32 s0, s21
	s_ashr_i32 s1, s21, 31
	s_cmp_lg_u32 s17, 0x84
	v_add_nc_u32_e32 v42, s21, v40
	s_cselect_b32 s18, -1, 0
	s_cmp_eq_u32 s17, 0x84
	v_add_nc_u64_e32 v[46:47], s[14:15], v[18:19]
	s_delay_alu instid0(VALU_DEP_2) | instskip(NEXT) | instid1(VALU_DEP_1)
	v_dual_mov_b32 v19, -1.0 :: v_dual_add_nc_u32 v44, s21, v42
	v_add_nc_u32_e32 v48, s21, v44
	s_delay_alu instid0(VALU_DEP_3) | instskip(SKIP_1) | instid1(VALU_DEP_3)
	v_lshl_add_u64 v[52:53], s[0:1], 2, v[46:47]
	v_cmp_eq_u32_e64 s0, 0, v0
	v_add_nc_u32_e32 v50, s21, v48
	s_delay_alu instid0(VALU_DEP_1)
	v_add_nc_u32_e32 v54, s21, v50
	s_clause 0x7
	global_load_b32 v3, v[52:53], off
	global_load_b32 v4, v34, s[14:15] scale_offset
	global_load_b32 v5, v36, s[14:15] scale_offset
	;; [unrolled: 1-line block ×7, first 2 shown]
	v_add_nc_u32_e32 v56, s21, v54
	s_delay_alu instid0(VALU_DEP_1) | instskip(NEXT) | instid1(VALU_DEP_1)
	v_add_nc_u32_e32 v58, s21, v56
	v_add_nc_u32_e32 v60, s21, v58
	s_clause 0x5
	global_load_b32 v2, v0, s[14:15] scale_offset
	global_load_b32 v11, v50, s[14:15] scale_offset
	;; [unrolled: 1-line block ×6, first 2 shown]
	s_cbranch_scc1 .LBB13_3
; %bb.2:
	v_cmp_eq_u32_e64 s1, 1, v0
	v_cmp_eq_u32_e64 s2, 2, v0
	;; [unrolled: 1-line block ×5, first 2 shown]
	s_wait_loadcnt 0x5
	v_cndmask_b32_e64 v16, v2, v3, s1
	v_cmp_eq_u32_e64 s6, 6, v0
	v_cmp_eq_u32_e64 s7, 7, v0
	;; [unrolled: 1-line block ×4, first 2 shown]
	v_cndmask_b32_e64 v16, v16, v4, s2
	v_cmp_eq_u32_e64 s10, 10, v0
	v_cmp_eq_u32_e64 s11, 11, v0
	;; [unrolled: 1-line block ×4, first 2 shown]
	v_cndmask_b32_e64 v16, v16, v5, s3
	s_delay_alu instid0(VALU_DEP_1) | instskip(NEXT) | instid1(VALU_DEP_1)
	v_cndmask_b32_e64 v16, v16, v6, s4
	v_cndmask_b32_e64 v16, v16, v7, s5
	s_delay_alu instid0(VALU_DEP_1) | instskip(NEXT) | instid1(VALU_DEP_1)
	v_cndmask_b32_e64 v16, v16, v8, s6
	v_cndmask_b32_e64 v16, v16, v9, s7
	s_delay_alu instid0(VALU_DEP_1) | instskip(SKIP_1) | instid1(VALU_DEP_1)
	v_cndmask_b32_e64 v16, v16, v10, s8
	s_wait_loadcnt 0x4
	v_cndmask_b32_e64 v16, v16, v11, s9
	s_wait_loadcnt 0x3
	s_delay_alu instid0(VALU_DEP_1) | instskip(SKIP_1) | instid1(VALU_DEP_1)
	v_cndmask_b32_e64 v16, v16, v12, s10
	s_wait_loadcnt 0x2
	v_cndmask_b32_e64 v16, v16, v13, s11
	s_wait_loadcnt 0x1
	s_delay_alu instid0(VALU_DEP_1) | instskip(SKIP_1) | instid1(VALU_DEP_1)
	v_cndmask_b32_e64 v16, v16, v14, s12
	s_wait_loadcnt 0x0
	v_cndmask_b32_e64 v16, v16, v15, s13
	s_delay_alu instid0(VALU_DEP_1) | instskip(SKIP_1) | instid1(VALU_DEP_2)
	v_div_scale_f32 v17, null, v16, v16, 1.0
	v_div_scale_f32 v21, vcc_lo, 1.0, v16, 1.0
	v_rcp_f32_e32 v19, v17
	v_nop
	s_delay_alu instid0(TRANS32_DEP_1) | instskip(NEXT) | instid1(VALU_DEP_1)
	v_fma_f32 v20, -v17, v19, 1.0
	v_fmac_f32_e32 v19, v20, v19
	s_delay_alu instid0(VALU_DEP_1) | instskip(NEXT) | instid1(VALU_DEP_1)
	v_mul_f32_e32 v20, v21, v19
	v_fma_f32 v22, -v17, v20, v21
	s_delay_alu instid0(VALU_DEP_1) | instskip(NEXT) | instid1(VALU_DEP_1)
	v_fmac_f32_e32 v20, v22, v19
	v_fma_f32 v17, -v17, v20, v21
	s_delay_alu instid0(VALU_DEP_1) | instskip(NEXT) | instid1(VALU_DEP_1)
	v_div_fmas_f32 v17, v17, v19, v20
	v_div_fixup_f32 v16, v17, v16, 1.0
	s_delay_alu instid0(VALU_DEP_1)
	v_dual_cndmask_b32 v15, v15, v16, s13 :: v_dual_cndmask_b32 v14, v14, v16, s12
	v_dual_cndmask_b32 v13, v13, v16, s11 :: v_dual_cndmask_b32 v12, v12, v16, s10
	;; [unrolled: 1-line block ×7, first 2 shown]
	v_xor_b32_e32 v19, 0x80000000, v16
.LBB13_3:
	v_dual_ashrrev_i32 v35, 31, v34 :: v_dual_ashrrev_i32 v37, 31, v36
	v_dual_ashrrev_i32 v39, 31, v38 :: v_dual_ashrrev_i32 v41, 31, v40
	;; [unrolled: 1-line block ×6, first 2 shown]
	v_add_nc_u32_e32 v66, 64, v18
	s_cmp_eq_u32 s16, 0x79
	ds_store_b32 v18, v19
	s_cbranch_scc1 .LBB13_7
; %bb.4:
	s_wait_loadcnt 0x0
	v_mov_b64_e32 v[32:33], v[16:17]
	v_mov_b64_e32 v[30:31], v[14:15]
	;; [unrolled: 1-line block ×8, first 2 shown]
	v_cmp_eq_u32_e64 s0, 13, v0
	ds_store_b32 v66, v14
	s_wait_dscnt 0x0
	s_barrier_signal -1
	s_barrier_wait -1
	s_and_saveexec_b32 s1, s0
	s_cbranch_execz .LBB13_11
; %bb.5:
	s_and_b32 vcc_lo, exec_lo, s18
	s_cbranch_vccz .LBB13_8
; %bb.6:
	v_cmp_eq_u32_e32 vcc_lo, 1, v0
	ds_load_b32 v19, v66
	v_cndmask_b32_e32 v18, v2, v3, vcc_lo
	v_cmp_eq_u32_e32 vcc_lo, 2, v0
	s_delay_alu instid0(VALU_DEP_2) | instskip(SKIP_1) | instid1(VALU_DEP_2)
	v_cndmask_b32_e32 v18, v18, v4, vcc_lo
	v_cmp_eq_u32_e32 vcc_lo, 3, v0
	v_cndmask_b32_e32 v18, v18, v5, vcc_lo
	v_cmp_eq_u32_e32 vcc_lo, 4, v0
	s_delay_alu instid0(VALU_DEP_2) | instskip(SKIP_1) | instid1(VALU_DEP_2)
	v_cndmask_b32_e32 v18, v18, v6, vcc_lo
	v_cmp_eq_u32_e32 vcc_lo, 5, v0
	;; [unrolled: 5-line block ×6, first 2 shown]
	v_cndmask_b32_e32 v18, v18, v15, vcc_lo
	s_wait_dscnt 0x0
	s_delay_alu instid0(VALU_DEP_1)
	v_mul_f32_e32 v30, v18, v19
	s_cbranch_execz .LBB13_9
	s_branch .LBB13_10
.LBB13_7:
                                        ; implicit-def: $vgpr18_vgpr19_vgpr20_vgpr21_vgpr22_vgpr23_vgpr24_vgpr25_vgpr26_vgpr27_vgpr28_vgpr29_vgpr30_vgpr31_vgpr32_vgpr33
	s_cbranch_execnz .LBB13_194
	s_branch .LBB13_327
.LBB13_8:
                                        ; implicit-def: $vgpr30
.LBB13_9:
	ds_load_b32 v30, v66
.LBB13_10:
	v_dual_mov_b32 v18, 0 :: v_dual_mov_b32 v19, v3
	v_dual_mov_b32 v21, v5 :: v_dual_mov_b32 v22, v6
	;; [unrolled: 1-line block ×3, first 2 shown]
	ds_load_b32 v31, v18 offset:48
	v_dual_mov_b32 v18, v2 :: v_dual_mov_b32 v20, v4
	v_dual_mov_b32 v25, v9 :: v_dual_mov_b32 v26, v10
	;; [unrolled: 1-line block ×3, first 2 shown]
	s_wait_dscnt 0x0
	v_dual_mov_b32 v29, v13 :: v_dual_mul_f32 v30, v30, v31
	v_mov_b32_e32 v31, v15
.LBB13_11:
	s_or_b32 exec_lo, exec_lo, s1
	v_cmp_lt_u32_e64 s1, 11, v0
	ds_store_b32 v66, v29
	s_wait_dscnt 0x0
	s_barrier_signal -1
	s_barrier_wait -1
	s_and_saveexec_b32 s2, s1
	s_cbranch_execz .LBB13_17
; %bb.12:
	s_and_not1_b32 vcc_lo, exec_lo, s18
	s_cbranch_vccnz .LBB13_14
; %bb.13:
	v_cmp_eq_u32_e32 vcc_lo, 1, v0
	ds_load_b32 v33, v66
	v_cndmask_b32_e32 v32, v18, v19, vcc_lo
	v_cmp_eq_u32_e32 vcc_lo, 2, v0
	s_delay_alu instid0(VALU_DEP_2) | instskip(SKIP_1) | instid1(VALU_DEP_2)
	v_cndmask_b32_e32 v32, v32, v20, vcc_lo
	v_cmp_eq_u32_e32 vcc_lo, 3, v0
	v_cndmask_b32_e32 v32, v32, v21, vcc_lo
	v_cmp_eq_u32_e32 vcc_lo, 4, v0
	s_delay_alu instid0(VALU_DEP_2) | instskip(SKIP_1) | instid1(VALU_DEP_2)
	v_cndmask_b32_e32 v32, v32, v22, vcc_lo
	v_cmp_eq_u32_e32 vcc_lo, 5, v0
	;; [unrolled: 5-line block ×6, first 2 shown]
	v_cndmask_b32_e32 v29, v29, v31, vcc_lo
	s_wait_dscnt 0x0
	s_delay_alu instid0(VALU_DEP_1)
	v_mul_f32_e32 v29, v29, v33
	s_cbranch_execz .LBB13_15
	s_branch .LBB13_16
.LBB13_14:
                                        ; implicit-def: $vgpr29
.LBB13_15:
	ds_load_b32 v29, v66
.LBB13_16:
	v_mov_b32_e32 v32, 0
	ds_load_2addr_b32 v[32:33], v32 offset0:11 offset1:28
	s_wait_dscnt 0x0
	v_fma_f32 v33, v30, v33, v29
	s_delay_alu instid0(VALU_DEP_1) | instskip(NEXT) | instid1(VALU_DEP_1)
	v_cndmask_b32_e64 v29, v29, v33, s0
	v_mul_f32_e32 v29, v29, v32
.LBB13_17:
	s_or_b32 exec_lo, exec_lo, s2
	v_cmp_lt_u32_e64 s0, 10, v0
	ds_store_b32 v66, v28
	s_wait_dscnt 0x0
	s_barrier_signal -1
	s_barrier_wait -1
	s_and_saveexec_b32 s4, s0
	s_cbranch_execz .LBB13_33
; %bb.18:
	s_and_not1_b32 vcc_lo, exec_lo, s18
	s_cbranch_vccnz .LBB13_20
; %bb.19:
	v_cmp_eq_u32_e32 vcc_lo, 1, v0
	ds_load_b32 v63, v66
	v_cndmask_b32_e32 v62, v18, v19, vcc_lo
	v_cmp_eq_u32_e32 vcc_lo, 2, v0
	s_delay_alu instid0(VALU_DEP_2) | instskip(SKIP_1) | instid1(VALU_DEP_2)
	v_cndmask_b32_e32 v62, v62, v20, vcc_lo
	v_cmp_eq_u32_e32 vcc_lo, 3, v0
	v_cndmask_b32_e32 v62, v62, v21, vcc_lo
	v_cmp_eq_u32_e32 vcc_lo, 4, v0
	s_delay_alu instid0(VALU_DEP_2) | instskip(SKIP_1) | instid1(VALU_DEP_2)
	v_cndmask_b32_e32 v62, v62, v22, vcc_lo
	v_cmp_eq_u32_e32 vcc_lo, 5, v0
	v_cndmask_b32_e32 v62, v62, v23, vcc_lo
	v_cmp_eq_u32_e32 vcc_lo, 6, v0
	s_delay_alu instid0(VALU_DEP_2) | instskip(SKIP_1) | instid1(VALU_DEP_2)
	v_cndmask_b32_e32 v62, v62, v24, vcc_lo
	v_cmp_eq_u32_e32 vcc_lo, 7, v0
	v_cndmask_b32_e32 v62, v62, v25, vcc_lo
	v_cmp_eq_u32_e32 vcc_lo, 8, v0
	s_delay_alu instid0(VALU_DEP_2) | instskip(SKIP_1) | instid1(VALU_DEP_2)
	v_cndmask_b32_e32 v62, v62, v26, vcc_lo
	v_cmp_eq_u32_e32 vcc_lo, 9, v0
	v_cndmask_b32_e32 v62, v62, v27, vcc_lo
	v_cmp_eq_u32_e32 vcc_lo, 10, v0
	s_delay_alu instid0(VALU_DEP_2) | instskip(SKIP_1) | instid1(VALU_DEP_2)
	v_cndmask_b32_e32 v62, v62, v28, vcc_lo
	v_cmp_eq_u32_e32 vcc_lo, 11, v0
	v_cndmask_b32_e32 v62, v62, v29, vcc_lo
	v_cmp_eq_u32_e32 vcc_lo, 12, v0
	s_delay_alu instid0(VALU_DEP_2) | instskip(SKIP_1) | instid1(VALU_DEP_2)
	v_cndmask_b32_e32 v62, v62, v30, vcc_lo
	v_cmp_eq_u32_e32 vcc_lo, 13, v0
	v_cndmask_b32_e32 v62, v62, v31, vcc_lo
	s_wait_dscnt 0x0
	s_delay_alu instid0(VALU_DEP_1)
	v_mul_f32_e32 v65, v62, v63
	s_cbranch_execz .LBB13_21
	s_branch .LBB13_22
.LBB13_20:
                                        ; implicit-def: $vgpr65
.LBB13_21:
	ds_load_b32 v65, v66
.LBB13_22:
	s_and_saveexec_b32 s5, s1
	s_cbranch_execz .LBB13_32
; %bb.23:
	v_dual_add_nc_u32 v62, -12, v0 :: v_dual_add_nc_u32 v63, -11, v0
	s_delay_alu instid0(VALU_DEP_1)
	v_cmp_lt_u32_e32 vcc_lo, 6, v62
	v_mov_b32_e32 v62, 11
	s_and_saveexec_b32 s1, vcc_lo
	s_cbranch_execz .LBB13_27
; %bb.24:
	v_and_b32_e32 v62, -8, v63
	s_mov_b32 s6, 0
	s_mov_b64 s[2:3], 18
	s_movk_i32 s7, 0x6c
	s_delay_alu instid0(VALU_DEP_1)
	v_sub_nc_u32_e32 v64, 0, v62
.LBB13_25:                              ; =>This Inner Loop Header: Depth=1
	s_add_co_i32 m0, s2, -7
	v_movrels_b32_e32 v67, v18
	v_mov_b32_e32 v62, s7
	s_add_co_i32 m0, s2, -6
	s_add_co_i32 s7, s7, 32
	v_movrels_b32_e32 v76, v18
	ds_load_2addr_b32 v[68:69], v62 offset1:1
	ds_load_2addr_b32 v[70:71], v62 offset0:2 offset1:3
	s_add_co_i32 m0, s2, -5
	s_wait_dscnt 0x1
	v_fmac_f32_e32 v65, v67, v68
	ds_load_2addr_b32 v[72:73], v62 offset0:4 offset1:5
	ds_load_2addr_b32 v[74:75], v62 offset0:6 offset1:7
	v_movrels_b32_e32 v62, v18
	s_add_co_i32 m0, s2, -4
	v_fmac_f32_e32 v65, v76, v69
	v_movrels_b32_e32 v67, v18
	s_add_co_i32 m0, s2, -3
	s_wait_dscnt 0x2
	s_delay_alu instid0(VALU_DEP_2) | instskip(SKIP_2) | instid1(VALU_DEP_2)
	v_fmac_f32_e32 v65, v62, v70
	v_movrels_b32_e32 v62, v18
	s_add_co_i32 m0, s2, -2
	v_fmac_f32_e32 v65, v67, v71
	v_movrels_b32_e32 v67, v18
	s_add_co_i32 m0, s2, -1
	s_wait_dscnt 0x1
	s_delay_alu instid0(VALU_DEP_2)
	v_fmac_f32_e32 v65, v62, v72
	v_movrels_b32_e32 v62, v18
	s_mov_b32 m0, s2
	s_add_nc_u64 s[2:3], s[2:3], 8
	v_movrels_b32_e32 v68, v18
	v_dual_fmac_f32 v65, v67, v73 :: v_dual_add_nc_u32 v67, s2, v64
	s_add_co_i32 s8, s2, -7
	s_wait_dscnt 0x0
	s_delay_alu instid0(VALU_DEP_1) | instskip(NEXT) | instid1(VALU_DEP_2)
	v_fmac_f32_e32 v65, v62, v74
	v_cmp_eq_u32_e32 vcc_lo, 18, v67
	s_delay_alu instid0(VALU_DEP_2) | instskip(SKIP_1) | instid1(SALU_CYCLE_1)
	v_dual_mov_b32 v62, s8 :: v_dual_fmac_f32 v65, v68, v75
	s_or_b32 s6, vcc_lo, s6
	s_and_not1_b32 exec_lo, exec_lo, s6
	s_cbranch_execnz .LBB13_25
; %bb.26:
	s_or_b32 exec_lo, exec_lo, s6
.LBB13_27:
	s_delay_alu instid0(SALU_CYCLE_1) | instskip(SKIP_3) | instid1(VALU_DEP_1)
	s_or_b32 exec_lo, exec_lo, s1
	v_and_b32_e32 v32, 7, v63
	s_mov_b32 s2, 0
	s_mov_b32 s1, exec_lo
	v_cmpx_ne_u32_e32 0, v32
	s_cbranch_execz .LBB13_31
; %bb.28:
	v_lshl_add_u32 v33, v62, 2, 64
	v_mov_b32_e32 v63, 0
.LBB13_29:                              ; =>This Inner Loop Header: Depth=1
	v_cmp_eq_u32_e32 vcc_lo, 1, v62
	ds_load_b32 v67, v33
	v_dual_add_nc_u32 v32, -1, v32 :: v_dual_add_nc_u32 v33, 4, v33
	v_cndmask_b32_e32 v64, v18, v19, vcc_lo
	v_cmp_eq_u32_e32 vcc_lo, 2, v62
	s_delay_alu instid0(VALU_DEP_2) | instskip(SKIP_1) | instid1(VALU_DEP_2)
	v_cndmask_b32_e32 v64, v64, v20, vcc_lo
	v_cmp_eq_u32_e32 vcc_lo, 3, v62
	v_cndmask_b32_e32 v64, v64, v21, vcc_lo
	v_cmp_eq_u32_e32 vcc_lo, 4, v62
	s_delay_alu instid0(VALU_DEP_2) | instskip(SKIP_1) | instid1(VALU_DEP_2)
	v_cndmask_b32_e32 v64, v64, v22, vcc_lo
	v_cmp_eq_u32_e32 vcc_lo, 5, v62
	;; [unrolled: 5-line block ×5, first 2 shown]
	v_cndmask_b32_e32 v64, v64, v29, vcc_lo
	v_cmp_eq_u32_e32 vcc_lo, 12, v62
	s_delay_alu instid0(VALU_DEP_2) | instskip(SKIP_2) | instid1(VALU_DEP_3)
	v_cndmask_b32_e32 v64, v64, v30, vcc_lo
	v_cmp_eq_u32_e32 vcc_lo, 13, v62
	v_add_nc_u64_e32 v[62:63], 1, v[62:63]
	v_cndmask_b32_e32 v64, v64, v31, vcc_lo
	v_cmp_eq_u32_e32 vcc_lo, 0, v32
	s_wait_dscnt 0x0
	s_delay_alu instid0(VALU_DEP_2) | instskip(SKIP_1) | instid1(SALU_CYCLE_1)
	v_fmac_f32_e32 v65, v64, v67
	s_or_b32 s2, vcc_lo, s2
	s_and_not1_b32 exec_lo, exec_lo, s2
	s_cbranch_execnz .LBB13_29
; %bb.30:
	s_or_b32 exec_lo, exec_lo, s2
.LBB13_31:
	s_delay_alu instid0(SALU_CYCLE_1)
	s_or_b32 exec_lo, exec_lo, s1
.LBB13_32:
	s_delay_alu instid0(SALU_CYCLE_1)
	s_or_b32 exec_lo, exec_lo, s5
	v_mov_b32_e32 v28, 0
	ds_load_b32 v28, v28 offset:40
	s_wait_dscnt 0x0
	v_mul_f32_e32 v28, v65, v28
.LBB13_33:
	s_or_b32 exec_lo, exec_lo, s4
	v_cmp_lt_u32_e64 s1, 9, v0
	ds_store_b32 v66, v27
	s_wait_dscnt 0x0
	s_barrier_signal -1
	s_barrier_wait -1
	s_and_saveexec_b32 s4, s1
	s_cbranch_execz .LBB13_49
; %bb.34:
	s_and_not1_b32 vcc_lo, exec_lo, s18
	s_cbranch_vccnz .LBB13_36
; %bb.35:
	v_cmp_eq_u32_e32 vcc_lo, 1, v0
	ds_load_b32 v63, v66
	v_cndmask_b32_e32 v62, v18, v19, vcc_lo
	v_cmp_eq_u32_e32 vcc_lo, 2, v0
	s_delay_alu instid0(VALU_DEP_2) | instskip(SKIP_1) | instid1(VALU_DEP_2)
	v_cndmask_b32_e32 v62, v62, v20, vcc_lo
	v_cmp_eq_u32_e32 vcc_lo, 3, v0
	v_cndmask_b32_e32 v62, v62, v21, vcc_lo
	v_cmp_eq_u32_e32 vcc_lo, 4, v0
	s_delay_alu instid0(VALU_DEP_2) | instskip(SKIP_1) | instid1(VALU_DEP_2)
	v_cndmask_b32_e32 v62, v62, v22, vcc_lo
	v_cmp_eq_u32_e32 vcc_lo, 5, v0
	;; [unrolled: 5-line block ×6, first 2 shown]
	v_cndmask_b32_e32 v62, v62, v31, vcc_lo
	s_wait_dscnt 0x0
	s_delay_alu instid0(VALU_DEP_1)
	v_mul_f32_e32 v65, v62, v63
	s_cbranch_execz .LBB13_37
	s_branch .LBB13_38
.LBB13_36:
                                        ; implicit-def: $vgpr65
.LBB13_37:
	ds_load_b32 v65, v66
.LBB13_38:
	s_and_saveexec_b32 s5, s0
	s_cbranch_execz .LBB13_48
; %bb.39:
	v_dual_add_nc_u32 v62, -11, v0 :: v_dual_add_nc_u32 v63, -10, v0
	s_delay_alu instid0(VALU_DEP_1)
	v_cmp_lt_u32_e32 vcc_lo, 6, v62
	v_mov_b32_e32 v62, 10
	s_and_saveexec_b32 s0, vcc_lo
	s_cbranch_execz .LBB13_43
; %bb.40:
	v_and_b32_e32 v62, -8, v63
	s_mov_b32 s6, 0
	s_mov_b64 s[2:3], 17
	s_movk_i32 s7, 0x68
	s_delay_alu instid0(VALU_DEP_1)
	v_sub_nc_u32_e32 v64, 0, v62
.LBB13_41:                              ; =>This Inner Loop Header: Depth=1
	s_add_co_i32 m0, s2, -7
	v_movrels_b32_e32 v67, v18
	v_mov_b32_e32 v62, s7
	s_add_co_i32 m0, s2, -6
	s_add_co_i32 s7, s7, 32
	v_movrels_b32_e32 v76, v18
	s_add_co_i32 m0, s2, -5
	ds_load_2addr_b64 v[68:71], v62 offset1:1
	ds_load_2addr_b64 v[72:75], v62 offset0:2 offset1:3
	v_movrels_b32_e32 v62, v18
	s_add_co_i32 m0, s2, -4
	s_wait_dscnt 0x1
	v_fmac_f32_e32 v65, v67, v68
	v_movrels_b32_e32 v67, v18
	s_add_co_i32 m0, s2, -3
	s_delay_alu instid0(VALU_DEP_2) | instskip(NEXT) | instid1(VALU_DEP_1)
	v_fmac_f32_e32 v65, v76, v69
	v_fmac_f32_e32 v65, v62, v70
	v_movrels_b32_e32 v62, v18
	s_add_co_i32 m0, s2, -2
	s_delay_alu instid0(VALU_DEP_2) | instskip(SKIP_3) | instid1(VALU_DEP_2)
	v_fmac_f32_e32 v65, v67, v71
	v_movrels_b32_e32 v67, v18
	s_add_co_i32 m0, s2, -1
	s_wait_dscnt 0x0
	v_fmac_f32_e32 v65, v62, v72
	v_movrels_b32_e32 v62, v18
	s_mov_b32 m0, s2
	s_add_nc_u64 s[2:3], s[2:3], 8
	v_movrels_b32_e32 v68, v18
	v_dual_fmac_f32 v65, v67, v73 :: v_dual_add_nc_u32 v67, s2, v64
	s_add_co_i32 s8, s2, -7
	s_delay_alu instid0(VALU_DEP_1) | instskip(NEXT) | instid1(VALU_DEP_2)
	v_fmac_f32_e32 v65, v62, v74
	v_cmp_eq_u32_e32 vcc_lo, 17, v67
	s_delay_alu instid0(VALU_DEP_2) | instskip(SKIP_1) | instid1(SALU_CYCLE_1)
	v_dual_mov_b32 v62, s8 :: v_dual_fmac_f32 v65, v68, v75
	s_or_b32 s6, vcc_lo, s6
	s_and_not1_b32 exec_lo, exec_lo, s6
	s_cbranch_execnz .LBB13_41
; %bb.42:
	s_or_b32 exec_lo, exec_lo, s6
.LBB13_43:
	s_delay_alu instid0(SALU_CYCLE_1) | instskip(SKIP_3) | instid1(VALU_DEP_1)
	s_or_b32 exec_lo, exec_lo, s0
	v_and_b32_e32 v32, 7, v63
	s_mov_b32 s2, 0
	s_mov_b32 s0, exec_lo
	v_cmpx_ne_u32_e32 0, v32
	s_cbranch_execz .LBB13_47
; %bb.44:
	v_lshl_add_u32 v33, v62, 2, 64
	v_mov_b32_e32 v63, 0
.LBB13_45:                              ; =>This Inner Loop Header: Depth=1
	v_cmp_eq_u32_e32 vcc_lo, 1, v62
	ds_load_b32 v67, v33
	v_dual_add_nc_u32 v32, -1, v32 :: v_dual_add_nc_u32 v33, 4, v33
	v_cndmask_b32_e32 v64, v18, v19, vcc_lo
	v_cmp_eq_u32_e32 vcc_lo, 2, v62
	s_delay_alu instid0(VALU_DEP_2) | instskip(SKIP_1) | instid1(VALU_DEP_2)
	v_cndmask_b32_e32 v64, v64, v20, vcc_lo
	v_cmp_eq_u32_e32 vcc_lo, 3, v62
	v_cndmask_b32_e32 v64, v64, v21, vcc_lo
	v_cmp_eq_u32_e32 vcc_lo, 4, v62
	s_delay_alu instid0(VALU_DEP_2) | instskip(SKIP_1) | instid1(VALU_DEP_2)
	v_cndmask_b32_e32 v64, v64, v22, vcc_lo
	v_cmp_eq_u32_e32 vcc_lo, 5, v62
	v_cndmask_b32_e32 v64, v64, v23, vcc_lo
	v_cmp_eq_u32_e32 vcc_lo, 6, v62
	s_delay_alu instid0(VALU_DEP_2) | instskip(SKIP_1) | instid1(VALU_DEP_2)
	v_cndmask_b32_e32 v64, v64, v24, vcc_lo
	v_cmp_eq_u32_e32 vcc_lo, 7, v62
	v_cndmask_b32_e32 v64, v64, v25, vcc_lo
	v_cmp_eq_u32_e32 vcc_lo, 8, v62
	s_delay_alu instid0(VALU_DEP_2) | instskip(SKIP_1) | instid1(VALU_DEP_2)
	v_cndmask_b32_e32 v64, v64, v26, vcc_lo
	v_cmp_eq_u32_e32 vcc_lo, 9, v62
	v_cndmask_b32_e32 v64, v64, v27, vcc_lo
	v_cmp_eq_u32_e32 vcc_lo, 10, v62
	s_delay_alu instid0(VALU_DEP_2) | instskip(SKIP_1) | instid1(VALU_DEP_2)
	v_cndmask_b32_e32 v64, v64, v28, vcc_lo
	v_cmp_eq_u32_e32 vcc_lo, 11, v62
	v_cndmask_b32_e32 v64, v64, v29, vcc_lo
	v_cmp_eq_u32_e32 vcc_lo, 12, v62
	s_delay_alu instid0(VALU_DEP_2) | instskip(SKIP_2) | instid1(VALU_DEP_3)
	v_cndmask_b32_e32 v64, v64, v30, vcc_lo
	v_cmp_eq_u32_e32 vcc_lo, 13, v62
	v_add_nc_u64_e32 v[62:63], 1, v[62:63]
	v_cndmask_b32_e32 v64, v64, v31, vcc_lo
	v_cmp_eq_u32_e32 vcc_lo, 0, v32
	s_wait_dscnt 0x0
	s_delay_alu instid0(VALU_DEP_2) | instskip(SKIP_1) | instid1(SALU_CYCLE_1)
	v_fmac_f32_e32 v65, v64, v67
	s_or_b32 s2, vcc_lo, s2
	s_and_not1_b32 exec_lo, exec_lo, s2
	s_cbranch_execnz .LBB13_45
; %bb.46:
	s_or_b32 exec_lo, exec_lo, s2
.LBB13_47:
	s_delay_alu instid0(SALU_CYCLE_1)
	s_or_b32 exec_lo, exec_lo, s0
.LBB13_48:
	s_delay_alu instid0(SALU_CYCLE_1)
	s_or_b32 exec_lo, exec_lo, s5
	v_mov_b32_e32 v27, 0
	ds_load_b32 v27, v27 offset:36
	s_wait_dscnt 0x0
	v_mul_f32_e32 v27, v65, v27
.LBB13_49:
	s_or_b32 exec_lo, exec_lo, s4
	v_cmp_lt_u32_e64 s0, 8, v0
	ds_store_b32 v66, v26
	s_wait_dscnt 0x0
	s_barrier_signal -1
	s_barrier_wait -1
	s_and_saveexec_b32 s4, s0
	s_cbranch_execz .LBB13_65
; %bb.50:
	s_and_not1_b32 vcc_lo, exec_lo, s18
	s_cbranch_vccnz .LBB13_52
; %bb.51:
	v_cmp_eq_u32_e32 vcc_lo, 1, v0
	ds_load_b32 v63, v66
	v_cndmask_b32_e32 v62, v18, v19, vcc_lo
	v_cmp_eq_u32_e32 vcc_lo, 2, v0
	s_delay_alu instid0(VALU_DEP_2) | instskip(SKIP_1) | instid1(VALU_DEP_2)
	v_cndmask_b32_e32 v62, v62, v20, vcc_lo
	v_cmp_eq_u32_e32 vcc_lo, 3, v0
	v_cndmask_b32_e32 v62, v62, v21, vcc_lo
	v_cmp_eq_u32_e32 vcc_lo, 4, v0
	s_delay_alu instid0(VALU_DEP_2) | instskip(SKIP_1) | instid1(VALU_DEP_2)
	v_cndmask_b32_e32 v62, v62, v22, vcc_lo
	v_cmp_eq_u32_e32 vcc_lo, 5, v0
	;; [unrolled: 5-line block ×6, first 2 shown]
	v_cndmask_b32_e32 v62, v62, v31, vcc_lo
	s_wait_dscnt 0x0
	s_delay_alu instid0(VALU_DEP_1)
	v_mul_f32_e32 v65, v62, v63
	s_cbranch_execz .LBB13_53
	s_branch .LBB13_54
.LBB13_52:
                                        ; implicit-def: $vgpr65
.LBB13_53:
	ds_load_b32 v65, v66
.LBB13_54:
	s_and_saveexec_b32 s5, s1
	s_cbranch_execz .LBB13_64
; %bb.55:
	v_dual_add_nc_u32 v62, -10, v0 :: v_dual_add_nc_u32 v63, -9, v0
	s_delay_alu instid0(VALU_DEP_1)
	v_cmp_lt_u32_e32 vcc_lo, 6, v62
	v_mov_b32_e32 v62, 9
	s_and_saveexec_b32 s1, vcc_lo
	s_cbranch_execz .LBB13_59
; %bb.56:
	v_and_b32_e32 v62, -8, v63
	s_mov_b32 s6, 0
	s_mov_b64 s[2:3], 16
	s_movk_i32 s7, 0x64
	s_delay_alu instid0(VALU_DEP_1)
	v_sub_nc_u32_e32 v64, 0, v62
.LBB13_57:                              ; =>This Inner Loop Header: Depth=1
	s_add_co_i32 m0, s2, -7
	v_movrels_b32_e32 v67, v18
	v_mov_b32_e32 v62, s7
	s_add_co_i32 m0, s2, -6
	s_add_co_i32 s7, s7, 32
	v_movrels_b32_e32 v76, v18
	ds_load_2addr_b32 v[68:69], v62 offset1:1
	ds_load_2addr_b32 v[70:71], v62 offset0:2 offset1:3
	s_add_co_i32 m0, s2, -5
	s_wait_dscnt 0x1
	v_fmac_f32_e32 v65, v67, v68
	ds_load_2addr_b32 v[72:73], v62 offset0:4 offset1:5
	ds_load_2addr_b32 v[74:75], v62 offset0:6 offset1:7
	v_movrels_b32_e32 v62, v18
	s_add_co_i32 m0, s2, -4
	v_fmac_f32_e32 v65, v76, v69
	v_movrels_b32_e32 v67, v18
	s_add_co_i32 m0, s2, -3
	s_wait_dscnt 0x2
	s_delay_alu instid0(VALU_DEP_2) | instskip(SKIP_2) | instid1(VALU_DEP_2)
	v_fmac_f32_e32 v65, v62, v70
	v_movrels_b32_e32 v62, v18
	s_add_co_i32 m0, s2, -2
	v_fmac_f32_e32 v65, v67, v71
	v_movrels_b32_e32 v67, v18
	s_add_co_i32 m0, s2, -1
	s_wait_dscnt 0x1
	s_delay_alu instid0(VALU_DEP_2)
	v_fmac_f32_e32 v65, v62, v72
	v_movrels_b32_e32 v62, v18
	s_mov_b32 m0, s2
	s_add_nc_u64 s[2:3], s[2:3], 8
	v_movrels_b32_e32 v68, v18
	v_dual_fmac_f32 v65, v67, v73 :: v_dual_add_nc_u32 v67, s2, v64
	s_add_co_i32 s8, s2, -7
	s_wait_dscnt 0x0
	s_delay_alu instid0(VALU_DEP_1) | instskip(NEXT) | instid1(VALU_DEP_2)
	v_fmac_f32_e32 v65, v62, v74
	v_cmp_eq_u32_e32 vcc_lo, 16, v67
	s_delay_alu instid0(VALU_DEP_2) | instskip(SKIP_1) | instid1(SALU_CYCLE_1)
	v_dual_mov_b32 v62, s8 :: v_dual_fmac_f32 v65, v68, v75
	s_or_b32 s6, vcc_lo, s6
	s_and_not1_b32 exec_lo, exec_lo, s6
	s_cbranch_execnz .LBB13_57
; %bb.58:
	s_or_b32 exec_lo, exec_lo, s6
.LBB13_59:
	s_delay_alu instid0(SALU_CYCLE_1) | instskip(SKIP_3) | instid1(VALU_DEP_1)
	s_or_b32 exec_lo, exec_lo, s1
	v_and_b32_e32 v32, 7, v63
	s_mov_b32 s2, 0
	s_mov_b32 s1, exec_lo
	v_cmpx_ne_u32_e32 0, v32
	s_cbranch_execz .LBB13_63
; %bb.60:
	v_lshl_add_u32 v33, v62, 2, 64
	v_mov_b32_e32 v63, 0
.LBB13_61:                              ; =>This Inner Loop Header: Depth=1
	v_cmp_eq_u32_e32 vcc_lo, 1, v62
	ds_load_b32 v67, v33
	v_dual_add_nc_u32 v32, -1, v32 :: v_dual_add_nc_u32 v33, 4, v33
	v_cndmask_b32_e32 v64, v18, v19, vcc_lo
	v_cmp_eq_u32_e32 vcc_lo, 2, v62
	s_delay_alu instid0(VALU_DEP_2) | instskip(SKIP_1) | instid1(VALU_DEP_2)
	v_cndmask_b32_e32 v64, v64, v20, vcc_lo
	v_cmp_eq_u32_e32 vcc_lo, 3, v62
	v_cndmask_b32_e32 v64, v64, v21, vcc_lo
	v_cmp_eq_u32_e32 vcc_lo, 4, v62
	s_delay_alu instid0(VALU_DEP_2) | instskip(SKIP_1) | instid1(VALU_DEP_2)
	v_cndmask_b32_e32 v64, v64, v22, vcc_lo
	v_cmp_eq_u32_e32 vcc_lo, 5, v62
	;; [unrolled: 5-line block ×5, first 2 shown]
	v_cndmask_b32_e32 v64, v64, v29, vcc_lo
	v_cmp_eq_u32_e32 vcc_lo, 12, v62
	s_delay_alu instid0(VALU_DEP_2) | instskip(SKIP_2) | instid1(VALU_DEP_3)
	v_cndmask_b32_e32 v64, v64, v30, vcc_lo
	v_cmp_eq_u32_e32 vcc_lo, 13, v62
	v_add_nc_u64_e32 v[62:63], 1, v[62:63]
	v_cndmask_b32_e32 v64, v64, v31, vcc_lo
	v_cmp_eq_u32_e32 vcc_lo, 0, v32
	s_wait_dscnt 0x0
	s_delay_alu instid0(VALU_DEP_2) | instskip(SKIP_1) | instid1(SALU_CYCLE_1)
	v_fmac_f32_e32 v65, v64, v67
	s_or_b32 s2, vcc_lo, s2
	s_and_not1_b32 exec_lo, exec_lo, s2
	s_cbranch_execnz .LBB13_61
; %bb.62:
	s_or_b32 exec_lo, exec_lo, s2
.LBB13_63:
	s_delay_alu instid0(SALU_CYCLE_1)
	s_or_b32 exec_lo, exec_lo, s1
.LBB13_64:
	s_delay_alu instid0(SALU_CYCLE_1)
	s_or_b32 exec_lo, exec_lo, s5
	v_mov_b32_e32 v26, 0
	ds_load_b32 v26, v26 offset:32
	s_wait_dscnt 0x0
	v_mul_f32_e32 v26, v65, v26
.LBB13_65:
	s_or_b32 exec_lo, exec_lo, s4
	v_cmp_lt_u32_e64 s1, 7, v0
	ds_store_b32 v66, v25
	s_wait_dscnt 0x0
	s_barrier_signal -1
	s_barrier_wait -1
	s_and_saveexec_b32 s4, s1
	s_cbranch_execz .LBB13_81
; %bb.66:
	s_and_not1_b32 vcc_lo, exec_lo, s18
	s_cbranch_vccnz .LBB13_68
; %bb.67:
	v_cmp_eq_u32_e32 vcc_lo, 1, v0
	ds_load_b32 v63, v66
	v_cndmask_b32_e32 v62, v18, v19, vcc_lo
	v_cmp_eq_u32_e32 vcc_lo, 2, v0
	s_delay_alu instid0(VALU_DEP_2) | instskip(SKIP_1) | instid1(VALU_DEP_2)
	v_cndmask_b32_e32 v62, v62, v20, vcc_lo
	v_cmp_eq_u32_e32 vcc_lo, 3, v0
	v_cndmask_b32_e32 v62, v62, v21, vcc_lo
	v_cmp_eq_u32_e32 vcc_lo, 4, v0
	s_delay_alu instid0(VALU_DEP_2) | instskip(SKIP_1) | instid1(VALU_DEP_2)
	v_cndmask_b32_e32 v62, v62, v22, vcc_lo
	v_cmp_eq_u32_e32 vcc_lo, 5, v0
	;; [unrolled: 5-line block ×6, first 2 shown]
	v_cndmask_b32_e32 v62, v62, v31, vcc_lo
	s_wait_dscnt 0x0
	s_delay_alu instid0(VALU_DEP_1)
	v_mul_f32_e32 v67, v62, v63
	s_cbranch_execz .LBB13_69
	s_branch .LBB13_70
.LBB13_68:
                                        ; implicit-def: $vgpr67
.LBB13_69:
	ds_load_b32 v67, v66
.LBB13_70:
	s_and_saveexec_b32 s5, s0
	s_cbranch_execz .LBB13_80
; %bb.71:
	v_add_nc_u32_e32 v62, -9, v0
	s_delay_alu instid0(VALU_DEP_1)
	v_cmp_lt_u32_e32 vcc_lo, 6, v62
	v_mov_b32_e32 v62, 8
	s_and_saveexec_b32 s0, vcc_lo
	s_cbranch_execz .LBB13_75
; %bb.72:
	v_bfe_u32 v62, v0, 3, 1
	v_mov_b32_e32 v63, 0
	s_mov_b64 s[2:3], 0xfffffff8
	s_movk_i32 s7, 0x60
	s_mov_b32 s6, 0
	s_delay_alu instid0(VALU_DEP_1)
	v_mul_u64_e32 v[64:65], s[2:3], v[62:63]
	s_mov_b64 s[2:3], 15
.LBB13_73:                              ; =>This Inner Loop Header: Depth=1
	s_delay_alu instid0(SALU_CYCLE_1)
	s_add_co_i32 m0, s2, -7
	v_movrels_b32_e32 v63, v18
	v_mov_b32_e32 v62, s7
	s_add_co_i32 m0, s2, -6
	s_add_co_i32 s7, s7, 32
	v_movrels_b32_e32 v65, v18
	s_add_co_i32 m0, s2, -5
	ds_load_b128 v[68:71], v62
	ds_load_b128 v[72:75], v62 offset:16
	v_movrels_b32_e32 v62, v18
	s_add_co_i32 m0, s2, -4
	s_wait_dscnt 0x1
	v_fmac_f32_e32 v67, v63, v68
	v_movrels_b32_e32 v63, v18
	s_add_co_i32 m0, s2, -3
	s_delay_alu instid0(VALU_DEP_2) | instskip(NEXT) | instid1(VALU_DEP_1)
	v_fmac_f32_e32 v67, v65, v69
	v_fmac_f32_e32 v67, v62, v70
	v_movrels_b32_e32 v62, v18
	s_add_co_i32 m0, s2, -2
	s_delay_alu instid0(VALU_DEP_2) | instskip(SKIP_3) | instid1(VALU_DEP_2)
	v_fmac_f32_e32 v67, v63, v71
	v_movrels_b32_e32 v63, v18
	s_add_co_i32 m0, s2, -1
	s_wait_dscnt 0x0
	v_fmac_f32_e32 v67, v62, v72
	v_movrels_b32_e32 v62, v18
	s_mov_b32 m0, s2
	s_add_nc_u64 s[2:3], s[2:3], 8
	v_movrels_b32_e32 v65, v18
	v_dual_fmac_f32 v67, v63, v73 :: v_dual_add_nc_u32 v63, s2, v64
	s_add_co_i32 s8, s2, -7
	s_delay_alu instid0(VALU_DEP_1) | instskip(NEXT) | instid1(VALU_DEP_2)
	v_fmac_f32_e32 v67, v62, v74
	v_cmp_eq_u32_e32 vcc_lo, 7, v63
	s_delay_alu instid0(VALU_DEP_2) | instskip(SKIP_1) | instid1(SALU_CYCLE_1)
	v_dual_mov_b32 v62, s8 :: v_dual_fmac_f32 v67, v65, v75
	s_or_b32 s6, vcc_lo, s6
	s_and_not1_b32 exec_lo, exec_lo, s6
	s_cbranch_execnz .LBB13_73
; %bb.74:
	s_or_b32 exec_lo, exec_lo, s6
.LBB13_75:
	s_delay_alu instid0(SALU_CYCLE_1) | instskip(SKIP_3) | instid1(VALU_DEP_1)
	s_or_b32 exec_lo, exec_lo, s0
	v_and_b32_e32 v32, 7, v0
	s_mov_b32 s2, 0
	s_mov_b32 s0, exec_lo
	v_cmpx_ne_u32_e32 0, v32
	s_cbranch_execz .LBB13_79
; %bb.76:
	v_lshl_add_u32 v33, v62, 2, 64
	v_mov_b32_e32 v63, 0
.LBB13_77:                              ; =>This Inner Loop Header: Depth=1
	v_cmp_eq_u32_e32 vcc_lo, 1, v62
	ds_load_b32 v65, v33
	v_dual_add_nc_u32 v32, -1, v32 :: v_dual_add_nc_u32 v33, 4, v33
	v_cndmask_b32_e32 v64, v18, v19, vcc_lo
	v_cmp_eq_u32_e32 vcc_lo, 2, v62
	s_delay_alu instid0(VALU_DEP_2) | instskip(SKIP_1) | instid1(VALU_DEP_2)
	v_cndmask_b32_e32 v64, v64, v20, vcc_lo
	v_cmp_eq_u32_e32 vcc_lo, 3, v62
	v_cndmask_b32_e32 v64, v64, v21, vcc_lo
	v_cmp_eq_u32_e32 vcc_lo, 4, v62
	s_delay_alu instid0(VALU_DEP_2) | instskip(SKIP_1) | instid1(VALU_DEP_2)
	v_cndmask_b32_e32 v64, v64, v22, vcc_lo
	v_cmp_eq_u32_e32 vcc_lo, 5, v62
	;; [unrolled: 5-line block ×5, first 2 shown]
	v_cndmask_b32_e32 v64, v64, v29, vcc_lo
	v_cmp_eq_u32_e32 vcc_lo, 12, v62
	s_delay_alu instid0(VALU_DEP_2) | instskip(SKIP_2) | instid1(VALU_DEP_3)
	v_cndmask_b32_e32 v64, v64, v30, vcc_lo
	v_cmp_eq_u32_e32 vcc_lo, 13, v62
	v_add_nc_u64_e32 v[62:63], 1, v[62:63]
	v_cndmask_b32_e32 v64, v64, v31, vcc_lo
	v_cmp_eq_u32_e32 vcc_lo, 0, v32
	s_wait_dscnt 0x0
	s_delay_alu instid0(VALU_DEP_2) | instskip(SKIP_1) | instid1(SALU_CYCLE_1)
	v_fmac_f32_e32 v67, v64, v65
	s_or_b32 s2, vcc_lo, s2
	s_and_not1_b32 exec_lo, exec_lo, s2
	s_cbranch_execnz .LBB13_77
; %bb.78:
	s_or_b32 exec_lo, exec_lo, s2
.LBB13_79:
	s_delay_alu instid0(SALU_CYCLE_1)
	s_or_b32 exec_lo, exec_lo, s0
.LBB13_80:
	s_delay_alu instid0(SALU_CYCLE_1)
	s_or_b32 exec_lo, exec_lo, s5
	v_mov_b32_e32 v25, 0
	ds_load_b32 v25, v25 offset:28
	s_wait_dscnt 0x0
	v_mul_f32_e32 v25, v67, v25
.LBB13_81:
	s_or_b32 exec_lo, exec_lo, s4
	v_cmp_lt_u32_e64 s0, 6, v0
	ds_store_b32 v66, v24
	s_wait_dscnt 0x0
	s_barrier_signal -1
	s_barrier_wait -1
	s_and_saveexec_b32 s4, s0
	s_cbranch_execz .LBB13_97
; %bb.82:
	s_and_not1_b32 vcc_lo, exec_lo, s18
	s_cbranch_vccnz .LBB13_84
; %bb.83:
	v_cmp_eq_u32_e32 vcc_lo, 1, v0
	ds_load_b32 v63, v66
	v_cndmask_b32_e32 v62, v18, v19, vcc_lo
	v_cmp_eq_u32_e32 vcc_lo, 2, v0
	s_delay_alu instid0(VALU_DEP_2) | instskip(SKIP_1) | instid1(VALU_DEP_2)
	v_cndmask_b32_e32 v62, v62, v20, vcc_lo
	v_cmp_eq_u32_e32 vcc_lo, 3, v0
	v_cndmask_b32_e32 v62, v62, v21, vcc_lo
	v_cmp_eq_u32_e32 vcc_lo, 4, v0
	s_delay_alu instid0(VALU_DEP_2) | instskip(SKIP_1) | instid1(VALU_DEP_2)
	v_cndmask_b32_e32 v62, v62, v22, vcc_lo
	v_cmp_eq_u32_e32 vcc_lo, 5, v0
	;; [unrolled: 5-line block ×6, first 2 shown]
	v_cndmask_b32_e32 v62, v62, v31, vcc_lo
	s_wait_dscnt 0x0
	s_delay_alu instid0(VALU_DEP_1)
	v_mul_f32_e32 v65, v62, v63
	s_cbranch_execz .LBB13_85
	s_branch .LBB13_86
.LBB13_84:
                                        ; implicit-def: $vgpr65
.LBB13_85:
	ds_load_b32 v65, v66
.LBB13_86:
	s_and_saveexec_b32 s5, s1
	s_cbranch_execz .LBB13_96
; %bb.87:
	v_dual_add_nc_u32 v62, -8, v0 :: v_dual_add_nc_u32 v63, -7, v0
	s_delay_alu instid0(VALU_DEP_1)
	v_cmp_lt_u32_e32 vcc_lo, 6, v62
	v_mov_b32_e32 v62, 7
	s_and_saveexec_b32 s1, vcc_lo
	s_cbranch_execz .LBB13_91
; %bb.88:
	v_and_b32_e32 v62, -8, v63
	s_mov_b32 s6, 0
	s_mov_b64 s[2:3], 14
	s_movk_i32 s7, 0x5c
	s_delay_alu instid0(VALU_DEP_1)
	v_sub_nc_u32_e32 v64, 0, v62
.LBB13_89:                              ; =>This Inner Loop Header: Depth=1
	s_add_co_i32 m0, s2, -7
	v_movrels_b32_e32 v67, v18
	v_mov_b32_e32 v62, s7
	s_add_co_i32 m0, s2, -6
	s_add_co_i32 s7, s7, 32
	v_movrels_b32_e32 v76, v18
	ds_load_2addr_b32 v[68:69], v62 offset1:1
	ds_load_2addr_b32 v[70:71], v62 offset0:2 offset1:3
	s_add_co_i32 m0, s2, -5
	s_wait_dscnt 0x1
	v_fmac_f32_e32 v65, v67, v68
	ds_load_2addr_b32 v[72:73], v62 offset0:4 offset1:5
	ds_load_2addr_b32 v[74:75], v62 offset0:6 offset1:7
	v_movrels_b32_e32 v62, v18
	s_add_co_i32 m0, s2, -4
	v_fmac_f32_e32 v65, v76, v69
	v_movrels_b32_e32 v67, v18
	s_add_co_i32 m0, s2, -3
	s_wait_dscnt 0x2
	s_delay_alu instid0(VALU_DEP_2) | instskip(SKIP_2) | instid1(VALU_DEP_2)
	v_fmac_f32_e32 v65, v62, v70
	v_movrels_b32_e32 v62, v18
	s_add_co_i32 m0, s2, -2
	v_fmac_f32_e32 v65, v67, v71
	v_movrels_b32_e32 v67, v18
	s_add_co_i32 m0, s2, -1
	s_wait_dscnt 0x1
	s_delay_alu instid0(VALU_DEP_2)
	v_fmac_f32_e32 v65, v62, v72
	v_movrels_b32_e32 v62, v18
	s_mov_b32 m0, s2
	s_add_nc_u64 s[2:3], s[2:3], 8
	v_movrels_b32_e32 v68, v18
	v_dual_fmac_f32 v65, v67, v73 :: v_dual_add_nc_u32 v67, s2, v64
	s_add_co_i32 s8, s2, -7
	s_wait_dscnt 0x0
	s_delay_alu instid0(VALU_DEP_1) | instskip(NEXT) | instid1(VALU_DEP_2)
	v_fmac_f32_e32 v65, v62, v74
	v_cmp_eq_u32_e32 vcc_lo, 14, v67
	s_delay_alu instid0(VALU_DEP_2) | instskip(SKIP_1) | instid1(SALU_CYCLE_1)
	v_dual_mov_b32 v62, s8 :: v_dual_fmac_f32 v65, v68, v75
	s_or_b32 s6, vcc_lo, s6
	s_and_not1_b32 exec_lo, exec_lo, s6
	s_cbranch_execnz .LBB13_89
; %bb.90:
	s_or_b32 exec_lo, exec_lo, s6
.LBB13_91:
	s_delay_alu instid0(SALU_CYCLE_1) | instskip(SKIP_3) | instid1(VALU_DEP_1)
	s_or_b32 exec_lo, exec_lo, s1
	v_and_b32_e32 v32, 7, v63
	s_mov_b32 s2, 0
	s_mov_b32 s1, exec_lo
	v_cmpx_ne_u32_e32 0, v32
	s_cbranch_execz .LBB13_95
; %bb.92:
	v_lshl_add_u32 v33, v62, 2, 64
	v_mov_b32_e32 v63, 0
.LBB13_93:                              ; =>This Inner Loop Header: Depth=1
	v_cmp_eq_u32_e32 vcc_lo, 1, v62
	ds_load_b32 v67, v33
	v_dual_add_nc_u32 v32, -1, v32 :: v_dual_add_nc_u32 v33, 4, v33
	v_cndmask_b32_e32 v64, v18, v19, vcc_lo
	v_cmp_eq_u32_e32 vcc_lo, 2, v62
	s_delay_alu instid0(VALU_DEP_2) | instskip(SKIP_1) | instid1(VALU_DEP_2)
	v_cndmask_b32_e32 v64, v64, v20, vcc_lo
	v_cmp_eq_u32_e32 vcc_lo, 3, v62
	v_cndmask_b32_e32 v64, v64, v21, vcc_lo
	v_cmp_eq_u32_e32 vcc_lo, 4, v62
	s_delay_alu instid0(VALU_DEP_2) | instskip(SKIP_1) | instid1(VALU_DEP_2)
	v_cndmask_b32_e32 v64, v64, v22, vcc_lo
	v_cmp_eq_u32_e32 vcc_lo, 5, v62
	;; [unrolled: 5-line block ×5, first 2 shown]
	v_cndmask_b32_e32 v64, v64, v29, vcc_lo
	v_cmp_eq_u32_e32 vcc_lo, 12, v62
	s_delay_alu instid0(VALU_DEP_2) | instskip(SKIP_2) | instid1(VALU_DEP_3)
	v_cndmask_b32_e32 v64, v64, v30, vcc_lo
	v_cmp_eq_u32_e32 vcc_lo, 13, v62
	v_add_nc_u64_e32 v[62:63], 1, v[62:63]
	v_cndmask_b32_e32 v64, v64, v31, vcc_lo
	v_cmp_eq_u32_e32 vcc_lo, 0, v32
	s_wait_dscnt 0x0
	s_delay_alu instid0(VALU_DEP_2) | instskip(SKIP_1) | instid1(SALU_CYCLE_1)
	v_fmac_f32_e32 v65, v64, v67
	s_or_b32 s2, vcc_lo, s2
	s_and_not1_b32 exec_lo, exec_lo, s2
	s_cbranch_execnz .LBB13_93
; %bb.94:
	s_or_b32 exec_lo, exec_lo, s2
.LBB13_95:
	s_delay_alu instid0(SALU_CYCLE_1)
	s_or_b32 exec_lo, exec_lo, s1
.LBB13_96:
	s_delay_alu instid0(SALU_CYCLE_1)
	s_or_b32 exec_lo, exec_lo, s5
	v_mov_b32_e32 v24, 0
	ds_load_b32 v24, v24 offset:24
	s_wait_dscnt 0x0
	v_mul_f32_e32 v24, v65, v24
.LBB13_97:
	s_or_b32 exec_lo, exec_lo, s4
	v_cmp_lt_u32_e64 s1, 5, v0
	ds_store_b32 v66, v23
	s_wait_dscnt 0x0
	s_barrier_signal -1
	s_barrier_wait -1
	s_and_saveexec_b32 s4, s1
	s_cbranch_execz .LBB13_113
; %bb.98:
	s_and_not1_b32 vcc_lo, exec_lo, s18
	s_cbranch_vccnz .LBB13_100
; %bb.99:
	v_cmp_eq_u32_e32 vcc_lo, 1, v0
	ds_load_b32 v63, v66
	v_cndmask_b32_e32 v62, v18, v19, vcc_lo
	v_cmp_eq_u32_e32 vcc_lo, 2, v0
	s_delay_alu instid0(VALU_DEP_2) | instskip(SKIP_1) | instid1(VALU_DEP_2)
	v_cndmask_b32_e32 v62, v62, v20, vcc_lo
	v_cmp_eq_u32_e32 vcc_lo, 3, v0
	v_cndmask_b32_e32 v62, v62, v21, vcc_lo
	v_cmp_eq_u32_e32 vcc_lo, 4, v0
	s_delay_alu instid0(VALU_DEP_2) | instskip(SKIP_1) | instid1(VALU_DEP_2)
	v_cndmask_b32_e32 v62, v62, v22, vcc_lo
	v_cmp_eq_u32_e32 vcc_lo, 5, v0
	;; [unrolled: 5-line block ×6, first 2 shown]
	v_cndmask_b32_e32 v62, v62, v31, vcc_lo
	s_wait_dscnt 0x0
	s_delay_alu instid0(VALU_DEP_1)
	v_mul_f32_e32 v65, v62, v63
	s_cbranch_execz .LBB13_101
	s_branch .LBB13_102
.LBB13_100:
                                        ; implicit-def: $vgpr65
.LBB13_101:
	ds_load_b32 v65, v66
.LBB13_102:
	s_and_saveexec_b32 s5, s0
	s_cbranch_execz .LBB13_112
; %bb.103:
	v_dual_add_nc_u32 v64, -7, v0 :: v_dual_add_nc_u32 v63, -6, v0
	v_mov_b32_e32 v62, 6
	s_mov_b32 s0, exec_lo
	s_delay_alu instid0(VALU_DEP_2)
	v_cmpx_lt_u32_e32 6, v64
	s_cbranch_execz .LBB13_107
; %bb.104:
	v_and_b32_e32 v62, -8, v63
	s_mov_b32 s6, 0
	s_mov_b64 s[2:3], 13
	s_movk_i32 s7, 0x58
	s_delay_alu instid0(VALU_DEP_1)
	v_sub_nc_u32_e32 v64, 0, v62
.LBB13_105:                             ; =>This Inner Loop Header: Depth=1
	s_add_co_i32 m0, s2, -7
	v_movrels_b32_e32 v67, v18
	v_mov_b32_e32 v62, s7
	s_add_co_i32 m0, s2, -6
	s_add_co_i32 s7, s7, 32
	v_movrels_b32_e32 v76, v18
	s_add_co_i32 m0, s2, -5
	ds_load_2addr_b64 v[68:71], v62 offset1:1
	ds_load_2addr_b64 v[72:75], v62 offset0:2 offset1:3
	v_movrels_b32_e32 v62, v18
	s_add_co_i32 m0, s2, -4
	s_wait_dscnt 0x1
	v_fmac_f32_e32 v65, v67, v68
	v_movrels_b32_e32 v67, v18
	s_add_co_i32 m0, s2, -3
	s_delay_alu instid0(VALU_DEP_2) | instskip(NEXT) | instid1(VALU_DEP_1)
	v_fmac_f32_e32 v65, v76, v69
	v_fmac_f32_e32 v65, v62, v70
	v_movrels_b32_e32 v62, v18
	s_add_co_i32 m0, s2, -2
	s_delay_alu instid0(VALU_DEP_2) | instskip(SKIP_3) | instid1(VALU_DEP_2)
	v_fmac_f32_e32 v65, v67, v71
	v_movrels_b32_e32 v67, v18
	s_add_co_i32 m0, s2, -1
	s_wait_dscnt 0x0
	v_fmac_f32_e32 v65, v62, v72
	v_movrels_b32_e32 v62, v18
	s_mov_b32 m0, s2
	s_add_nc_u64 s[2:3], s[2:3], 8
	v_movrels_b32_e32 v68, v18
	v_dual_fmac_f32 v65, v67, v73 :: v_dual_add_nc_u32 v67, s2, v64
	s_add_co_i32 s8, s2, -7
	s_delay_alu instid0(VALU_DEP_1) | instskip(NEXT) | instid1(VALU_DEP_2)
	v_fmac_f32_e32 v65, v62, v74
	v_cmp_eq_u32_e32 vcc_lo, 13, v67
	s_delay_alu instid0(VALU_DEP_2) | instskip(SKIP_1) | instid1(SALU_CYCLE_1)
	v_dual_mov_b32 v62, s8 :: v_dual_fmac_f32 v65, v68, v75
	s_or_b32 s6, vcc_lo, s6
	s_and_not1_b32 exec_lo, exec_lo, s6
	s_cbranch_execnz .LBB13_105
; %bb.106:
	s_or_b32 exec_lo, exec_lo, s6
.LBB13_107:
	s_delay_alu instid0(SALU_CYCLE_1) | instskip(SKIP_3) | instid1(VALU_DEP_1)
	s_or_b32 exec_lo, exec_lo, s0
	v_and_b32_e32 v32, 7, v63
	s_mov_b32 s2, 0
	s_mov_b32 s0, exec_lo
	v_cmpx_ne_u32_e32 0, v32
	s_cbranch_execz .LBB13_111
; %bb.108:
	v_lshl_add_u32 v33, v62, 2, 64
	v_mov_b32_e32 v63, 0
.LBB13_109:                             ; =>This Inner Loop Header: Depth=1
	v_cmp_eq_u32_e32 vcc_lo, 1, v62
	ds_load_b32 v67, v33
	v_dual_add_nc_u32 v32, -1, v32 :: v_dual_add_nc_u32 v33, 4, v33
	v_cndmask_b32_e32 v64, v18, v19, vcc_lo
	v_cmp_eq_u32_e32 vcc_lo, 2, v62
	s_delay_alu instid0(VALU_DEP_2) | instskip(SKIP_1) | instid1(VALU_DEP_2)
	v_cndmask_b32_e32 v64, v64, v20, vcc_lo
	v_cmp_eq_u32_e32 vcc_lo, 3, v62
	v_cndmask_b32_e32 v64, v64, v21, vcc_lo
	v_cmp_eq_u32_e32 vcc_lo, 4, v62
	s_delay_alu instid0(VALU_DEP_2) | instskip(SKIP_1) | instid1(VALU_DEP_2)
	v_cndmask_b32_e32 v64, v64, v22, vcc_lo
	v_cmp_eq_u32_e32 vcc_lo, 5, v62
	;; [unrolled: 5-line block ×5, first 2 shown]
	v_cndmask_b32_e32 v64, v64, v29, vcc_lo
	v_cmp_eq_u32_e32 vcc_lo, 12, v62
	s_delay_alu instid0(VALU_DEP_2) | instskip(SKIP_2) | instid1(VALU_DEP_3)
	v_cndmask_b32_e32 v64, v64, v30, vcc_lo
	v_cmp_eq_u32_e32 vcc_lo, 13, v62
	v_add_nc_u64_e32 v[62:63], 1, v[62:63]
	v_cndmask_b32_e32 v64, v64, v31, vcc_lo
	v_cmp_eq_u32_e32 vcc_lo, 0, v32
	s_wait_dscnt 0x0
	s_delay_alu instid0(VALU_DEP_2) | instskip(SKIP_1) | instid1(SALU_CYCLE_1)
	v_fmac_f32_e32 v65, v64, v67
	s_or_b32 s2, vcc_lo, s2
	s_and_not1_b32 exec_lo, exec_lo, s2
	s_cbranch_execnz .LBB13_109
; %bb.110:
	s_or_b32 exec_lo, exec_lo, s2
.LBB13_111:
	s_delay_alu instid0(SALU_CYCLE_1)
	s_or_b32 exec_lo, exec_lo, s0
.LBB13_112:
	s_delay_alu instid0(SALU_CYCLE_1)
	s_or_b32 exec_lo, exec_lo, s5
	v_mov_b32_e32 v23, 0
	ds_load_b32 v23, v23 offset:20
	s_wait_dscnt 0x0
	v_mul_f32_e32 v23, v65, v23
.LBB13_113:
	s_or_b32 exec_lo, exec_lo, s4
	v_cmp_lt_u32_e64 s0, 4, v0
	ds_store_b32 v66, v22
	s_wait_dscnt 0x0
	s_barrier_signal -1
	s_barrier_wait -1
	s_and_saveexec_b32 s4, s0
	s_cbranch_execz .LBB13_129
; %bb.114:
	s_and_not1_b32 vcc_lo, exec_lo, s18
	s_cbranch_vccnz .LBB13_116
; %bb.115:
	v_cmp_eq_u32_e32 vcc_lo, 1, v0
	ds_load_b32 v63, v66
	v_cndmask_b32_e32 v62, v18, v19, vcc_lo
	v_cmp_eq_u32_e32 vcc_lo, 2, v0
	s_delay_alu instid0(VALU_DEP_2) | instskip(SKIP_1) | instid1(VALU_DEP_2)
	v_cndmask_b32_e32 v62, v62, v20, vcc_lo
	v_cmp_eq_u32_e32 vcc_lo, 3, v0
	v_cndmask_b32_e32 v62, v62, v21, vcc_lo
	v_cmp_eq_u32_e32 vcc_lo, 4, v0
	s_delay_alu instid0(VALU_DEP_2) | instskip(SKIP_1) | instid1(VALU_DEP_2)
	v_cndmask_b32_e32 v62, v62, v22, vcc_lo
	v_cmp_eq_u32_e32 vcc_lo, 5, v0
	;; [unrolled: 5-line block ×6, first 2 shown]
	v_cndmask_b32_e32 v62, v62, v31, vcc_lo
	s_wait_dscnt 0x0
	s_delay_alu instid0(VALU_DEP_1)
	v_mul_f32_e32 v65, v62, v63
	s_cbranch_execz .LBB13_117
	s_branch .LBB13_118
.LBB13_116:
                                        ; implicit-def: $vgpr65
.LBB13_117:
	ds_load_b32 v65, v66
.LBB13_118:
	s_and_saveexec_b32 s5, s1
	s_cbranch_execz .LBB13_128
; %bb.119:
	v_dual_add_nc_u32 v62, -6, v0 :: v_dual_add_nc_u32 v63, -5, v0
	s_delay_alu instid0(VALU_DEP_1)
	v_cmp_lt_u32_e32 vcc_lo, 6, v62
	v_mov_b32_e32 v62, 5
	s_and_saveexec_b32 s1, vcc_lo
	s_cbranch_execz .LBB13_123
; %bb.120:
	v_and_b32_e32 v62, -8, v63
	s_mov_b32 s6, 0
	s_mov_b64 s[2:3], 12
	s_movk_i32 s7, 0x54
	s_delay_alu instid0(VALU_DEP_1)
	v_sub_nc_u32_e32 v64, 0, v62
.LBB13_121:                             ; =>This Inner Loop Header: Depth=1
	s_add_co_i32 m0, s2, -7
	v_movrels_b32_e32 v67, v18
	v_mov_b32_e32 v62, s7
	s_add_co_i32 m0, s2, -6
	s_add_co_i32 s7, s7, 32
	v_movrels_b32_e32 v76, v18
	ds_load_2addr_b32 v[68:69], v62 offset1:1
	ds_load_2addr_b32 v[70:71], v62 offset0:2 offset1:3
	s_add_co_i32 m0, s2, -5
	s_wait_dscnt 0x1
	v_fmac_f32_e32 v65, v67, v68
	ds_load_2addr_b32 v[72:73], v62 offset0:4 offset1:5
	ds_load_2addr_b32 v[74:75], v62 offset0:6 offset1:7
	v_movrels_b32_e32 v62, v18
	s_add_co_i32 m0, s2, -4
	v_fmac_f32_e32 v65, v76, v69
	v_movrels_b32_e32 v67, v18
	s_add_co_i32 m0, s2, -3
	s_wait_dscnt 0x2
	s_delay_alu instid0(VALU_DEP_2) | instskip(SKIP_2) | instid1(VALU_DEP_2)
	v_fmac_f32_e32 v65, v62, v70
	v_movrels_b32_e32 v62, v18
	s_add_co_i32 m0, s2, -2
	v_fmac_f32_e32 v65, v67, v71
	v_movrels_b32_e32 v67, v18
	s_add_co_i32 m0, s2, -1
	s_wait_dscnt 0x1
	s_delay_alu instid0(VALU_DEP_2)
	v_fmac_f32_e32 v65, v62, v72
	v_movrels_b32_e32 v62, v18
	s_mov_b32 m0, s2
	s_add_nc_u64 s[2:3], s[2:3], 8
	v_movrels_b32_e32 v68, v18
	v_dual_fmac_f32 v65, v67, v73 :: v_dual_add_nc_u32 v67, s2, v64
	s_add_co_i32 s8, s2, -7
	s_wait_dscnt 0x0
	s_delay_alu instid0(VALU_DEP_1) | instskip(NEXT) | instid1(VALU_DEP_2)
	v_fmac_f32_e32 v65, v62, v74
	v_cmp_eq_u32_e32 vcc_lo, 12, v67
	s_delay_alu instid0(VALU_DEP_2) | instskip(SKIP_1) | instid1(SALU_CYCLE_1)
	v_dual_mov_b32 v62, s8 :: v_dual_fmac_f32 v65, v68, v75
	s_or_b32 s6, vcc_lo, s6
	s_and_not1_b32 exec_lo, exec_lo, s6
	s_cbranch_execnz .LBB13_121
; %bb.122:
	s_or_b32 exec_lo, exec_lo, s6
.LBB13_123:
	s_delay_alu instid0(SALU_CYCLE_1) | instskip(SKIP_3) | instid1(VALU_DEP_1)
	s_or_b32 exec_lo, exec_lo, s1
	v_and_b32_e32 v32, 7, v63
	s_mov_b32 s2, 0
	s_mov_b32 s1, exec_lo
	v_cmpx_ne_u32_e32 0, v32
	s_cbranch_execz .LBB13_127
; %bb.124:
	v_lshl_add_u32 v33, v62, 2, 64
	v_mov_b32_e32 v63, 0
.LBB13_125:                             ; =>This Inner Loop Header: Depth=1
	v_cmp_eq_u32_e32 vcc_lo, 1, v62
	ds_load_b32 v67, v33
	v_dual_add_nc_u32 v32, -1, v32 :: v_dual_add_nc_u32 v33, 4, v33
	v_cndmask_b32_e32 v64, v18, v19, vcc_lo
	v_cmp_eq_u32_e32 vcc_lo, 2, v62
	s_delay_alu instid0(VALU_DEP_2) | instskip(SKIP_1) | instid1(VALU_DEP_2)
	v_cndmask_b32_e32 v64, v64, v20, vcc_lo
	v_cmp_eq_u32_e32 vcc_lo, 3, v62
	v_cndmask_b32_e32 v64, v64, v21, vcc_lo
	v_cmp_eq_u32_e32 vcc_lo, 4, v62
	s_delay_alu instid0(VALU_DEP_2) | instskip(SKIP_1) | instid1(VALU_DEP_2)
	v_cndmask_b32_e32 v64, v64, v22, vcc_lo
	v_cmp_eq_u32_e32 vcc_lo, 5, v62
	;; [unrolled: 5-line block ×5, first 2 shown]
	v_cndmask_b32_e32 v64, v64, v29, vcc_lo
	v_cmp_eq_u32_e32 vcc_lo, 12, v62
	s_delay_alu instid0(VALU_DEP_2) | instskip(SKIP_2) | instid1(VALU_DEP_3)
	v_cndmask_b32_e32 v64, v64, v30, vcc_lo
	v_cmp_eq_u32_e32 vcc_lo, 13, v62
	v_add_nc_u64_e32 v[62:63], 1, v[62:63]
	v_cndmask_b32_e32 v64, v64, v31, vcc_lo
	v_cmp_eq_u32_e32 vcc_lo, 0, v32
	s_wait_dscnt 0x0
	s_delay_alu instid0(VALU_DEP_2) | instskip(SKIP_1) | instid1(SALU_CYCLE_1)
	v_fmac_f32_e32 v65, v64, v67
	s_or_b32 s2, vcc_lo, s2
	s_and_not1_b32 exec_lo, exec_lo, s2
	s_cbranch_execnz .LBB13_125
; %bb.126:
	s_or_b32 exec_lo, exec_lo, s2
.LBB13_127:
	s_delay_alu instid0(SALU_CYCLE_1)
	s_or_b32 exec_lo, exec_lo, s1
.LBB13_128:
	s_delay_alu instid0(SALU_CYCLE_1)
	s_or_b32 exec_lo, exec_lo, s5
	v_mov_b32_e32 v22, 0
	ds_load_b32 v22, v22 offset:16
	s_wait_dscnt 0x0
	v_mul_f32_e32 v22, v65, v22
.LBB13_129:
	s_or_b32 exec_lo, exec_lo, s4
	v_cmp_lt_u32_e64 s1, 3, v0
	ds_store_b32 v66, v21
	s_wait_dscnt 0x0
	s_barrier_signal -1
	s_barrier_wait -1
	s_and_saveexec_b32 s4, s1
	s_cbranch_execz .LBB13_145
; %bb.130:
	s_and_not1_b32 vcc_lo, exec_lo, s18
	s_cbranch_vccnz .LBB13_132
; %bb.131:
	v_cmp_eq_u32_e32 vcc_lo, 1, v0
	ds_load_b32 v63, v66
	v_cndmask_b32_e32 v62, v18, v19, vcc_lo
	v_cmp_eq_u32_e32 vcc_lo, 2, v0
	s_delay_alu instid0(VALU_DEP_2) | instskip(SKIP_1) | instid1(VALU_DEP_2)
	v_cndmask_b32_e32 v62, v62, v20, vcc_lo
	v_cmp_eq_u32_e32 vcc_lo, 3, v0
	v_cndmask_b32_e32 v62, v62, v21, vcc_lo
	v_cmp_eq_u32_e32 vcc_lo, 4, v0
	s_delay_alu instid0(VALU_DEP_2) | instskip(SKIP_1) | instid1(VALU_DEP_2)
	v_cndmask_b32_e32 v62, v62, v22, vcc_lo
	v_cmp_eq_u32_e32 vcc_lo, 5, v0
	;; [unrolled: 5-line block ×6, first 2 shown]
	v_cndmask_b32_e32 v62, v62, v31, vcc_lo
	s_wait_dscnt 0x0
	s_delay_alu instid0(VALU_DEP_1)
	v_mul_f32_e32 v65, v62, v63
	s_cbranch_execz .LBB13_133
	s_branch .LBB13_134
.LBB13_132:
                                        ; implicit-def: $vgpr65
.LBB13_133:
	ds_load_b32 v65, v66
.LBB13_134:
	s_and_saveexec_b32 s5, s0
	s_cbranch_execz .LBB13_144
; %bb.135:
	v_dual_add_nc_u32 v62, -5, v0 :: v_dual_add_nc_u32 v63, -4, v0
	s_delay_alu instid0(VALU_DEP_1)
	v_cmp_lt_u32_e32 vcc_lo, 6, v62
	v_mov_b32_e32 v62, 4
	s_and_saveexec_b32 s0, vcc_lo
	s_cbranch_execz .LBB13_139
; %bb.136:
	v_and_b32_e32 v62, -8, v63
	s_mov_b32 s6, 0
	s_mov_b64 s[2:3], 5
	s_movk_i32 s7, 0x50
	s_delay_alu instid0(VALU_DEP_1)
	v_sub_nc_u32_e32 v64, 0, v62
.LBB13_137:                             ; =>This Inner Loop Header: Depth=1
	s_add_co_i32 m0, s2, -1
	v_movrels_b32_e32 v67, v18
	v_mov_b32_e32 v62, s7
	s_mov_b32 m0, s2
	s_add_co_i32 s7, s7, 32
	v_movrels_b32_e32 v76, v18
	s_add_co_i32 m0, s2, 1
	ds_load_b128 v[68:71], v62
	ds_load_b128 v[72:75], v62 offset:16
	v_movrels_b32_e32 v62, v18
	s_add_co_i32 m0, s2, 2
	s_wait_dscnt 0x1
	v_fmac_f32_e32 v65, v67, v68
	v_movrels_b32_e32 v67, v18
	s_add_co_i32 m0, s2, 3
	s_delay_alu instid0(VALU_DEP_2) | instskip(NEXT) | instid1(VALU_DEP_1)
	v_fmac_f32_e32 v65, v76, v69
	v_fmac_f32_e32 v65, v62, v70
	v_movrels_b32_e32 v62, v18
	s_add_co_i32 m0, s2, 4
	s_delay_alu instid0(VALU_DEP_2) | instskip(SKIP_3) | instid1(VALU_DEP_2)
	v_fmac_f32_e32 v65, v67, v71
	v_movrels_b32_e32 v67, v18
	s_add_co_i32 m0, s2, 5
	s_wait_dscnt 0x0
	v_fmac_f32_e32 v65, v62, v72
	v_movrels_b32_e32 v62, v18
	s_add_co_i32 m0, s2, 6
	s_add_nc_u64 s[2:3], s[2:3], 8
	v_movrels_b32_e32 v68, v18
	v_dual_fmac_f32 v65, v67, v73 :: v_dual_add_nc_u32 v67, s2, v64
	s_add_co_i32 s8, s2, -1
	s_delay_alu instid0(VALU_DEP_1) | instskip(NEXT) | instid1(VALU_DEP_2)
	v_fmac_f32_e32 v65, v62, v74
	v_cmp_eq_u32_e32 vcc_lo, 5, v67
	s_delay_alu instid0(VALU_DEP_2) | instskip(SKIP_1) | instid1(SALU_CYCLE_1)
	v_dual_mov_b32 v62, s8 :: v_dual_fmac_f32 v65, v68, v75
	s_or_b32 s6, vcc_lo, s6
	s_and_not1_b32 exec_lo, exec_lo, s6
	s_cbranch_execnz .LBB13_137
; %bb.138:
	s_or_b32 exec_lo, exec_lo, s6
.LBB13_139:
	s_delay_alu instid0(SALU_CYCLE_1) | instskip(SKIP_3) | instid1(VALU_DEP_1)
	s_or_b32 exec_lo, exec_lo, s0
	v_and_b32_e32 v32, 7, v63
	s_mov_b32 s2, 0
	s_mov_b32 s0, exec_lo
	v_cmpx_ne_u32_e32 0, v32
	s_cbranch_execz .LBB13_143
; %bb.140:
	v_lshl_add_u32 v33, v62, 2, 64
	v_mov_b32_e32 v63, 0
.LBB13_141:                             ; =>This Inner Loop Header: Depth=1
	v_cmp_eq_u32_e32 vcc_lo, 1, v62
	ds_load_b32 v67, v33
	v_dual_add_nc_u32 v32, -1, v32 :: v_dual_add_nc_u32 v33, 4, v33
	v_cndmask_b32_e32 v64, v18, v19, vcc_lo
	v_cmp_eq_u32_e32 vcc_lo, 2, v62
	s_delay_alu instid0(VALU_DEP_2) | instskip(SKIP_1) | instid1(VALU_DEP_2)
	v_cndmask_b32_e32 v64, v64, v20, vcc_lo
	v_cmp_eq_u32_e32 vcc_lo, 3, v62
	v_cndmask_b32_e32 v64, v64, v21, vcc_lo
	v_cmp_eq_u32_e32 vcc_lo, 4, v62
	s_delay_alu instid0(VALU_DEP_2) | instskip(SKIP_1) | instid1(VALU_DEP_2)
	v_cndmask_b32_e32 v64, v64, v22, vcc_lo
	v_cmp_eq_u32_e32 vcc_lo, 5, v62
	;; [unrolled: 5-line block ×5, first 2 shown]
	v_cndmask_b32_e32 v64, v64, v29, vcc_lo
	v_cmp_eq_u32_e32 vcc_lo, 12, v62
	s_delay_alu instid0(VALU_DEP_2) | instskip(SKIP_2) | instid1(VALU_DEP_3)
	v_cndmask_b32_e32 v64, v64, v30, vcc_lo
	v_cmp_eq_u32_e32 vcc_lo, 13, v62
	v_add_nc_u64_e32 v[62:63], 1, v[62:63]
	v_cndmask_b32_e32 v64, v64, v31, vcc_lo
	v_cmp_eq_u32_e32 vcc_lo, 0, v32
	s_wait_dscnt 0x0
	s_delay_alu instid0(VALU_DEP_2) | instskip(SKIP_1) | instid1(SALU_CYCLE_1)
	v_fmac_f32_e32 v65, v64, v67
	s_or_b32 s2, vcc_lo, s2
	s_and_not1_b32 exec_lo, exec_lo, s2
	s_cbranch_execnz .LBB13_141
; %bb.142:
	s_or_b32 exec_lo, exec_lo, s2
.LBB13_143:
	s_delay_alu instid0(SALU_CYCLE_1)
	s_or_b32 exec_lo, exec_lo, s0
.LBB13_144:
	s_delay_alu instid0(SALU_CYCLE_1)
	s_or_b32 exec_lo, exec_lo, s5
	v_mov_b32_e32 v21, 0
	ds_load_b32 v21, v21 offset:12
	s_wait_dscnt 0x0
	v_mul_f32_e32 v21, v65, v21
.LBB13_145:
	s_or_b32 exec_lo, exec_lo, s4
	v_cmp_lt_u32_e64 s0, 2, v0
	ds_store_b32 v66, v20
	s_wait_dscnt 0x0
	s_barrier_signal -1
	s_barrier_wait -1
	s_and_saveexec_b32 s4, s0
	s_cbranch_execz .LBB13_161
; %bb.146:
	s_and_not1_b32 vcc_lo, exec_lo, s18
	s_cbranch_vccnz .LBB13_148
; %bb.147:
	v_cmp_eq_u32_e32 vcc_lo, 1, v0
	ds_load_b32 v63, v66
	v_cndmask_b32_e32 v62, v18, v19, vcc_lo
	v_cmp_eq_u32_e32 vcc_lo, 2, v0
	s_delay_alu instid0(VALU_DEP_2) | instskip(SKIP_1) | instid1(VALU_DEP_2)
	v_cndmask_b32_e32 v62, v62, v20, vcc_lo
	v_cmp_eq_u32_e32 vcc_lo, 3, v0
	v_cndmask_b32_e32 v62, v62, v21, vcc_lo
	v_cmp_eq_u32_e32 vcc_lo, 4, v0
	s_delay_alu instid0(VALU_DEP_2) | instskip(SKIP_1) | instid1(VALU_DEP_2)
	v_cndmask_b32_e32 v62, v62, v22, vcc_lo
	v_cmp_eq_u32_e32 vcc_lo, 5, v0
	;; [unrolled: 5-line block ×6, first 2 shown]
	v_cndmask_b32_e32 v62, v62, v31, vcc_lo
	s_wait_dscnt 0x0
	s_delay_alu instid0(VALU_DEP_1)
	v_mul_f32_e32 v65, v62, v63
	s_cbranch_execz .LBB13_149
	s_branch .LBB13_150
.LBB13_148:
                                        ; implicit-def: $vgpr65
.LBB13_149:
	ds_load_b32 v65, v66
.LBB13_150:
	s_and_saveexec_b32 s5, s1
	s_cbranch_execz .LBB13_160
; %bb.151:
	v_dual_add_nc_u32 v62, -4, v0 :: v_dual_add_nc_u32 v63, -3, v0
	s_delay_alu instid0(VALU_DEP_1)
	v_cmp_lt_u32_e32 vcc_lo, 6, v62
	v_mov_b32_e32 v62, 3
	s_and_saveexec_b32 s1, vcc_lo
	s_cbranch_execz .LBB13_155
; %bb.152:
	v_and_b32_e32 v62, -8, v63
	s_mov_b32 s6, 0
	s_mov_b64 s[2:3], 10
	s_movk_i32 s7, 0x4c
	s_delay_alu instid0(VALU_DEP_1)
	v_sub_nc_u32_e32 v64, 0, v62
.LBB13_153:                             ; =>This Inner Loop Header: Depth=1
	s_add_co_i32 m0, s2, -7
	v_movrels_b32_e32 v67, v18
	v_mov_b32_e32 v62, s7
	s_add_co_i32 m0, s2, -6
	s_add_co_i32 s7, s7, 32
	v_movrels_b32_e32 v76, v18
	ds_load_2addr_b32 v[68:69], v62 offset1:1
	ds_load_2addr_b32 v[70:71], v62 offset0:2 offset1:3
	s_add_co_i32 m0, s2, -5
	s_wait_dscnt 0x1
	v_fmac_f32_e32 v65, v67, v68
	ds_load_2addr_b32 v[72:73], v62 offset0:4 offset1:5
	ds_load_2addr_b32 v[74:75], v62 offset0:6 offset1:7
	v_movrels_b32_e32 v62, v18
	s_add_co_i32 m0, s2, -4
	v_fmac_f32_e32 v65, v76, v69
	v_movrels_b32_e32 v67, v18
	s_add_co_i32 m0, s2, -3
	s_wait_dscnt 0x2
	s_delay_alu instid0(VALU_DEP_2) | instskip(SKIP_2) | instid1(VALU_DEP_2)
	v_fmac_f32_e32 v65, v62, v70
	v_movrels_b32_e32 v62, v18
	s_add_co_i32 m0, s2, -2
	v_fmac_f32_e32 v65, v67, v71
	v_movrels_b32_e32 v67, v18
	s_add_co_i32 m0, s2, -1
	s_wait_dscnt 0x1
	s_delay_alu instid0(VALU_DEP_2)
	v_fmac_f32_e32 v65, v62, v72
	v_movrels_b32_e32 v62, v18
	s_mov_b32 m0, s2
	s_add_nc_u64 s[2:3], s[2:3], 8
	v_movrels_b32_e32 v68, v18
	v_dual_fmac_f32 v65, v67, v73 :: v_dual_add_nc_u32 v67, s2, v64
	s_add_co_i32 s8, s2, -7
	s_wait_dscnt 0x0
	s_delay_alu instid0(VALU_DEP_1) | instskip(NEXT) | instid1(VALU_DEP_2)
	v_fmac_f32_e32 v65, v62, v74
	v_cmp_eq_u32_e32 vcc_lo, 10, v67
	s_delay_alu instid0(VALU_DEP_2) | instskip(SKIP_1) | instid1(SALU_CYCLE_1)
	v_dual_mov_b32 v62, s8 :: v_dual_fmac_f32 v65, v68, v75
	s_or_b32 s6, vcc_lo, s6
	s_and_not1_b32 exec_lo, exec_lo, s6
	s_cbranch_execnz .LBB13_153
; %bb.154:
	s_or_b32 exec_lo, exec_lo, s6
.LBB13_155:
	s_delay_alu instid0(SALU_CYCLE_1) | instskip(SKIP_3) | instid1(VALU_DEP_1)
	s_or_b32 exec_lo, exec_lo, s1
	v_and_b32_e32 v32, 7, v63
	s_mov_b32 s2, 0
	s_mov_b32 s1, exec_lo
	v_cmpx_ne_u32_e32 0, v32
	s_cbranch_execz .LBB13_159
; %bb.156:
	v_lshl_add_u32 v33, v62, 2, 64
	v_mov_b32_e32 v63, 0
.LBB13_157:                             ; =>This Inner Loop Header: Depth=1
	v_cmp_eq_u32_e32 vcc_lo, 1, v62
	ds_load_b32 v67, v33
	v_dual_add_nc_u32 v32, -1, v32 :: v_dual_add_nc_u32 v33, 4, v33
	v_cndmask_b32_e32 v64, v18, v19, vcc_lo
	v_cmp_eq_u32_e32 vcc_lo, 2, v62
	s_delay_alu instid0(VALU_DEP_2) | instskip(SKIP_1) | instid1(VALU_DEP_2)
	v_cndmask_b32_e32 v64, v64, v20, vcc_lo
	v_cmp_eq_u32_e32 vcc_lo, 3, v62
	v_cndmask_b32_e32 v64, v64, v21, vcc_lo
	v_cmp_eq_u32_e32 vcc_lo, 4, v62
	s_delay_alu instid0(VALU_DEP_2) | instskip(SKIP_1) | instid1(VALU_DEP_2)
	v_cndmask_b32_e32 v64, v64, v22, vcc_lo
	v_cmp_eq_u32_e32 vcc_lo, 5, v62
	;; [unrolled: 5-line block ×5, first 2 shown]
	v_cndmask_b32_e32 v64, v64, v29, vcc_lo
	v_cmp_eq_u32_e32 vcc_lo, 12, v62
	s_delay_alu instid0(VALU_DEP_2) | instskip(SKIP_2) | instid1(VALU_DEP_3)
	v_cndmask_b32_e32 v64, v64, v30, vcc_lo
	v_cmp_eq_u32_e32 vcc_lo, 13, v62
	v_add_nc_u64_e32 v[62:63], 1, v[62:63]
	v_cndmask_b32_e32 v64, v64, v31, vcc_lo
	v_cmp_eq_u32_e32 vcc_lo, 0, v32
	s_wait_dscnt 0x0
	s_delay_alu instid0(VALU_DEP_2) | instskip(SKIP_1) | instid1(SALU_CYCLE_1)
	v_fmac_f32_e32 v65, v64, v67
	s_or_b32 s2, vcc_lo, s2
	s_and_not1_b32 exec_lo, exec_lo, s2
	s_cbranch_execnz .LBB13_157
; %bb.158:
	s_or_b32 exec_lo, exec_lo, s2
.LBB13_159:
	s_delay_alu instid0(SALU_CYCLE_1)
	s_or_b32 exec_lo, exec_lo, s1
.LBB13_160:
	s_delay_alu instid0(SALU_CYCLE_1)
	s_or_b32 exec_lo, exec_lo, s5
	v_mov_b32_e32 v20, 0
	ds_load_b32 v20, v20 offset:8
	s_wait_dscnt 0x0
	v_mul_f32_e32 v20, v65, v20
.LBB13_161:
	s_or_b32 exec_lo, exec_lo, s4
	v_cmp_lt_u32_e64 s1, 1, v0
	ds_store_b32 v66, v19
	s_wait_dscnt 0x0
	s_barrier_signal -1
	s_barrier_wait -1
	s_and_saveexec_b32 s4, s1
	s_cbranch_execz .LBB13_177
; %bb.162:
	s_and_not1_b32 vcc_lo, exec_lo, s18
	s_cbranch_vccnz .LBB13_164
; %bb.163:
	v_cmp_eq_u32_e32 vcc_lo, 1, v0
	ds_load_b32 v63, v66
	v_cndmask_b32_e32 v62, v18, v19, vcc_lo
	v_cmp_eq_u32_e32 vcc_lo, 2, v0
	s_delay_alu instid0(VALU_DEP_2) | instskip(SKIP_1) | instid1(VALU_DEP_2)
	v_cndmask_b32_e32 v62, v62, v20, vcc_lo
	v_cmp_eq_u32_e32 vcc_lo, 3, v0
	v_cndmask_b32_e32 v62, v62, v21, vcc_lo
	v_cmp_eq_u32_e32 vcc_lo, 4, v0
	s_delay_alu instid0(VALU_DEP_2) | instskip(SKIP_1) | instid1(VALU_DEP_2)
	v_cndmask_b32_e32 v62, v62, v22, vcc_lo
	v_cmp_eq_u32_e32 vcc_lo, 5, v0
	;; [unrolled: 5-line block ×6, first 2 shown]
	v_cndmask_b32_e32 v62, v62, v31, vcc_lo
	s_wait_dscnt 0x0
	s_delay_alu instid0(VALU_DEP_1)
	v_mul_f32_e32 v65, v62, v63
	s_cbranch_execz .LBB13_165
	s_branch .LBB13_166
.LBB13_164:
                                        ; implicit-def: $vgpr65
.LBB13_165:
	ds_load_b32 v65, v66
.LBB13_166:
	s_and_saveexec_b32 s5, s0
	s_cbranch_execz .LBB13_176
; %bb.167:
	v_dual_add_nc_u32 v62, -3, v0 :: v_dual_add_nc_u32 v63, -2, v0
	s_delay_alu instid0(VALU_DEP_1)
	v_cmp_lt_u32_e32 vcc_lo, 6, v62
	v_mov_b32_e32 v62, 2
	s_and_saveexec_b32 s0, vcc_lo
	s_cbranch_execz .LBB13_171
; %bb.168:
	v_and_b32_e32 v62, -8, v63
	s_mov_b32 s6, 0
	s_mov_b64 s[2:3], 9
	s_movk_i32 s7, 0x48
	s_delay_alu instid0(VALU_DEP_1)
	v_sub_nc_u32_e32 v64, 0, v62
.LBB13_169:                             ; =>This Inner Loop Header: Depth=1
	s_add_co_i32 m0, s2, -7
	v_movrels_b32_e32 v67, v18
	v_mov_b32_e32 v62, s7
	s_add_co_i32 m0, s2, -6
	s_add_co_i32 s7, s7, 32
	v_movrels_b32_e32 v76, v18
	s_add_co_i32 m0, s2, -5
	ds_load_2addr_b64 v[68:71], v62 offset1:1
	ds_load_2addr_b64 v[72:75], v62 offset0:2 offset1:3
	v_movrels_b32_e32 v62, v18
	s_add_co_i32 m0, s2, -4
	s_wait_dscnt 0x1
	v_fmac_f32_e32 v65, v67, v68
	v_movrels_b32_e32 v67, v18
	s_add_co_i32 m0, s2, -3
	s_delay_alu instid0(VALU_DEP_2) | instskip(NEXT) | instid1(VALU_DEP_1)
	v_fmac_f32_e32 v65, v76, v69
	v_fmac_f32_e32 v65, v62, v70
	v_movrels_b32_e32 v62, v18
	s_add_co_i32 m0, s2, -2
	s_delay_alu instid0(VALU_DEP_2) | instskip(SKIP_3) | instid1(VALU_DEP_2)
	v_fmac_f32_e32 v65, v67, v71
	v_movrels_b32_e32 v67, v18
	s_add_co_i32 m0, s2, -1
	s_wait_dscnt 0x0
	v_fmac_f32_e32 v65, v62, v72
	v_movrels_b32_e32 v62, v18
	s_mov_b32 m0, s2
	s_add_nc_u64 s[2:3], s[2:3], 8
	v_movrels_b32_e32 v68, v18
	v_dual_fmac_f32 v65, v67, v73 :: v_dual_add_nc_u32 v67, s2, v64
	s_add_co_i32 s8, s2, -7
	s_delay_alu instid0(VALU_DEP_1) | instskip(NEXT) | instid1(VALU_DEP_2)
	v_fmac_f32_e32 v65, v62, v74
	v_cmp_eq_u32_e32 vcc_lo, 9, v67
	s_delay_alu instid0(VALU_DEP_2) | instskip(SKIP_1) | instid1(SALU_CYCLE_1)
	v_dual_mov_b32 v62, s8 :: v_dual_fmac_f32 v65, v68, v75
	s_or_b32 s6, vcc_lo, s6
	s_and_not1_b32 exec_lo, exec_lo, s6
	s_cbranch_execnz .LBB13_169
; %bb.170:
	s_or_b32 exec_lo, exec_lo, s6
.LBB13_171:
	s_delay_alu instid0(SALU_CYCLE_1) | instskip(SKIP_3) | instid1(VALU_DEP_1)
	s_or_b32 exec_lo, exec_lo, s0
	v_and_b32_e32 v32, 7, v63
	s_mov_b32 s2, 0
	s_mov_b32 s0, exec_lo
	v_cmpx_ne_u32_e32 0, v32
	s_cbranch_execz .LBB13_175
; %bb.172:
	v_lshl_add_u32 v33, v62, 2, 64
	v_mov_b32_e32 v63, 0
.LBB13_173:                             ; =>This Inner Loop Header: Depth=1
	v_cmp_eq_u32_e32 vcc_lo, 1, v62
	ds_load_b32 v67, v33
	v_dual_add_nc_u32 v32, -1, v32 :: v_dual_add_nc_u32 v33, 4, v33
	v_cndmask_b32_e32 v64, v18, v19, vcc_lo
	v_cmp_eq_u32_e32 vcc_lo, 2, v62
	s_delay_alu instid0(VALU_DEP_2) | instskip(SKIP_1) | instid1(VALU_DEP_2)
	v_cndmask_b32_e32 v64, v64, v20, vcc_lo
	v_cmp_eq_u32_e32 vcc_lo, 3, v62
	v_cndmask_b32_e32 v64, v64, v21, vcc_lo
	v_cmp_eq_u32_e32 vcc_lo, 4, v62
	s_delay_alu instid0(VALU_DEP_2) | instskip(SKIP_1) | instid1(VALU_DEP_2)
	v_cndmask_b32_e32 v64, v64, v22, vcc_lo
	v_cmp_eq_u32_e32 vcc_lo, 5, v62
	;; [unrolled: 5-line block ×5, first 2 shown]
	v_cndmask_b32_e32 v64, v64, v29, vcc_lo
	v_cmp_eq_u32_e32 vcc_lo, 12, v62
	s_delay_alu instid0(VALU_DEP_2) | instskip(SKIP_2) | instid1(VALU_DEP_3)
	v_cndmask_b32_e32 v64, v64, v30, vcc_lo
	v_cmp_eq_u32_e32 vcc_lo, 13, v62
	v_add_nc_u64_e32 v[62:63], 1, v[62:63]
	v_cndmask_b32_e32 v64, v64, v31, vcc_lo
	v_cmp_eq_u32_e32 vcc_lo, 0, v32
	s_wait_dscnt 0x0
	s_delay_alu instid0(VALU_DEP_2) | instskip(SKIP_1) | instid1(SALU_CYCLE_1)
	v_fmac_f32_e32 v65, v64, v67
	s_or_b32 s2, vcc_lo, s2
	s_and_not1_b32 exec_lo, exec_lo, s2
	s_cbranch_execnz .LBB13_173
; %bb.174:
	s_or_b32 exec_lo, exec_lo, s2
.LBB13_175:
	s_delay_alu instid0(SALU_CYCLE_1)
	s_or_b32 exec_lo, exec_lo, s0
.LBB13_176:
	s_delay_alu instid0(SALU_CYCLE_1)
	s_or_b32 exec_lo, exec_lo, s5
	v_mov_b32_e32 v19, 0
	ds_load_b32 v19, v19 offset:4
	s_wait_dscnt 0x0
	v_mul_f32_e32 v19, v65, v19
.LBB13_177:
	s_or_b32 exec_lo, exec_lo, s4
	s_mov_b32 s2, 0
	s_mov_b32 s3, exec_lo
	ds_store_b32 v66, v18
	s_wait_dscnt 0x0
	s_barrier_signal -1
	s_barrier_wait -1
	v_cmpx_ne_u32_e32 0, v0
	s_cbranch_execz .LBB13_193
; %bb.178:
	s_and_not1_b32 vcc_lo, exec_lo, s18
	s_cbranch_vccnz .LBB13_180
; %bb.179:
	v_cmp_eq_u32_e32 vcc_lo, 1, v0
	ds_load_b32 v63, v66
	v_cndmask_b32_e32 v62, v18, v19, vcc_lo
	v_cmp_eq_u32_e32 vcc_lo, 2, v0
	s_delay_alu instid0(VALU_DEP_2) | instskip(SKIP_1) | instid1(VALU_DEP_2)
	v_cndmask_b32_e32 v62, v62, v20, vcc_lo
	v_cmp_eq_u32_e32 vcc_lo, 3, v0
	v_cndmask_b32_e32 v62, v62, v21, vcc_lo
	v_cmp_eq_u32_e32 vcc_lo, 4, v0
	s_delay_alu instid0(VALU_DEP_2) | instskip(SKIP_1) | instid1(VALU_DEP_2)
	v_cndmask_b32_e32 v62, v62, v22, vcc_lo
	v_cmp_eq_u32_e32 vcc_lo, 5, v0
	;; [unrolled: 5-line block ×6, first 2 shown]
	v_cndmask_b32_e32 v62, v62, v31, vcc_lo
	s_wait_dscnt 0x0
	s_delay_alu instid0(VALU_DEP_1)
	v_mul_f32_e32 v65, v62, v63
	s_cbranch_execz .LBB13_181
	s_branch .LBB13_182
.LBB13_180:
                                        ; implicit-def: $vgpr65
.LBB13_181:
	ds_load_b32 v65, v66
.LBB13_182:
	s_and_saveexec_b32 s4, s1
	s_cbranch_execz .LBB13_192
; %bb.183:
	v_dual_add_nc_u32 v62, -2, v0 :: v_dual_add_nc_u32 v63, -1, v0
	s_delay_alu instid0(VALU_DEP_1)
	v_cmp_lt_u32_e32 vcc_lo, 6, v62
	v_mov_b32_e32 v62, 1
	s_and_saveexec_b32 s5, vcc_lo
	s_cbranch_execz .LBB13_187
; %bb.184:
	v_and_b32_e32 v62, -8, v63
	s_mov_b32 s6, 0
	s_mov_b64 s[0:1], 8
	s_movk_i32 s7, 0x44
	s_delay_alu instid0(VALU_DEP_1)
	v_sub_nc_u32_e32 v64, 0, v62
.LBB13_185:                             ; =>This Inner Loop Header: Depth=1
	s_add_co_i32 m0, s0, -7
	v_movrels_b32_e32 v67, v18
	v_mov_b32_e32 v62, s7
	s_add_co_i32 m0, s0, -6
	s_add_co_i32 s7, s7, 32
	v_movrels_b32_e32 v76, v18
	ds_load_2addr_b32 v[68:69], v62 offset1:1
	ds_load_2addr_b32 v[70:71], v62 offset0:2 offset1:3
	s_add_co_i32 m0, s0, -5
	s_wait_dscnt 0x1
	v_fmac_f32_e32 v65, v67, v68
	ds_load_2addr_b32 v[72:73], v62 offset0:4 offset1:5
	ds_load_2addr_b32 v[74:75], v62 offset0:6 offset1:7
	v_movrels_b32_e32 v62, v18
	s_add_co_i32 m0, s0, -4
	v_fmac_f32_e32 v65, v76, v69
	v_movrels_b32_e32 v67, v18
	s_add_co_i32 m0, s0, -3
	s_wait_dscnt 0x2
	s_delay_alu instid0(VALU_DEP_2) | instskip(SKIP_2) | instid1(VALU_DEP_2)
	v_fmac_f32_e32 v65, v62, v70
	v_movrels_b32_e32 v62, v18
	s_add_co_i32 m0, s0, -2
	v_fmac_f32_e32 v65, v67, v71
	v_movrels_b32_e32 v67, v18
	s_add_co_i32 m0, s0, -1
	s_wait_dscnt 0x1
	s_delay_alu instid0(VALU_DEP_2)
	v_fmac_f32_e32 v65, v62, v72
	v_movrels_b32_e32 v62, v18
	s_mov_b32 m0, s0
	s_add_nc_u64 s[0:1], s[0:1], 8
	v_movrels_b32_e32 v68, v18
	v_dual_fmac_f32 v65, v67, v73 :: v_dual_add_nc_u32 v67, s0, v64
	s_add_co_i32 s8, s0, -7
	s_wait_dscnt 0x0
	s_delay_alu instid0(VALU_DEP_1) | instskip(NEXT) | instid1(VALU_DEP_2)
	v_fmac_f32_e32 v65, v62, v74
	v_cmp_eq_u32_e32 vcc_lo, 8, v67
	s_delay_alu instid0(VALU_DEP_2) | instskip(SKIP_1) | instid1(SALU_CYCLE_1)
	v_dual_mov_b32 v62, s8 :: v_dual_fmac_f32 v65, v68, v75
	s_or_b32 s6, vcc_lo, s6
	s_and_not1_b32 exec_lo, exec_lo, s6
	s_cbranch_execnz .LBB13_185
; %bb.186:
	s_or_b32 exec_lo, exec_lo, s6
.LBB13_187:
	s_delay_alu instid0(SALU_CYCLE_1) | instskip(SKIP_3) | instid1(VALU_DEP_1)
	s_or_b32 exec_lo, exec_lo, s5
	v_and_b32_e32 v32, 7, v63
	s_mov_b32 s1, 0
	s_mov_b32 s0, exec_lo
	v_cmpx_ne_u32_e32 0, v32
	s_cbranch_execz .LBB13_191
; %bb.188:
	v_lshl_add_u32 v33, v62, 2, 64
	v_mov_b32_e32 v63, 0
.LBB13_189:                             ; =>This Inner Loop Header: Depth=1
	v_cmp_eq_u32_e32 vcc_lo, 1, v62
	ds_load_b32 v67, v33
	v_dual_add_nc_u32 v32, -1, v32 :: v_dual_add_nc_u32 v33, 4, v33
	v_cndmask_b32_e32 v64, v18, v19, vcc_lo
	v_cmp_eq_u32_e32 vcc_lo, 2, v62
	s_delay_alu instid0(VALU_DEP_2) | instskip(SKIP_1) | instid1(VALU_DEP_2)
	v_cndmask_b32_e32 v64, v64, v20, vcc_lo
	v_cmp_eq_u32_e32 vcc_lo, 3, v62
	v_cndmask_b32_e32 v64, v64, v21, vcc_lo
	v_cmp_eq_u32_e32 vcc_lo, 4, v62
	s_delay_alu instid0(VALU_DEP_2) | instskip(SKIP_1) | instid1(VALU_DEP_2)
	v_cndmask_b32_e32 v64, v64, v22, vcc_lo
	v_cmp_eq_u32_e32 vcc_lo, 5, v62
	v_cndmask_b32_e32 v64, v64, v23, vcc_lo
	v_cmp_eq_u32_e32 vcc_lo, 6, v62
	s_delay_alu instid0(VALU_DEP_2) | instskip(SKIP_1) | instid1(VALU_DEP_2)
	v_cndmask_b32_e32 v64, v64, v24, vcc_lo
	v_cmp_eq_u32_e32 vcc_lo, 7, v62
	v_cndmask_b32_e32 v64, v64, v25, vcc_lo
	v_cmp_eq_u32_e32 vcc_lo, 8, v62
	s_delay_alu instid0(VALU_DEP_2) | instskip(SKIP_1) | instid1(VALU_DEP_2)
	v_cndmask_b32_e32 v64, v64, v26, vcc_lo
	v_cmp_eq_u32_e32 vcc_lo, 9, v62
	v_cndmask_b32_e32 v64, v64, v27, vcc_lo
	v_cmp_eq_u32_e32 vcc_lo, 10, v62
	s_delay_alu instid0(VALU_DEP_2) | instskip(SKIP_1) | instid1(VALU_DEP_2)
	v_cndmask_b32_e32 v64, v64, v28, vcc_lo
	v_cmp_eq_u32_e32 vcc_lo, 11, v62
	v_cndmask_b32_e32 v64, v64, v29, vcc_lo
	v_cmp_eq_u32_e32 vcc_lo, 12, v62
	s_delay_alu instid0(VALU_DEP_2) | instskip(SKIP_2) | instid1(VALU_DEP_3)
	v_cndmask_b32_e32 v64, v64, v30, vcc_lo
	v_cmp_eq_u32_e32 vcc_lo, 13, v62
	v_add_nc_u64_e32 v[62:63], 1, v[62:63]
	v_cndmask_b32_e32 v64, v64, v31, vcc_lo
	v_cmp_eq_u32_e32 vcc_lo, 0, v32
	s_wait_dscnt 0x0
	s_delay_alu instid0(VALU_DEP_2) | instskip(SKIP_1) | instid1(SALU_CYCLE_1)
	v_fmac_f32_e32 v65, v64, v67
	s_or_b32 s1, vcc_lo, s1
	s_and_not1_b32 exec_lo, exec_lo, s1
	s_cbranch_execnz .LBB13_189
; %bb.190:
	s_or_b32 exec_lo, exec_lo, s1
.LBB13_191:
	s_delay_alu instid0(SALU_CYCLE_1)
	s_or_b32 exec_lo, exec_lo, s0
.LBB13_192:
	s_delay_alu instid0(SALU_CYCLE_1)
	s_or_b32 exec_lo, exec_lo, s4
	v_mov_b32_e32 v18, 0
	ds_load_b32 v18, v18
	s_wait_dscnt 0x0
	v_mul_f32_e32 v18, v65, v18
.LBB13_193:
	s_or_b32 exec_lo, exec_lo, s3
	s_delay_alu instid0(SALU_CYCLE_1)
	s_and_b32 vcc_lo, exec_lo, s2
	s_cbranch_vccz .LBB13_327
.LBB13_194:
	v_cmp_eq_u32_e64 s0, 0, v0
	s_wait_loadcnt 0xd
	ds_store_b32 v66, v3
	s_wait_loadcnt_dscnt 0x0
	s_barrier_signal -1
	s_barrier_wait -1
	s_and_saveexec_b32 s1, s0
	s_cbranch_execz .LBB13_200
; %bb.195:
	s_and_b32 vcc_lo, exec_lo, s18
	s_cbranch_vccz .LBB13_197
; %bb.196:
	v_cmp_eq_u32_e32 vcc_lo, 1, v0
	ds_load_b32 v16, v66
	v_cndmask_b32_e32 v3, v2, v3, vcc_lo
	v_cmp_eq_u32_e32 vcc_lo, 2, v0
	s_delay_alu instid0(VALU_DEP_2) | instskip(SKIP_1) | instid1(VALU_DEP_2)
	v_cndmask_b32_e32 v3, v3, v4, vcc_lo
	v_cmp_eq_u32_e32 vcc_lo, 3, v0
	v_cndmask_b32_e32 v3, v3, v5, vcc_lo
	v_cmp_eq_u32_e32 vcc_lo, 4, v0
	s_delay_alu instid0(VALU_DEP_2) | instskip(SKIP_1) | instid1(VALU_DEP_2)
	v_cndmask_b32_e32 v3, v3, v6, vcc_lo
	v_cmp_eq_u32_e32 vcc_lo, 5, v0
	;; [unrolled: 5-line block ×6, first 2 shown]
	v_cndmask_b32_e32 v3, v3, v15, vcc_lo
	s_wait_dscnt 0x0
	s_delay_alu instid0(VALU_DEP_1)
	v_mul_f32_e32 v3, v3, v16
	s_cbranch_execz .LBB13_198
	s_branch .LBB13_199
.LBB13_197:
                                        ; implicit-def: $vgpr3
.LBB13_198:
	ds_load_b32 v3, v66
.LBB13_199:
	v_mov_b32_e32 v16, 0
	ds_load_b32 v16, v16 offset:4
	s_wait_dscnt 0x0
	v_mul_f32_e32 v3, v3, v16
.LBB13_200:
	s_or_b32 exec_lo, exec_lo, s1
	v_cndmask_b32_e64 v18, 0, 1, s18
	s_mov_b32 s1, exec_lo
	ds_store_b32 v66, v4
	s_wait_dscnt 0x0
	s_barrier_signal -1
	s_barrier_wait -1
	v_cmpx_gt_u32_e32 2, v0
	s_cbranch_execz .LBB13_206
; %bb.201:
	s_and_not1_b32 vcc_lo, exec_lo, s18
	s_cbranch_vccnz .LBB13_203
; %bb.202:
	v_cmp_eq_u32_e32 vcc_lo, 1, v0
	v_cndmask_b32_e32 v16, v2, v3, vcc_lo
	v_cmp_eq_u32_e32 vcc_lo, 2, v0
	s_delay_alu instid0(VALU_DEP_2) | instskip(SKIP_4) | instid1(VALU_DEP_2)
	v_cndmask_b32_e32 v4, v16, v4, vcc_lo
	v_cmp_eq_u32_e32 vcc_lo, 3, v0
	ds_load_b32 v16, v66
	v_cndmask_b32_e32 v4, v4, v5, vcc_lo
	v_cmp_eq_u32_e32 vcc_lo, 4, v0
	v_cndmask_b32_e32 v4, v4, v6, vcc_lo
	v_cmp_eq_u32_e32 vcc_lo, 5, v0
	s_delay_alu instid0(VALU_DEP_2) | instskip(SKIP_1) | instid1(VALU_DEP_2)
	v_cndmask_b32_e32 v4, v4, v7, vcc_lo
	v_cmp_eq_u32_e32 vcc_lo, 6, v0
	v_cndmask_b32_e32 v4, v4, v8, vcc_lo
	v_cmp_eq_u32_e32 vcc_lo, 7, v0
	s_delay_alu instid0(VALU_DEP_2) | instskip(SKIP_1) | instid1(VALU_DEP_2)
	;; [unrolled: 5-line block ×4, first 2 shown]
	v_cndmask_b32_e32 v4, v4, v13, vcc_lo
	v_cmp_eq_u32_e32 vcc_lo, 12, v0
	v_cndmask_b32_e32 v4, v4, v14, vcc_lo
	v_cmp_eq_u32_e32 vcc_lo, 13, v0
	s_delay_alu instid0(VALU_DEP_2) | instskip(SKIP_1) | instid1(VALU_DEP_1)
	v_cndmask_b32_e32 v4, v4, v15, vcc_lo
	s_wait_dscnt 0x0
	v_mul_f32_e32 v4, v4, v16
	s_cbranch_execz .LBB13_204
	s_branch .LBB13_205
.LBB13_203:
                                        ; implicit-def: $vgpr4
.LBB13_204:
	ds_load_b32 v4, v66
.LBB13_205:
	v_mov_b32_e32 v16, 0
	ds_load_2addr_b32 v[16:17], v16 offset0:2 offset1:17
	s_wait_dscnt 0x0
	v_fma_f32 v17, v3, v17, v4
	s_delay_alu instid0(VALU_DEP_1) | instskip(NEXT) | instid1(VALU_DEP_1)
	v_cndmask_b32_e64 v4, v4, v17, s0
	v_mul_f32_e32 v4, v4, v16
.LBB13_206:
	s_or_b32 exec_lo, exec_lo, s1
	v_add_nc_u32_e32 v19, 1, v0
	v_cmp_gt_u32_e64 s1, 3, v0
	ds_store_b32 v66, v5
	s_wait_dscnt 0x0
	s_barrier_signal -1
	s_barrier_wait -1
	s_and_saveexec_b32 s2, s1
	s_cbranch_execz .LBB13_214
; %bb.207:
	v_cmp_ne_u32_e32 vcc_lo, 1, v18
	s_cbranch_vccnz .LBB13_209
; %bb.208:
	v_cmp_eq_u32_e32 vcc_lo, 1, v0
	ds_load_b32 v17, v66
	v_cndmask_b32_e32 v16, v2, v3, vcc_lo
	v_cmp_eq_u32_e32 vcc_lo, 2, v0
	s_delay_alu instid0(VALU_DEP_2) | instskip(SKIP_1) | instid1(VALU_DEP_2)
	v_cndmask_b32_e32 v16, v16, v4, vcc_lo
	v_cmp_eq_u32_e32 vcc_lo, 3, v0
	v_cndmask_b32_e32 v16, v16, v5, vcc_lo
	v_cmp_eq_u32_e32 vcc_lo, 4, v0
	s_delay_alu instid0(VALU_DEP_2) | instskip(SKIP_1) | instid1(VALU_DEP_2)
	v_cndmask_b32_e32 v16, v16, v6, vcc_lo
	v_cmp_eq_u32_e32 vcc_lo, 5, v0
	;; [unrolled: 5-line block ×6, first 2 shown]
	v_cndmask_b32_e32 v16, v16, v15, vcc_lo
	s_wait_dscnt 0x0
	s_delay_alu instid0(VALU_DEP_1)
	v_mul_f32_e32 v16, v16, v17
	s_cbranch_execz .LBB13_210
	s_branch .LBB13_211
.LBB13_209:
                                        ; implicit-def: $vgpr16
.LBB13_210:
	ds_load_b32 v16, v66
.LBB13_211:
	s_mov_b32 s3, exec_lo
	v_cmpx_ne_u32_e32 2, v0
	s_cbranch_execz .LBB13_213
; %bb.212:
	v_cmp_eq_u32_e32 vcc_lo, 1, v19
	v_dual_mov_b32 v20, 0 :: v_dual_cndmask_b32 v17, v2, v3
	v_cmp_eq_u32_e32 vcc_lo, 2, v19
	ds_load_b32 v20, v20 offset:72
	v_cndmask_b32_e32 v17, v17, v4, vcc_lo
	v_cmp_eq_u32_e32 vcc_lo, 3, v19
	s_delay_alu instid0(VALU_DEP_2) | instskip(SKIP_4) | instid1(VALU_DEP_2)
	v_cndmask_b32_e32 v5, v17, v5, vcc_lo
	v_cmp_eq_u32_e32 vcc_lo, 4, v19
	ds_load_b32 v17, v66 offset:4
	v_cndmask_b32_e32 v5, v5, v6, vcc_lo
	v_cmp_eq_u32_e32 vcc_lo, 5, v19
	v_cndmask_b32_e32 v5, v5, v7, vcc_lo
	v_cmp_eq_u32_e32 vcc_lo, 6, v19
	s_delay_alu instid0(VALU_DEP_2) | instskip(SKIP_1) | instid1(VALU_DEP_2)
	v_cndmask_b32_e32 v5, v5, v8, vcc_lo
	v_cmp_eq_u32_e32 vcc_lo, 7, v19
	v_cndmask_b32_e32 v5, v5, v9, vcc_lo
	v_cmp_eq_u32_e32 vcc_lo, 8, v19
	s_delay_alu instid0(VALU_DEP_2) | instskip(SKIP_1) | instid1(VALU_DEP_2)
	;; [unrolled: 5-line block ×4, first 2 shown]
	v_cndmask_b32_e32 v5, v5, v14, vcc_lo
	v_cmp_eq_u32_e32 vcc_lo, 13, v19
	v_cndmask_b32_e32 v5, v5, v15, vcc_lo
	s_wait_dscnt 0x0
	s_delay_alu instid0(VALU_DEP_1) | instskip(NEXT) | instid1(VALU_DEP_1)
	v_fmac_f32_e32 v16, v5, v17
	v_fma_f32 v5, v4, v20, v16
	s_delay_alu instid0(VALU_DEP_1)
	v_cndmask_b32_e64 v16, v16, v5, s0
.LBB13_213:
	s_or_b32 exec_lo, exec_lo, s3
	v_mov_b32_e32 v5, 0
	ds_load_b32 v5, v5 offset:12
	s_wait_dscnt 0x0
	v_mul_f32_e32 v5, v16, v5
.LBB13_214:
	s_or_b32 exec_lo, exec_lo, s2
	s_delay_alu instid0(SALU_CYCLE_1)
	s_mov_b32 s2, exec_lo
	ds_store_b32 v66, v6
	s_wait_dscnt 0x0
	s_barrier_signal -1
	s_barrier_wait -1
	v_cmpx_gt_u32_e32 4, v0
	s_cbranch_execz .LBB13_224
; %bb.215:
	v_cmp_ne_u32_e32 vcc_lo, 1, v18
	s_cbranch_vccnz .LBB13_217
; %bb.216:
	v_cmp_eq_u32_e32 vcc_lo, 1, v0
	ds_load_b32 v17, v66
	v_cndmask_b32_e32 v16, v2, v3, vcc_lo
	v_cmp_eq_u32_e32 vcc_lo, 2, v0
	s_delay_alu instid0(VALU_DEP_2) | instskip(SKIP_1) | instid1(VALU_DEP_2)
	v_cndmask_b32_e32 v16, v16, v4, vcc_lo
	v_cmp_eq_u32_e32 vcc_lo, 3, v0
	v_cndmask_b32_e32 v16, v16, v5, vcc_lo
	v_cmp_eq_u32_e32 vcc_lo, 4, v0
	s_delay_alu instid0(VALU_DEP_2) | instskip(SKIP_1) | instid1(VALU_DEP_2)
	v_cndmask_b32_e32 v16, v16, v6, vcc_lo
	v_cmp_eq_u32_e32 vcc_lo, 5, v0
	;; [unrolled: 5-line block ×6, first 2 shown]
	v_cndmask_b32_e32 v16, v16, v15, vcc_lo
	s_wait_dscnt 0x0
	s_delay_alu instid0(VALU_DEP_1)
	v_mul_f32_e32 v20, v16, v17
	s_cbranch_execz .LBB13_218
	s_branch .LBB13_219
.LBB13_217:
                                        ; implicit-def: $vgpr20
.LBB13_218:
	ds_load_b32 v20, v66
.LBB13_219:
	s_mov_b32 s3, exec_lo
	v_cmpx_ne_u32_e32 3, v0
	s_cbranch_execz .LBB13_223
; %bb.220:
	v_mov_b64_e32 v[16:17], v[0:1]
	v_lshl_add_u32 v21, v0, 2, 0x44
	s_mov_b32 s4, 0
.LBB13_221:                             ; =>This Inner Loop Header: Depth=1
	s_delay_alu instid0(VALU_DEP_2)
	v_add_nc_u64_e32 v[16:17], 1, v[16:17]
	ds_load_b32 v23, v21
	v_add_nc_u32_e32 v21, 4, v21
	v_cmp_eq_u32_e32 vcc_lo, 1, v16
	v_cndmask_b32_e32 v22, v2, v3, vcc_lo
	v_cmp_eq_u32_e32 vcc_lo, 2, v16
	s_delay_alu instid0(VALU_DEP_2) | instskip(SKIP_1) | instid1(VALU_DEP_2)
	v_cndmask_b32_e32 v22, v22, v4, vcc_lo
	v_cmp_eq_u32_e32 vcc_lo, 3, v16
	v_cndmask_b32_e32 v22, v22, v5, vcc_lo
	v_cmp_eq_u32_e32 vcc_lo, 4, v16
	s_delay_alu instid0(VALU_DEP_2) | instskip(SKIP_1) | instid1(VALU_DEP_2)
	v_cndmask_b32_e32 v22, v22, v6, vcc_lo
	;; [unrolled: 5-line block ×6, first 2 shown]
	v_cmp_eq_u32_e32 vcc_lo, 13, v16
	v_cndmask_b32_e32 v22, v22, v15, vcc_lo
	v_cmp_lt_u32_e32 vcc_lo, 2, v16
	s_wait_dscnt 0x0
	s_delay_alu instid0(VALU_DEP_2) | instskip(SKIP_1) | instid1(SALU_CYCLE_1)
	v_fmac_f32_e32 v20, v22, v23
	s_or_b32 s4, vcc_lo, s4
	s_and_not1_b32 exec_lo, exec_lo, s4
	s_cbranch_execnz .LBB13_221
; %bb.222:
	s_or_b32 exec_lo, exec_lo, s4
.LBB13_223:
	s_delay_alu instid0(SALU_CYCLE_1)
	s_or_b32 exec_lo, exec_lo, s3
	v_mov_b32_e32 v6, 0
	ds_load_b32 v6, v6 offset:16
	s_wait_dscnt 0x0
	v_mul_f32_e32 v6, v20, v6
.LBB13_224:
	s_or_b32 exec_lo, exec_lo, s2
	v_cmp_gt_u32_e64 s2, 5, v0
	ds_store_b32 v66, v7
	s_wait_dscnt 0x0
	s_barrier_signal -1
	s_barrier_wait -1
	s_and_saveexec_b32 s3, s2
	s_cbranch_execz .LBB13_234
; %bb.225:
	v_cmp_ne_u32_e32 vcc_lo, 1, v18
	s_cbranch_vccnz .LBB13_227
; %bb.226:
	v_cmp_eq_u32_e32 vcc_lo, 1, v0
	ds_load_b32 v17, v66
	v_cndmask_b32_e32 v16, v2, v3, vcc_lo
	v_cmp_eq_u32_e32 vcc_lo, 2, v0
	s_delay_alu instid0(VALU_DEP_2) | instskip(SKIP_1) | instid1(VALU_DEP_2)
	v_cndmask_b32_e32 v16, v16, v4, vcc_lo
	v_cmp_eq_u32_e32 vcc_lo, 3, v0
	v_cndmask_b32_e32 v16, v16, v5, vcc_lo
	v_cmp_eq_u32_e32 vcc_lo, 4, v0
	s_delay_alu instid0(VALU_DEP_2) | instskip(SKIP_1) | instid1(VALU_DEP_2)
	v_cndmask_b32_e32 v16, v16, v6, vcc_lo
	v_cmp_eq_u32_e32 vcc_lo, 5, v0
	v_cndmask_b32_e32 v16, v16, v7, vcc_lo
	v_cmp_eq_u32_e32 vcc_lo, 6, v0
	s_delay_alu instid0(VALU_DEP_2) | instskip(SKIP_1) | instid1(VALU_DEP_2)
	v_cndmask_b32_e32 v16, v16, v8, vcc_lo
	v_cmp_eq_u32_e32 vcc_lo, 7, v0
	v_cndmask_b32_e32 v16, v16, v9, vcc_lo
	v_cmp_eq_u32_e32 vcc_lo, 8, v0
	s_delay_alu instid0(VALU_DEP_2) | instskip(SKIP_1) | instid1(VALU_DEP_2)
	v_cndmask_b32_e32 v16, v16, v10, vcc_lo
	v_cmp_eq_u32_e32 vcc_lo, 9, v0
	v_cndmask_b32_e32 v16, v16, v11, vcc_lo
	v_cmp_eq_u32_e32 vcc_lo, 10, v0
	s_delay_alu instid0(VALU_DEP_2) | instskip(SKIP_1) | instid1(VALU_DEP_2)
	v_cndmask_b32_e32 v16, v16, v12, vcc_lo
	v_cmp_eq_u32_e32 vcc_lo, 11, v0
	v_cndmask_b32_e32 v16, v16, v13, vcc_lo
	v_cmp_eq_u32_e32 vcc_lo, 12, v0
	s_delay_alu instid0(VALU_DEP_2) | instskip(SKIP_1) | instid1(VALU_DEP_2)
	v_cndmask_b32_e32 v16, v16, v14, vcc_lo
	v_cmp_eq_u32_e32 vcc_lo, 13, v0
	v_cndmask_b32_e32 v16, v16, v15, vcc_lo
	s_wait_dscnt 0x0
	s_delay_alu instid0(VALU_DEP_1)
	v_mul_f32_e32 v20, v16, v17
	s_cbranch_execz .LBB13_228
	s_branch .LBB13_229
.LBB13_227:
                                        ; implicit-def: $vgpr20
.LBB13_228:
	ds_load_b32 v20, v66
.LBB13_229:
	s_mov_b32 s4, exec_lo
	v_cmpx_ne_u32_e32 4, v0
	s_cbranch_execz .LBB13_233
; %bb.230:
	v_mov_b64_e32 v[16:17], v[0:1]
	v_lshl_add_u32 v21, v0, 2, 0x44
	s_mov_b32 s5, 0
.LBB13_231:                             ; =>This Inner Loop Header: Depth=1
	s_delay_alu instid0(VALU_DEP_2)
	v_add_nc_u64_e32 v[16:17], 1, v[16:17]
	ds_load_b32 v23, v21
	v_add_nc_u32_e32 v21, 4, v21
	v_cmp_eq_u32_e32 vcc_lo, 1, v16
	v_cndmask_b32_e32 v22, v2, v3, vcc_lo
	v_cmp_eq_u32_e32 vcc_lo, 2, v16
	s_delay_alu instid0(VALU_DEP_2) | instskip(SKIP_1) | instid1(VALU_DEP_2)
	v_cndmask_b32_e32 v22, v22, v4, vcc_lo
	v_cmp_eq_u32_e32 vcc_lo, 3, v16
	v_cndmask_b32_e32 v22, v22, v5, vcc_lo
	v_cmp_eq_u32_e32 vcc_lo, 4, v16
	s_delay_alu instid0(VALU_DEP_2) | instskip(SKIP_1) | instid1(VALU_DEP_2)
	v_cndmask_b32_e32 v22, v22, v6, vcc_lo
	v_cmp_eq_u32_e32 vcc_lo, 5, v16
	v_cndmask_b32_e32 v22, v22, v7, vcc_lo
	v_cmp_eq_u32_e32 vcc_lo, 6, v16
	s_delay_alu instid0(VALU_DEP_2) | instskip(SKIP_1) | instid1(VALU_DEP_2)
	v_cndmask_b32_e32 v22, v22, v8, vcc_lo
	v_cmp_eq_u32_e32 vcc_lo, 7, v16
	v_cndmask_b32_e32 v22, v22, v9, vcc_lo
	v_cmp_eq_u32_e32 vcc_lo, 8, v16
	s_delay_alu instid0(VALU_DEP_2) | instskip(SKIP_1) | instid1(VALU_DEP_2)
	v_cndmask_b32_e32 v22, v22, v10, vcc_lo
	v_cmp_eq_u32_e32 vcc_lo, 9, v16
	v_cndmask_b32_e32 v22, v22, v11, vcc_lo
	v_cmp_eq_u32_e32 vcc_lo, 10, v16
	s_delay_alu instid0(VALU_DEP_2) | instskip(SKIP_1) | instid1(VALU_DEP_2)
	v_cndmask_b32_e32 v22, v22, v12, vcc_lo
	v_cmp_eq_u32_e32 vcc_lo, 11, v16
	v_cndmask_b32_e32 v22, v22, v13, vcc_lo
	v_cmp_eq_u32_e32 vcc_lo, 12, v16
	s_delay_alu instid0(VALU_DEP_2) | instskip(SKIP_1) | instid1(VALU_DEP_2)
	v_cndmask_b32_e32 v22, v22, v14, vcc_lo
	v_cmp_eq_u32_e32 vcc_lo, 13, v16
	v_cndmask_b32_e32 v22, v22, v15, vcc_lo
	v_cmp_lt_u32_e32 vcc_lo, 3, v16
	s_wait_dscnt 0x0
	s_delay_alu instid0(VALU_DEP_2) | instskip(SKIP_1) | instid1(SALU_CYCLE_1)
	v_fmac_f32_e32 v20, v22, v23
	s_or_b32 s5, vcc_lo, s5
	s_and_not1_b32 exec_lo, exec_lo, s5
	s_cbranch_execnz .LBB13_231
; %bb.232:
	s_or_b32 exec_lo, exec_lo, s5
.LBB13_233:
	s_delay_alu instid0(SALU_CYCLE_1)
	s_or_b32 exec_lo, exec_lo, s4
	v_mov_b32_e32 v7, 0
	ds_load_b32 v7, v7 offset:20
	s_wait_dscnt 0x0
	v_mul_f32_e32 v7, v20, v7
.LBB13_234:
	s_or_b32 exec_lo, exec_lo, s3
	s_delay_alu instid0(SALU_CYCLE_1)
	s_mov_b32 s3, exec_lo
	ds_store_b32 v66, v8
	s_wait_dscnt 0x0
	s_barrier_signal -1
	s_barrier_wait -1
	v_cmpx_gt_u32_e32 6, v0
	s_cbranch_execz .LBB13_244
; %bb.235:
	v_cmp_ne_u32_e32 vcc_lo, 1, v18
	s_cbranch_vccnz .LBB13_237
; %bb.236:
	v_cmp_eq_u32_e32 vcc_lo, 1, v0
	ds_load_b32 v17, v66
	v_cndmask_b32_e32 v16, v2, v3, vcc_lo
	v_cmp_eq_u32_e32 vcc_lo, 2, v0
	s_delay_alu instid0(VALU_DEP_2) | instskip(SKIP_1) | instid1(VALU_DEP_2)
	v_cndmask_b32_e32 v16, v16, v4, vcc_lo
	v_cmp_eq_u32_e32 vcc_lo, 3, v0
	v_cndmask_b32_e32 v16, v16, v5, vcc_lo
	v_cmp_eq_u32_e32 vcc_lo, 4, v0
	s_delay_alu instid0(VALU_DEP_2) | instskip(SKIP_1) | instid1(VALU_DEP_2)
	v_cndmask_b32_e32 v16, v16, v6, vcc_lo
	v_cmp_eq_u32_e32 vcc_lo, 5, v0
	;; [unrolled: 5-line block ×6, first 2 shown]
	v_cndmask_b32_e32 v16, v16, v15, vcc_lo
	s_wait_dscnt 0x0
	s_delay_alu instid0(VALU_DEP_1)
	v_mul_f32_e32 v20, v16, v17
	s_cbranch_execz .LBB13_238
	s_branch .LBB13_239
.LBB13_237:
                                        ; implicit-def: $vgpr20
.LBB13_238:
	ds_load_b32 v20, v66
.LBB13_239:
	s_mov_b32 s4, exec_lo
	v_cmpx_ne_u32_e32 5, v0
	s_cbranch_execz .LBB13_243
; %bb.240:
	v_mov_b64_e32 v[16:17], v[0:1]
	v_lshl_add_u32 v21, v0, 2, 0x44
	s_mov_b32 s5, 0
.LBB13_241:                             ; =>This Inner Loop Header: Depth=1
	s_delay_alu instid0(VALU_DEP_2)
	v_add_nc_u64_e32 v[16:17], 1, v[16:17]
	ds_load_b32 v23, v21
	v_add_nc_u32_e32 v21, 4, v21
	v_cmp_eq_u32_e32 vcc_lo, 1, v16
	v_cndmask_b32_e32 v22, v2, v3, vcc_lo
	v_cmp_eq_u32_e32 vcc_lo, 2, v16
	s_delay_alu instid0(VALU_DEP_2) | instskip(SKIP_1) | instid1(VALU_DEP_2)
	v_cndmask_b32_e32 v22, v22, v4, vcc_lo
	v_cmp_eq_u32_e32 vcc_lo, 3, v16
	v_cndmask_b32_e32 v22, v22, v5, vcc_lo
	v_cmp_eq_u32_e32 vcc_lo, 4, v16
	s_delay_alu instid0(VALU_DEP_2) | instskip(SKIP_1) | instid1(VALU_DEP_2)
	v_cndmask_b32_e32 v22, v22, v6, vcc_lo
	;; [unrolled: 5-line block ×6, first 2 shown]
	v_cmp_eq_u32_e32 vcc_lo, 13, v16
	v_cndmask_b32_e32 v22, v22, v15, vcc_lo
	v_cmp_lt_u32_e32 vcc_lo, 4, v16
	s_wait_dscnt 0x0
	s_delay_alu instid0(VALU_DEP_2) | instskip(SKIP_1) | instid1(SALU_CYCLE_1)
	v_fmac_f32_e32 v20, v22, v23
	s_or_b32 s5, vcc_lo, s5
	s_and_not1_b32 exec_lo, exec_lo, s5
	s_cbranch_execnz .LBB13_241
; %bb.242:
	s_or_b32 exec_lo, exec_lo, s5
.LBB13_243:
	s_delay_alu instid0(SALU_CYCLE_1)
	s_or_b32 exec_lo, exec_lo, s4
	v_mov_b32_e32 v8, 0
	ds_load_b32 v8, v8 offset:24
	s_wait_dscnt 0x0
	v_mul_f32_e32 v8, v20, v8
.LBB13_244:
	s_or_b32 exec_lo, exec_lo, s3
	v_cmp_gt_u32_e64 s3, 7, v0
	ds_store_b32 v66, v9
	s_wait_dscnt 0x0
	s_barrier_signal -1
	s_barrier_wait -1
	s_and_saveexec_b32 s4, s3
	s_cbranch_execz .LBB13_254
; %bb.245:
	v_cmp_ne_u32_e32 vcc_lo, 1, v18
	s_cbranch_vccnz .LBB13_247
; %bb.246:
	v_cmp_eq_u32_e32 vcc_lo, 1, v0
	ds_load_b32 v17, v66
	v_cndmask_b32_e32 v16, v2, v3, vcc_lo
	v_cmp_eq_u32_e32 vcc_lo, 2, v0
	s_delay_alu instid0(VALU_DEP_2) | instskip(SKIP_1) | instid1(VALU_DEP_2)
	v_cndmask_b32_e32 v16, v16, v4, vcc_lo
	v_cmp_eq_u32_e32 vcc_lo, 3, v0
	v_cndmask_b32_e32 v16, v16, v5, vcc_lo
	v_cmp_eq_u32_e32 vcc_lo, 4, v0
	s_delay_alu instid0(VALU_DEP_2) | instskip(SKIP_1) | instid1(VALU_DEP_2)
	v_cndmask_b32_e32 v16, v16, v6, vcc_lo
	v_cmp_eq_u32_e32 vcc_lo, 5, v0
	;; [unrolled: 5-line block ×6, first 2 shown]
	v_cndmask_b32_e32 v16, v16, v15, vcc_lo
	s_wait_dscnt 0x0
	s_delay_alu instid0(VALU_DEP_1)
	v_mul_f32_e32 v20, v16, v17
	s_cbranch_execz .LBB13_248
	s_branch .LBB13_249
.LBB13_247:
                                        ; implicit-def: $vgpr20
.LBB13_248:
	ds_load_b32 v20, v66
.LBB13_249:
	s_mov_b32 s5, exec_lo
	v_cmpx_ne_u32_e32 6, v0
	s_cbranch_execz .LBB13_253
; %bb.250:
	v_mov_b64_e32 v[16:17], v[0:1]
	v_lshl_add_u32 v21, v0, 2, 0x44
	s_mov_b32 s6, 0
.LBB13_251:                             ; =>This Inner Loop Header: Depth=1
	s_delay_alu instid0(VALU_DEP_2)
	v_add_nc_u64_e32 v[16:17], 1, v[16:17]
	ds_load_b32 v23, v21
	v_add_nc_u32_e32 v21, 4, v21
	v_cmp_eq_u32_e32 vcc_lo, 1, v16
	v_cndmask_b32_e32 v22, v2, v3, vcc_lo
	v_cmp_eq_u32_e32 vcc_lo, 2, v16
	s_delay_alu instid0(VALU_DEP_2) | instskip(SKIP_1) | instid1(VALU_DEP_2)
	v_cndmask_b32_e32 v22, v22, v4, vcc_lo
	v_cmp_eq_u32_e32 vcc_lo, 3, v16
	v_cndmask_b32_e32 v22, v22, v5, vcc_lo
	v_cmp_eq_u32_e32 vcc_lo, 4, v16
	s_delay_alu instid0(VALU_DEP_2) | instskip(SKIP_1) | instid1(VALU_DEP_2)
	v_cndmask_b32_e32 v22, v22, v6, vcc_lo
	;; [unrolled: 5-line block ×6, first 2 shown]
	v_cmp_eq_u32_e32 vcc_lo, 13, v16
	v_cndmask_b32_e32 v22, v22, v15, vcc_lo
	v_cmp_lt_u32_e32 vcc_lo, 5, v16
	s_wait_dscnt 0x0
	s_delay_alu instid0(VALU_DEP_2) | instskip(SKIP_1) | instid1(SALU_CYCLE_1)
	v_fmac_f32_e32 v20, v22, v23
	s_or_b32 s6, vcc_lo, s6
	s_and_not1_b32 exec_lo, exec_lo, s6
	s_cbranch_execnz .LBB13_251
; %bb.252:
	s_or_b32 exec_lo, exec_lo, s6
.LBB13_253:
	s_delay_alu instid0(SALU_CYCLE_1)
	s_or_b32 exec_lo, exec_lo, s5
	v_mov_b32_e32 v9, 0
	ds_load_b32 v9, v9 offset:28
	s_wait_dscnt 0x0
	v_mul_f32_e32 v9, v20, v9
.LBB13_254:
	s_or_b32 exec_lo, exec_lo, s4
	s_delay_alu instid0(SALU_CYCLE_1)
	s_mov_b32 s4, exec_lo
	ds_store_b32 v66, v10
	s_wait_dscnt 0x0
	s_barrier_signal -1
	s_barrier_wait -1
	v_cmpx_gt_u32_e32 8, v0
	s_cbranch_execz .LBB13_264
; %bb.255:
	v_cmp_ne_u32_e32 vcc_lo, 1, v18
	s_cbranch_vccnz .LBB13_257
; %bb.256:
	v_cmp_eq_u32_e32 vcc_lo, 1, v0
	ds_load_b32 v17, v66
	v_cndmask_b32_e32 v16, v2, v3, vcc_lo
	v_cmp_eq_u32_e32 vcc_lo, 2, v0
	s_delay_alu instid0(VALU_DEP_2) | instskip(SKIP_1) | instid1(VALU_DEP_2)
	v_cndmask_b32_e32 v16, v16, v4, vcc_lo
	v_cmp_eq_u32_e32 vcc_lo, 3, v0
	v_cndmask_b32_e32 v16, v16, v5, vcc_lo
	v_cmp_eq_u32_e32 vcc_lo, 4, v0
	s_delay_alu instid0(VALU_DEP_2) | instskip(SKIP_1) | instid1(VALU_DEP_2)
	v_cndmask_b32_e32 v16, v16, v6, vcc_lo
	v_cmp_eq_u32_e32 vcc_lo, 5, v0
	;; [unrolled: 5-line block ×6, first 2 shown]
	v_cndmask_b32_e32 v16, v16, v15, vcc_lo
	s_wait_dscnt 0x0
	s_delay_alu instid0(VALU_DEP_1)
	v_mul_f32_e32 v20, v16, v17
	s_cbranch_execz .LBB13_258
	s_branch .LBB13_259
.LBB13_257:
                                        ; implicit-def: $vgpr20
.LBB13_258:
	ds_load_b32 v20, v66
.LBB13_259:
	s_mov_b32 s5, exec_lo
	v_cmpx_ne_u32_e32 7, v0
	s_cbranch_execz .LBB13_263
; %bb.260:
	v_mov_b64_e32 v[16:17], v[0:1]
	v_lshl_add_u32 v21, v0, 2, 0x44
	s_mov_b32 s6, 0
.LBB13_261:                             ; =>This Inner Loop Header: Depth=1
	s_delay_alu instid0(VALU_DEP_2)
	v_add_nc_u64_e32 v[16:17], 1, v[16:17]
	ds_load_b32 v23, v21
	v_add_nc_u32_e32 v21, 4, v21
	v_cmp_eq_u32_e32 vcc_lo, 1, v16
	v_cndmask_b32_e32 v22, v2, v3, vcc_lo
	v_cmp_eq_u32_e32 vcc_lo, 2, v16
	s_delay_alu instid0(VALU_DEP_2) | instskip(SKIP_1) | instid1(VALU_DEP_2)
	v_cndmask_b32_e32 v22, v22, v4, vcc_lo
	v_cmp_eq_u32_e32 vcc_lo, 3, v16
	v_cndmask_b32_e32 v22, v22, v5, vcc_lo
	v_cmp_eq_u32_e32 vcc_lo, 4, v16
	s_delay_alu instid0(VALU_DEP_2) | instskip(SKIP_1) | instid1(VALU_DEP_2)
	v_cndmask_b32_e32 v22, v22, v6, vcc_lo
	;; [unrolled: 5-line block ×6, first 2 shown]
	v_cmp_eq_u32_e32 vcc_lo, 13, v16
	v_cndmask_b32_e32 v22, v22, v15, vcc_lo
	v_cmp_lt_u32_e32 vcc_lo, 6, v16
	s_wait_dscnt 0x0
	s_delay_alu instid0(VALU_DEP_2) | instskip(SKIP_1) | instid1(SALU_CYCLE_1)
	v_fmac_f32_e32 v20, v22, v23
	s_or_b32 s6, vcc_lo, s6
	s_and_not1_b32 exec_lo, exec_lo, s6
	s_cbranch_execnz .LBB13_261
; %bb.262:
	s_or_b32 exec_lo, exec_lo, s6
.LBB13_263:
	s_delay_alu instid0(SALU_CYCLE_1)
	s_or_b32 exec_lo, exec_lo, s5
	v_mov_b32_e32 v10, 0
	ds_load_b32 v10, v10 offset:32
	s_wait_dscnt 0x0
	v_mul_f32_e32 v10, v20, v10
.LBB13_264:
	s_or_b32 exec_lo, exec_lo, s4
	s_delay_alu instid0(SALU_CYCLE_1)
	s_mov_b32 s4, exec_lo
	ds_store_b32 v66, v11
	s_wait_dscnt 0x0
	s_barrier_signal -1
	s_barrier_wait -1
	v_cmpx_gt_u32_e32 9, v0
	s_cbranch_execz .LBB13_286
; %bb.265:
	v_cmp_ne_u32_e32 vcc_lo, 1, v18
	s_cbranch_vccnz .LBB13_267
; %bb.266:
	v_cmp_eq_u32_e32 vcc_lo, 1, v0
	ds_load_b32 v17, v66
	v_cndmask_b32_e32 v16, v2, v3, vcc_lo
	v_cmp_eq_u32_e32 vcc_lo, 2, v0
	s_delay_alu instid0(VALU_DEP_2) | instskip(SKIP_1) | instid1(VALU_DEP_2)
	v_cndmask_b32_e32 v16, v16, v4, vcc_lo
	v_cmp_eq_u32_e32 vcc_lo, 3, v0
	v_cndmask_b32_e32 v16, v16, v5, vcc_lo
	v_cmp_eq_u32_e32 vcc_lo, 4, v0
	s_delay_alu instid0(VALU_DEP_2) | instskip(SKIP_1) | instid1(VALU_DEP_2)
	v_cndmask_b32_e32 v16, v16, v6, vcc_lo
	v_cmp_eq_u32_e32 vcc_lo, 5, v0
	;; [unrolled: 5-line block ×6, first 2 shown]
	v_cndmask_b32_e32 v16, v16, v15, vcc_lo
	s_wait_dscnt 0x0
	s_delay_alu instid0(VALU_DEP_1)
	v_mul_f32_e32 v16, v16, v17
	s_cbranch_execz .LBB13_268
	s_branch .LBB13_269
.LBB13_267:
                                        ; implicit-def: $vgpr16
.LBB13_268:
	ds_load_b32 v16, v66
.LBB13_269:
	s_mov_b32 s5, exec_lo
	v_cmpx_ne_u32_e32 8, v0
	s_cbranch_execz .LBB13_285
; %bb.270:
	v_cmp_eq_u32_e32 vcc_lo, 1, v19
	ds_load_b32 v20, v66 offset:4
	v_cndmask_b32_e32 v17, v2, v3, vcc_lo
	v_cmp_eq_u32_e32 vcc_lo, 2, v19
	s_delay_alu instid0(VALU_DEP_2) | instskip(SKIP_1) | instid1(VALU_DEP_2)
	v_cndmask_b32_e32 v17, v17, v4, vcc_lo
	v_cmp_eq_u32_e32 vcc_lo, 3, v19
	v_cndmask_b32_e32 v17, v17, v5, vcc_lo
	v_cmp_eq_u32_e32 vcc_lo, 4, v19
	s_delay_alu instid0(VALU_DEP_2) | instskip(SKIP_1) | instid1(VALU_DEP_2)
	v_cndmask_b32_e32 v17, v17, v6, vcc_lo
	v_cmp_eq_u32_e32 vcc_lo, 5, v19
	;; [unrolled: 5-line block ×6, first 2 shown]
	v_cndmask_b32_e32 v17, v17, v15, vcc_lo
	s_wait_dscnt 0x0
	s_delay_alu instid0(VALU_DEP_1)
	v_fmac_f32_e32 v16, v17, v20
	s_and_saveexec_b32 s6, s3
	s_cbranch_execz .LBB13_284
; %bb.271:
	v_add_nc_u32_e32 v17, 2, v0
	ds_load_b32 v20, v66 offset:8
	s_mov_b32 s3, exec_lo
	v_cmp_eq_u32_e32 vcc_lo, 1, v17
	v_cndmask_b32_e32 v19, v2, v3, vcc_lo
	v_cmp_eq_u32_e32 vcc_lo, 2, v17
	s_delay_alu instid0(VALU_DEP_2) | instskip(SKIP_1) | instid1(VALU_DEP_2)
	v_cndmask_b32_e32 v19, v19, v4, vcc_lo
	v_cmp_eq_u32_e32 vcc_lo, 3, v17
	v_cndmask_b32_e32 v19, v19, v5, vcc_lo
	v_cmp_eq_u32_e32 vcc_lo, 4, v17
	s_delay_alu instid0(VALU_DEP_2) | instskip(SKIP_1) | instid1(VALU_DEP_2)
	v_cndmask_b32_e32 v19, v19, v6, vcc_lo
	;; [unrolled: 5-line block ×6, first 2 shown]
	v_cmp_eq_u32_e32 vcc_lo, 13, v17
	v_cndmask_b32_e32 v17, v19, v15, vcc_lo
	s_wait_dscnt 0x0
	s_delay_alu instid0(VALU_DEP_1)
	v_fmac_f32_e32 v16, v17, v20
	v_cmpx_ne_u32_e32 6, v0
	s_cbranch_execz .LBB13_283
; %bb.272:
	v_add_nc_u32_e32 v17, 3, v0
	ds_load_b32 v20, v66 offset:12
	v_cmp_eq_u32_e32 vcc_lo, 1, v17
	v_cndmask_b32_e32 v19, v2, v3, vcc_lo
	v_cmp_eq_u32_e32 vcc_lo, 2, v17
	s_delay_alu instid0(VALU_DEP_2) | instskip(SKIP_1) | instid1(VALU_DEP_2)
	v_cndmask_b32_e32 v19, v19, v4, vcc_lo
	v_cmp_eq_u32_e32 vcc_lo, 3, v17
	v_cndmask_b32_e32 v19, v19, v5, vcc_lo
	v_cmp_eq_u32_e32 vcc_lo, 4, v17
	s_delay_alu instid0(VALU_DEP_2) | instskip(SKIP_1) | instid1(VALU_DEP_2)
	v_cndmask_b32_e32 v19, v19, v6, vcc_lo
	;; [unrolled: 5-line block ×6, first 2 shown]
	v_cmp_eq_u32_e32 vcc_lo, 13, v17
	v_cndmask_b32_e32 v17, v19, v15, vcc_lo
	s_wait_dscnt 0x0
	s_delay_alu instid0(VALU_DEP_1)
	v_fmac_f32_e32 v16, v17, v20
	s_and_saveexec_b32 s7, s2
	s_cbranch_execz .LBB13_282
; %bb.273:
	v_add_nc_u32_e32 v17, 4, v0
	ds_load_b32 v20, v66 offset:16
	s_mov_b32 s2, exec_lo
	v_cmp_eq_u32_e32 vcc_lo, 1, v17
	v_cndmask_b32_e32 v19, v2, v3, vcc_lo
	v_cmp_eq_u32_e32 vcc_lo, 2, v17
	s_delay_alu instid0(VALU_DEP_2) | instskip(SKIP_1) | instid1(VALU_DEP_2)
	v_cndmask_b32_e32 v19, v19, v4, vcc_lo
	v_cmp_eq_u32_e32 vcc_lo, 3, v17
	v_cndmask_b32_e32 v19, v19, v5, vcc_lo
	v_cmp_eq_u32_e32 vcc_lo, 4, v17
	s_delay_alu instid0(VALU_DEP_2) | instskip(SKIP_1) | instid1(VALU_DEP_2)
	v_cndmask_b32_e32 v19, v19, v6, vcc_lo
	;; [unrolled: 5-line block ×6, first 2 shown]
	v_cmp_eq_u32_e32 vcc_lo, 13, v17
	v_cndmask_b32_e32 v17, v19, v15, vcc_lo
	s_wait_dscnt 0x0
	s_delay_alu instid0(VALU_DEP_1)
	v_fmac_f32_e32 v16, v17, v20
	v_cmpx_ne_u32_e32 4, v0
	s_cbranch_execz .LBB13_281
; %bb.274:
	v_add_nc_u32_e32 v17, 5, v0
	ds_load_b32 v20, v66 offset:20
	v_cmp_eq_u32_e32 vcc_lo, 1, v17
	v_cndmask_b32_e32 v19, v2, v3, vcc_lo
	v_cmp_eq_u32_e32 vcc_lo, 2, v17
	s_delay_alu instid0(VALU_DEP_2) | instskip(SKIP_1) | instid1(VALU_DEP_2)
	v_cndmask_b32_e32 v19, v19, v4, vcc_lo
	v_cmp_eq_u32_e32 vcc_lo, 3, v17
	v_cndmask_b32_e32 v19, v19, v5, vcc_lo
	v_cmp_eq_u32_e32 vcc_lo, 4, v17
	s_delay_alu instid0(VALU_DEP_2) | instskip(SKIP_1) | instid1(VALU_DEP_2)
	v_cndmask_b32_e32 v19, v19, v6, vcc_lo
	;; [unrolled: 5-line block ×6, first 2 shown]
	v_cmp_eq_u32_e32 vcc_lo, 13, v17
	v_cndmask_b32_e32 v17, v19, v15, vcc_lo
	s_wait_dscnt 0x0
	s_delay_alu instid0(VALU_DEP_1)
	v_fmac_f32_e32 v16, v17, v20
	s_and_saveexec_b32 s8, s1
	s_cbranch_execz .LBB13_280
; %bb.275:
	v_add_nc_u32_e32 v17, 6, v0
	ds_load_b32 v20, v66 offset:24
	s_mov_b32 s1, exec_lo
	v_cmp_eq_u32_e32 vcc_lo, 1, v17
	v_cndmask_b32_e32 v19, v2, v3, vcc_lo
	v_cmp_eq_u32_e32 vcc_lo, 2, v17
	s_delay_alu instid0(VALU_DEP_2) | instskip(SKIP_1) | instid1(VALU_DEP_2)
	v_cndmask_b32_e32 v19, v19, v4, vcc_lo
	v_cmp_eq_u32_e32 vcc_lo, 3, v17
	v_cndmask_b32_e32 v19, v19, v5, vcc_lo
	v_cmp_eq_u32_e32 vcc_lo, 4, v17
	s_delay_alu instid0(VALU_DEP_2) | instskip(SKIP_1) | instid1(VALU_DEP_2)
	v_cndmask_b32_e32 v19, v19, v6, vcc_lo
	;; [unrolled: 5-line block ×6, first 2 shown]
	v_cmp_eq_u32_e32 vcc_lo, 13, v17
	v_cndmask_b32_e32 v17, v19, v15, vcc_lo
	s_wait_dscnt 0x0
	s_delay_alu instid0(VALU_DEP_1)
	v_fmac_f32_e32 v16, v17, v20
	v_cmpx_ne_u32_e32 2, v0
	s_cbranch_execz .LBB13_279
; %bb.276:
	v_add_nc_u32_e32 v17, 7, v0
	s_delay_alu instid0(VALU_DEP_1) | instskip(SKIP_2) | instid1(VALU_DEP_2)
	v_cmp_eq_u32_e32 vcc_lo, 1, v17
	v_cndmask_b32_e32 v19, v2, v3, vcc_lo
	v_cmp_eq_u32_e32 vcc_lo, 2, v17
	v_cndmask_b32_e32 v19, v19, v4, vcc_lo
	v_cmp_eq_u32_e32 vcc_lo, 3, v17
	s_delay_alu instid0(VALU_DEP_2) | instskip(SKIP_1) | instid1(VALU_DEP_2)
	v_cndmask_b32_e32 v19, v19, v5, vcc_lo
	v_cmp_eq_u32_e32 vcc_lo, 4, v17
	v_cndmask_b32_e32 v19, v19, v6, vcc_lo
	v_cmp_eq_u32_e32 vcc_lo, 5, v17
	s_delay_alu instid0(VALU_DEP_2) | instskip(SKIP_1) | instid1(VALU_DEP_2)
	;; [unrolled: 5-line block ×3, first 2 shown]
	v_cndmask_b32_e32 v19, v19, v9, vcc_lo
	v_cmp_eq_u32_e32 vcc_lo, 8, v17
	v_cndmask_b32_e32 v19, v19, v10, vcc_lo
	v_cmp_eq_u32_e32 vcc_lo, 9, v17
	s_delay_alu instid0(VALU_DEP_2) | instskip(SKIP_4) | instid1(VALU_DEP_2)
	v_cndmask_b32_e32 v11, v19, v11, vcc_lo
	v_cmp_eq_u32_e32 vcc_lo, 10, v17
	ds_load_b32 v19, v66 offset:28
	v_cndmask_b32_e32 v11, v11, v12, vcc_lo
	v_cmp_eq_u32_e32 vcc_lo, 11, v17
	v_cndmask_b32_e32 v11, v11, v13, vcc_lo
	v_cmp_eq_u32_e32 vcc_lo, 12, v17
	s_delay_alu instid0(VALU_DEP_2) | instskip(SKIP_1) | instid1(VALU_DEP_2)
	v_cndmask_b32_e32 v11, v11, v14, vcc_lo
	v_cmp_eq_u32_e32 vcc_lo, 13, v17
	v_cndmask_b32_e32 v11, v11, v15, vcc_lo
	s_wait_dscnt 0x0
	s_delay_alu instid0(VALU_DEP_1)
	v_fmac_f32_e32 v16, v11, v19
	s_and_saveexec_b32 s9, s0
	s_cbranch_execz .LBB13_278
; %bb.277:
	ds_load_b32 v11, v66 offset:32
	s_wait_dscnt 0x0
	v_fmac_f32_e32 v16, v10, v11
.LBB13_278:
	s_or_b32 exec_lo, exec_lo, s9
.LBB13_279:
	s_delay_alu instid0(SALU_CYCLE_1)
	s_or_b32 exec_lo, exec_lo, s1
.LBB13_280:
	s_delay_alu instid0(SALU_CYCLE_1)
	s_or_b32 exec_lo, exec_lo, s8
.LBB13_281:
	s_delay_alu instid0(SALU_CYCLE_1)
	s_or_b32 exec_lo, exec_lo, s2
.LBB13_282:
	s_delay_alu instid0(SALU_CYCLE_1)
	s_or_b32 exec_lo, exec_lo, s7
.LBB13_283:
	s_delay_alu instid0(SALU_CYCLE_1)
	s_or_b32 exec_lo, exec_lo, s3
.LBB13_284:
	s_delay_alu instid0(SALU_CYCLE_1)
	s_or_b32 exec_lo, exec_lo, s6
.LBB13_285:
	s_delay_alu instid0(SALU_CYCLE_1)
	s_or_b32 exec_lo, exec_lo, s5
	v_mov_b32_e32 v11, 0
	ds_load_b32 v11, v11 offset:36
	s_wait_dscnt 0x0
	v_mul_f32_e32 v11, v16, v11
.LBB13_286:
	s_or_b32 exec_lo, exec_lo, s4
	s_delay_alu instid0(SALU_CYCLE_1)
	s_mov_b32 s0, exec_lo
	ds_store_b32 v66, v12
	s_wait_dscnt 0x0
	s_barrier_signal -1
	s_barrier_wait -1
	v_cmpx_gt_u32_e32 10, v0
	s_cbranch_execz .LBB13_296
; %bb.287:
	v_cmp_ne_u32_e32 vcc_lo, 1, v18
	s_cbranch_vccnz .LBB13_289
; %bb.288:
	v_cmp_eq_u32_e32 vcc_lo, 1, v0
	ds_load_b32 v17, v66
	v_cndmask_b32_e32 v16, v2, v3, vcc_lo
	v_cmp_eq_u32_e32 vcc_lo, 2, v0
	s_delay_alu instid0(VALU_DEP_2) | instskip(SKIP_1) | instid1(VALU_DEP_2)
	v_cndmask_b32_e32 v16, v16, v4, vcc_lo
	v_cmp_eq_u32_e32 vcc_lo, 3, v0
	v_cndmask_b32_e32 v16, v16, v5, vcc_lo
	v_cmp_eq_u32_e32 vcc_lo, 4, v0
	s_delay_alu instid0(VALU_DEP_2) | instskip(SKIP_1) | instid1(VALU_DEP_2)
	v_cndmask_b32_e32 v16, v16, v6, vcc_lo
	v_cmp_eq_u32_e32 vcc_lo, 5, v0
	;; [unrolled: 5-line block ×6, first 2 shown]
	v_cndmask_b32_e32 v16, v16, v15, vcc_lo
	s_wait_dscnt 0x0
	s_delay_alu instid0(VALU_DEP_1)
	v_mul_f32_e32 v19, v16, v17
	s_cbranch_execz .LBB13_290
	s_branch .LBB13_291
.LBB13_289:
                                        ; implicit-def: $vgpr19
.LBB13_290:
	ds_load_b32 v19, v66
.LBB13_291:
	s_mov_b32 s1, exec_lo
	v_cmpx_ne_u32_e32 9, v0
	s_cbranch_execz .LBB13_295
; %bb.292:
	v_mov_b64_e32 v[16:17], v[0:1]
	v_lshl_add_u32 v20, v0, 2, 0x44
	s_mov_b32 s2, 0
.LBB13_293:                             ; =>This Inner Loop Header: Depth=1
	s_delay_alu instid0(VALU_DEP_2)
	v_add_nc_u64_e32 v[16:17], 1, v[16:17]
	ds_load_b32 v22, v20
	v_add_nc_u32_e32 v20, 4, v20
	v_cmp_eq_u32_e32 vcc_lo, 1, v16
	v_cndmask_b32_e32 v21, v2, v3, vcc_lo
	v_cmp_eq_u32_e32 vcc_lo, 2, v16
	s_delay_alu instid0(VALU_DEP_2) | instskip(SKIP_1) | instid1(VALU_DEP_2)
	v_cndmask_b32_e32 v21, v21, v4, vcc_lo
	v_cmp_eq_u32_e32 vcc_lo, 3, v16
	v_cndmask_b32_e32 v21, v21, v5, vcc_lo
	v_cmp_eq_u32_e32 vcc_lo, 4, v16
	s_delay_alu instid0(VALU_DEP_2) | instskip(SKIP_1) | instid1(VALU_DEP_2)
	v_cndmask_b32_e32 v21, v21, v6, vcc_lo
	;; [unrolled: 5-line block ×6, first 2 shown]
	v_cmp_eq_u32_e32 vcc_lo, 13, v16
	v_cndmask_b32_e32 v21, v21, v15, vcc_lo
	v_cmp_lt_u32_e32 vcc_lo, 8, v16
	s_wait_dscnt 0x0
	s_delay_alu instid0(VALU_DEP_2) | instskip(SKIP_1) | instid1(SALU_CYCLE_1)
	v_fmac_f32_e32 v19, v21, v22
	s_or_b32 s2, vcc_lo, s2
	s_and_not1_b32 exec_lo, exec_lo, s2
	s_cbranch_execnz .LBB13_293
; %bb.294:
	s_or_b32 exec_lo, exec_lo, s2
.LBB13_295:
	s_delay_alu instid0(SALU_CYCLE_1)
	s_or_b32 exec_lo, exec_lo, s1
	v_mov_b32_e32 v12, 0
	ds_load_b32 v12, v12 offset:40
	s_wait_dscnt 0x0
	v_mul_f32_e32 v12, v19, v12
.LBB13_296:
	s_or_b32 exec_lo, exec_lo, s0
	s_delay_alu instid0(SALU_CYCLE_1)
	s_mov_b32 s0, exec_lo
	ds_store_b32 v66, v13
	s_wait_dscnt 0x0
	s_barrier_signal -1
	s_barrier_wait -1
	v_cmpx_gt_u32_e32 11, v0
	s_cbranch_execz .LBB13_306
; %bb.297:
	v_cmp_ne_u32_e32 vcc_lo, 1, v18
	s_cbranch_vccnz .LBB13_299
; %bb.298:
	v_cmp_eq_u32_e32 vcc_lo, 1, v0
	ds_load_b32 v17, v66
	v_cndmask_b32_e32 v16, v2, v3, vcc_lo
	v_cmp_eq_u32_e32 vcc_lo, 2, v0
	s_delay_alu instid0(VALU_DEP_2) | instskip(SKIP_1) | instid1(VALU_DEP_2)
	v_cndmask_b32_e32 v16, v16, v4, vcc_lo
	v_cmp_eq_u32_e32 vcc_lo, 3, v0
	v_cndmask_b32_e32 v16, v16, v5, vcc_lo
	v_cmp_eq_u32_e32 vcc_lo, 4, v0
	s_delay_alu instid0(VALU_DEP_2) | instskip(SKIP_1) | instid1(VALU_DEP_2)
	v_cndmask_b32_e32 v16, v16, v6, vcc_lo
	v_cmp_eq_u32_e32 vcc_lo, 5, v0
	;; [unrolled: 5-line block ×6, first 2 shown]
	v_cndmask_b32_e32 v16, v16, v15, vcc_lo
	s_wait_dscnt 0x0
	s_delay_alu instid0(VALU_DEP_1)
	v_mul_f32_e32 v19, v16, v17
	s_cbranch_execz .LBB13_300
	s_branch .LBB13_301
.LBB13_299:
                                        ; implicit-def: $vgpr19
.LBB13_300:
	ds_load_b32 v19, v66
.LBB13_301:
	s_mov_b32 s1, exec_lo
	v_cmpx_ne_u32_e32 10, v0
	s_cbranch_execz .LBB13_305
; %bb.302:
	v_mov_b64_e32 v[16:17], v[0:1]
	v_lshl_add_u32 v20, v0, 2, 0x44
	s_mov_b32 s2, 0
.LBB13_303:                             ; =>This Inner Loop Header: Depth=1
	s_delay_alu instid0(VALU_DEP_2)
	v_add_nc_u64_e32 v[16:17], 1, v[16:17]
	ds_load_b32 v22, v20
	v_add_nc_u32_e32 v20, 4, v20
	v_cmp_eq_u32_e32 vcc_lo, 1, v16
	v_cndmask_b32_e32 v21, v2, v3, vcc_lo
	v_cmp_eq_u32_e32 vcc_lo, 2, v16
	s_delay_alu instid0(VALU_DEP_2) | instskip(SKIP_1) | instid1(VALU_DEP_2)
	v_cndmask_b32_e32 v21, v21, v4, vcc_lo
	v_cmp_eq_u32_e32 vcc_lo, 3, v16
	v_cndmask_b32_e32 v21, v21, v5, vcc_lo
	v_cmp_eq_u32_e32 vcc_lo, 4, v16
	s_delay_alu instid0(VALU_DEP_2) | instskip(SKIP_1) | instid1(VALU_DEP_2)
	v_cndmask_b32_e32 v21, v21, v6, vcc_lo
	;; [unrolled: 5-line block ×6, first 2 shown]
	v_cmp_eq_u32_e32 vcc_lo, 13, v16
	v_cndmask_b32_e32 v21, v21, v15, vcc_lo
	v_cmp_lt_u32_e32 vcc_lo, 9, v16
	s_wait_dscnt 0x0
	s_delay_alu instid0(VALU_DEP_2) | instskip(SKIP_1) | instid1(SALU_CYCLE_1)
	v_fmac_f32_e32 v19, v21, v22
	s_or_b32 s2, vcc_lo, s2
	s_and_not1_b32 exec_lo, exec_lo, s2
	s_cbranch_execnz .LBB13_303
; %bb.304:
	s_or_b32 exec_lo, exec_lo, s2
.LBB13_305:
	s_delay_alu instid0(SALU_CYCLE_1)
	s_or_b32 exec_lo, exec_lo, s1
	v_mov_b32_e32 v13, 0
	ds_load_b32 v13, v13 offset:44
	s_wait_dscnt 0x0
	v_mul_f32_e32 v13, v19, v13
.LBB13_306:
	s_or_b32 exec_lo, exec_lo, s0
	v_cmp_gt_u32_e64 s0, 12, v0
	ds_store_b32 v66, v14
	s_wait_dscnt 0x0
	s_barrier_signal -1
	s_barrier_wait -1
	s_and_saveexec_b32 s1, s0
	s_cbranch_execz .LBB13_316
; %bb.307:
	v_cmp_ne_u32_e32 vcc_lo, 1, v18
	s_cbranch_vccnz .LBB13_309
; %bb.308:
	v_cmp_eq_u32_e32 vcc_lo, 1, v0
	ds_load_b32 v17, v66
	v_cndmask_b32_e32 v16, v2, v3, vcc_lo
	v_cmp_eq_u32_e32 vcc_lo, 2, v0
	s_delay_alu instid0(VALU_DEP_2) | instskip(SKIP_1) | instid1(VALU_DEP_2)
	v_cndmask_b32_e32 v16, v16, v4, vcc_lo
	v_cmp_eq_u32_e32 vcc_lo, 3, v0
	v_cndmask_b32_e32 v16, v16, v5, vcc_lo
	v_cmp_eq_u32_e32 vcc_lo, 4, v0
	s_delay_alu instid0(VALU_DEP_2) | instskip(SKIP_1) | instid1(VALU_DEP_2)
	v_cndmask_b32_e32 v16, v16, v6, vcc_lo
	v_cmp_eq_u32_e32 vcc_lo, 5, v0
	;; [unrolled: 5-line block ×6, first 2 shown]
	v_cndmask_b32_e32 v16, v16, v15, vcc_lo
	s_wait_dscnt 0x0
	s_delay_alu instid0(VALU_DEP_1)
	v_mul_f32_e32 v19, v16, v17
	s_cbranch_execz .LBB13_310
	s_branch .LBB13_311
.LBB13_309:
                                        ; implicit-def: $vgpr19
.LBB13_310:
	ds_load_b32 v19, v66
.LBB13_311:
	s_mov_b32 s2, exec_lo
	v_cmpx_ne_u32_e32 11, v0
	s_cbranch_execz .LBB13_315
; %bb.312:
	v_mov_b64_e32 v[16:17], v[0:1]
	v_lshl_add_u32 v20, v0, 2, 0x44
	s_mov_b32 s3, 0
.LBB13_313:                             ; =>This Inner Loop Header: Depth=1
	s_delay_alu instid0(VALU_DEP_2)
	v_add_nc_u64_e32 v[16:17], 1, v[16:17]
	ds_load_b32 v22, v20
	v_add_nc_u32_e32 v20, 4, v20
	v_cmp_eq_u32_e32 vcc_lo, 1, v16
	v_cndmask_b32_e32 v21, v2, v3, vcc_lo
	v_cmp_eq_u32_e32 vcc_lo, 2, v16
	s_delay_alu instid0(VALU_DEP_2) | instskip(SKIP_1) | instid1(VALU_DEP_2)
	v_cndmask_b32_e32 v21, v21, v4, vcc_lo
	v_cmp_eq_u32_e32 vcc_lo, 3, v16
	v_cndmask_b32_e32 v21, v21, v5, vcc_lo
	v_cmp_eq_u32_e32 vcc_lo, 4, v16
	s_delay_alu instid0(VALU_DEP_2) | instskip(SKIP_1) | instid1(VALU_DEP_2)
	v_cndmask_b32_e32 v21, v21, v6, vcc_lo
	;; [unrolled: 5-line block ×6, first 2 shown]
	v_cmp_eq_u32_e32 vcc_lo, 13, v16
	v_cndmask_b32_e32 v21, v21, v15, vcc_lo
	v_cmp_lt_u32_e32 vcc_lo, 10, v16
	s_wait_dscnt 0x0
	s_delay_alu instid0(VALU_DEP_2) | instskip(SKIP_1) | instid1(SALU_CYCLE_1)
	v_fmac_f32_e32 v19, v21, v22
	s_or_b32 s3, vcc_lo, s3
	s_and_not1_b32 exec_lo, exec_lo, s3
	s_cbranch_execnz .LBB13_313
; %bb.314:
	s_or_b32 exec_lo, exec_lo, s3
.LBB13_315:
	s_delay_alu instid0(SALU_CYCLE_1)
	s_or_b32 exec_lo, exec_lo, s2
	v_mov_b32_e32 v14, 0
	ds_load_b32 v14, v14 offset:48
	s_wait_dscnt 0x0
	v_mul_f32_e32 v14, v19, v14
.LBB13_316:
	s_or_b32 exec_lo, exec_lo, s1
	s_delay_alu instid0(SALU_CYCLE_1)
	s_mov_b32 s1, exec_lo
	ds_store_b32 v66, v15
	s_wait_dscnt 0x0
	s_barrier_signal -1
	s_barrier_wait -1
	v_cmpx_ne_u32_e32 13, v0
	s_cbranch_execz .LBB13_326
; %bb.317:
	v_cmp_ne_u32_e32 vcc_lo, 1, v18
	s_cbranch_vccnz .LBB13_319
; %bb.318:
	v_cmp_eq_u32_e32 vcc_lo, 1, v0
	ds_load_b32 v17, v66
	v_cndmask_b32_e32 v16, v2, v3, vcc_lo
	v_cmp_eq_u32_e32 vcc_lo, 2, v0
	s_delay_alu instid0(VALU_DEP_2) | instskip(SKIP_1) | instid1(VALU_DEP_2)
	v_cndmask_b32_e32 v16, v16, v4, vcc_lo
	v_cmp_eq_u32_e32 vcc_lo, 3, v0
	v_cndmask_b32_e32 v16, v16, v5, vcc_lo
	v_cmp_eq_u32_e32 vcc_lo, 4, v0
	s_delay_alu instid0(VALU_DEP_2) | instskip(SKIP_1) | instid1(VALU_DEP_2)
	v_cndmask_b32_e32 v16, v16, v6, vcc_lo
	v_cmp_eq_u32_e32 vcc_lo, 5, v0
	;; [unrolled: 5-line block ×6, first 2 shown]
	v_cndmask_b32_e32 v16, v16, v15, vcc_lo
	s_wait_dscnt 0x0
	s_delay_alu instid0(VALU_DEP_1)
	v_mul_f32_e32 v16, v16, v17
	s_cbranch_execz .LBB13_320
	s_branch .LBB13_321
.LBB13_319:
                                        ; implicit-def: $vgpr16
.LBB13_320:
	ds_load_b32 v16, v66
.LBB13_321:
	s_and_saveexec_b32 s2, s0
	s_cbranch_execz .LBB13_325
; %bb.322:
	v_lshl_add_u32 v17, v0, 2, 0x44
	s_mov_b32 s0, 0
.LBB13_323:                             ; =>This Inner Loop Header: Depth=1
	v_add_nc_u64_e32 v[0:1], 1, v[0:1]
	ds_load_b32 v19, v17
	v_add_nc_u32_e32 v17, 4, v17
	v_cmp_eq_u32_e32 vcc_lo, 1, v0
	v_cndmask_b32_e32 v18, v2, v3, vcc_lo
	v_cmp_eq_u32_e32 vcc_lo, 2, v0
	s_delay_alu instid0(VALU_DEP_2) | instskip(SKIP_1) | instid1(VALU_DEP_2)
	v_cndmask_b32_e32 v18, v18, v4, vcc_lo
	v_cmp_eq_u32_e32 vcc_lo, 3, v0
	v_cndmask_b32_e32 v18, v18, v5, vcc_lo
	v_cmp_eq_u32_e32 vcc_lo, 4, v0
	s_delay_alu instid0(VALU_DEP_2) | instskip(SKIP_1) | instid1(VALU_DEP_2)
	v_cndmask_b32_e32 v18, v18, v6, vcc_lo
	;; [unrolled: 5-line block ×6, first 2 shown]
	v_cmp_eq_u32_e32 vcc_lo, 13, v0
	v_cndmask_b32_e32 v18, v18, v15, vcc_lo
	v_cmp_lt_u32_e32 vcc_lo, 11, v0
	s_wait_dscnt 0x0
	s_delay_alu instid0(VALU_DEP_2) | instskip(SKIP_1) | instid1(SALU_CYCLE_1)
	v_fmac_f32_e32 v16, v18, v19
	s_or_b32 s0, vcc_lo, s0
	s_and_not1_b32 exec_lo, exec_lo, s0
	s_cbranch_execnz .LBB13_323
; %bb.324:
	s_or_b32 exec_lo, exec_lo, s0
.LBB13_325:
	s_delay_alu instid0(SALU_CYCLE_1)
	s_or_b32 exec_lo, exec_lo, s2
	v_mov_b32_e32 v0, 0
	ds_load_b32 v0, v0 offset:52
	s_wait_dscnt 0x0
	v_mul_f32_e32 v15, v16, v0
.LBB13_326:
	s_or_b32 exec_lo, exec_lo, s1
	v_mov_b64_e32 v[32:33], v[16:17]
	s_delay_alu instid0(VALU_DEP_2)
	v_mov_b64_e32 v[30:31], v[14:15]
	v_mov_b64_e32 v[28:29], v[12:13]
	;; [unrolled: 1-line block ×7, first 2 shown]
.LBB13_327:
	s_wait_xcnt 0x5
	v_lshl_add_u64 v[0:1], v[34:35], 2, s[14:15]
	s_wait_loadcnt 0x5
	v_lshl_add_u64 v[2:3], v[36:37], 2, s[14:15]
	v_lshl_add_u64 v[4:5], v[38:39], 2, s[14:15]
	;; [unrolled: 1-line block ×4, first 2 shown]
	s_wait_loadcnt 0x4
	v_lshl_add_u64 v[10:11], v[44:45], 2, s[14:15]
	s_wait_loadcnt 0x2
	v_lshl_add_u64 v[12:13], v[48:49], 2, s[14:15]
	;; [unrolled: 2-line block ×3, first 2 shown]
	v_lshl_add_u64 v[16:17], v[54:55], 2, s[14:15]
	v_lshl_add_u64 v[32:33], v[56:57], 2, s[14:15]
	;; [unrolled: 1-line block ×4, first 2 shown]
	s_clause 0xd
	global_store_b32 v[46:47], v18, off
	global_store_b32 v[52:53], v19, off
	;; [unrolled: 1-line block ×14, first 2 shown]
.LBB13_328:
	s_sendmsg sendmsg(MSG_DEALLOC_VGPRS)
	s_endpgm
	.section	.rodata,"a",@progbits
	.p2align	6, 0x0
	.amdhsa_kernel _ZN9rocsolver6v33100L18trti2_kernel_smallILi14EfPfEEv13rocblas_fill_17rocblas_diagonal_T1_iil
		.amdhsa_group_segment_fixed_size 120
		.amdhsa_private_segment_fixed_size 0
		.amdhsa_kernarg_size 32
		.amdhsa_user_sgpr_count 2
		.amdhsa_user_sgpr_dispatch_ptr 0
		.amdhsa_user_sgpr_queue_ptr 0
		.amdhsa_user_sgpr_kernarg_segment_ptr 1
		.amdhsa_user_sgpr_dispatch_id 0
		.amdhsa_user_sgpr_kernarg_preload_length 0
		.amdhsa_user_sgpr_kernarg_preload_offset 0
		.amdhsa_user_sgpr_private_segment_size 0
		.amdhsa_wavefront_size32 1
		.amdhsa_uses_dynamic_stack 0
		.amdhsa_enable_private_segment 0
		.amdhsa_system_sgpr_workgroup_id_x 1
		.amdhsa_system_sgpr_workgroup_id_y 0
		.amdhsa_system_sgpr_workgroup_id_z 0
		.amdhsa_system_sgpr_workgroup_info 0
		.amdhsa_system_vgpr_workitem_id 0
		.amdhsa_next_free_vgpr 77
		.amdhsa_next_free_sgpr 24
		.amdhsa_named_barrier_count 0
		.amdhsa_reserve_vcc 1
		.amdhsa_float_round_mode_32 0
		.amdhsa_float_round_mode_16_64 0
		.amdhsa_float_denorm_mode_32 3
		.amdhsa_float_denorm_mode_16_64 3
		.amdhsa_fp16_overflow 0
		.amdhsa_memory_ordered 1
		.amdhsa_forward_progress 1
		.amdhsa_inst_pref_size 128
		.amdhsa_round_robin_scheduling 0
		.amdhsa_exception_fp_ieee_invalid_op 0
		.amdhsa_exception_fp_denorm_src 0
		.amdhsa_exception_fp_ieee_div_zero 0
		.amdhsa_exception_fp_ieee_overflow 0
		.amdhsa_exception_fp_ieee_underflow 0
		.amdhsa_exception_fp_ieee_inexact 0
		.amdhsa_exception_int_div_zero 0
	.end_amdhsa_kernel
	.section	.text._ZN9rocsolver6v33100L18trti2_kernel_smallILi14EfPfEEv13rocblas_fill_17rocblas_diagonal_T1_iil,"axG",@progbits,_ZN9rocsolver6v33100L18trti2_kernel_smallILi14EfPfEEv13rocblas_fill_17rocblas_diagonal_T1_iil,comdat
.Lfunc_end13:
	.size	_ZN9rocsolver6v33100L18trti2_kernel_smallILi14EfPfEEv13rocblas_fill_17rocblas_diagonal_T1_iil, .Lfunc_end13-_ZN9rocsolver6v33100L18trti2_kernel_smallILi14EfPfEEv13rocblas_fill_17rocblas_diagonal_T1_iil
                                        ; -- End function
	.set _ZN9rocsolver6v33100L18trti2_kernel_smallILi14EfPfEEv13rocblas_fill_17rocblas_diagonal_T1_iil.num_vgpr, 77
	.set _ZN9rocsolver6v33100L18trti2_kernel_smallILi14EfPfEEv13rocblas_fill_17rocblas_diagonal_T1_iil.num_agpr, 0
	.set _ZN9rocsolver6v33100L18trti2_kernel_smallILi14EfPfEEv13rocblas_fill_17rocblas_diagonal_T1_iil.numbered_sgpr, 24
	.set _ZN9rocsolver6v33100L18trti2_kernel_smallILi14EfPfEEv13rocblas_fill_17rocblas_diagonal_T1_iil.num_named_barrier, 0
	.set _ZN9rocsolver6v33100L18trti2_kernel_smallILi14EfPfEEv13rocblas_fill_17rocblas_diagonal_T1_iil.private_seg_size, 0
	.set _ZN9rocsolver6v33100L18trti2_kernel_smallILi14EfPfEEv13rocblas_fill_17rocblas_diagonal_T1_iil.uses_vcc, 1
	.set _ZN9rocsolver6v33100L18trti2_kernel_smallILi14EfPfEEv13rocblas_fill_17rocblas_diagonal_T1_iil.uses_flat_scratch, 0
	.set _ZN9rocsolver6v33100L18trti2_kernel_smallILi14EfPfEEv13rocblas_fill_17rocblas_diagonal_T1_iil.has_dyn_sized_stack, 0
	.set _ZN9rocsolver6v33100L18trti2_kernel_smallILi14EfPfEEv13rocblas_fill_17rocblas_diagonal_T1_iil.has_recursion, 0
	.set _ZN9rocsolver6v33100L18trti2_kernel_smallILi14EfPfEEv13rocblas_fill_17rocblas_diagonal_T1_iil.has_indirect_call, 0
	.section	.AMDGPU.csdata,"",@progbits
; Kernel info:
; codeLenInByte = 16384
; TotalNumSgprs: 26
; NumVgprs: 77
; ScratchSize: 0
; MemoryBound: 0
; FloatMode: 240
; IeeeMode: 1
; LDSByteSize: 120 bytes/workgroup (compile time only)
; SGPRBlocks: 0
; VGPRBlocks: 4
; NumSGPRsForWavesPerEU: 26
; NumVGPRsForWavesPerEU: 77
; NamedBarCnt: 0
; Occupancy: 12
; WaveLimiterHint : 0
; COMPUTE_PGM_RSRC2:SCRATCH_EN: 0
; COMPUTE_PGM_RSRC2:USER_SGPR: 2
; COMPUTE_PGM_RSRC2:TRAP_HANDLER: 0
; COMPUTE_PGM_RSRC2:TGID_X_EN: 1
; COMPUTE_PGM_RSRC2:TGID_Y_EN: 0
; COMPUTE_PGM_RSRC2:TGID_Z_EN: 0
; COMPUTE_PGM_RSRC2:TIDIG_COMP_CNT: 0
	.section	.text._ZN9rocsolver6v33100L18trti2_kernel_smallILi15EfPfEEv13rocblas_fill_17rocblas_diagonal_T1_iil,"axG",@progbits,_ZN9rocsolver6v33100L18trti2_kernel_smallILi15EfPfEEv13rocblas_fill_17rocblas_diagonal_T1_iil,comdat
	.globl	_ZN9rocsolver6v33100L18trti2_kernel_smallILi15EfPfEEv13rocblas_fill_17rocblas_diagonal_T1_iil ; -- Begin function _ZN9rocsolver6v33100L18trti2_kernel_smallILi15EfPfEEv13rocblas_fill_17rocblas_diagonal_T1_iil
	.p2align	8
	.type	_ZN9rocsolver6v33100L18trti2_kernel_smallILi15EfPfEEv13rocblas_fill_17rocblas_diagonal_T1_iil,@function
_ZN9rocsolver6v33100L18trti2_kernel_smallILi15EfPfEEv13rocblas_fill_17rocblas_diagonal_T1_iil: ; @_ZN9rocsolver6v33100L18trti2_kernel_smallILi15EfPfEEv13rocblas_fill_17rocblas_diagonal_T1_iil
; %bb.0:
	s_mov_b32 s2, exec_lo
	v_cmpx_gt_u32_e32 15, v0
	s_cbranch_execz .LBB14_354
; %bb.1:
	s_load_b256 s[16:23], s[0:1], 0x0
	s_wait_xcnt 0x0
	s_bfe_u32 s0, ttmp6, 0x4000c
	s_and_b32 s1, ttmp6, 15
	s_add_co_i32 s0, s0, 1
	s_getreg_b32 s2, hwreg(HW_REG_IB_STS2, 6, 4)
	s_mul_i32 s0, ttmp9, s0
	v_mov_b32_e32 v1, 0
	s_add_co_i32 s0, s1, s0
	s_delay_alu instid0(VALU_DEP_1)
	v_mov_b32_e32 v19, v1
	s_wait_kmcnt 0x0
	v_add3_u32 v34, s21, s21, v0
	s_ashr_i32 s1, s20, 31
	s_cmp_eq_u32 s2, 0
	s_cselect_b32 s2, ttmp9, s0
	s_delay_alu instid0(VALU_DEP_1)
	v_add_nc_u32_e32 v36, s21, v34
	s_ashr_i32 s3, s2, 31
	s_mov_b32 s0, s20
	s_mul_u64 s[2:3], s[22:23], s[2:3]
	s_lshl_b64 s[0:1], s[0:1], 2
	v_add_nc_u32_e32 v38, s21, v36
	s_lshl_b64 s[2:3], s[2:3], 2
	s_delay_alu instid0(SALU_CYCLE_1) | instskip(NEXT) | instid1(VALU_DEP_1)
	s_add_nc_u64 s[2:3], s[18:19], s[2:3]
	v_add_nc_u32_e32 v40, s21, v38
	s_add_nc_u64 s[18:19], s[2:3], s[0:1]
	s_mov_b32 s0, s21
	s_ashr_i32 s1, s21, 31
	s_cmp_lg_u32 s17, 0x84
	v_add_nc_u32_e32 v42, s21, v40
	s_cselect_b32 s15, -1, 0
	s_cmp_eq_u32 s17, 0x84
	s_delay_alu instid0(VALU_DEP_1) | instskip(NEXT) | instid1(VALU_DEP_1)
	v_add_nc_u32_e32 v44, s21, v42
	v_add_nc_u32_e32 v46, s21, v44
	s_delay_alu instid0(VALU_DEP_1) | instskip(NEXT) | instid1(VALU_DEP_1)
	v_dual_lshlrev_b32 v18, 2, v0 :: v_dual_add_nc_u32 v50, s21, v46
	v_add_nc_u64_e32 v[48:49], s[18:19], v[18:19]
	s_delay_alu instid0(VALU_DEP_2) | instskip(NEXT) | instid1(VALU_DEP_2)
	v_dual_mov_b32 v19, -1.0 :: v_dual_add_nc_u32 v52, s21, v50
	v_lshl_add_u64 v[54:55], s[0:1], 2, v[48:49]
	s_clause 0x7
	global_load_b32 v3, v[54:55], off
	global_load_b32 v4, v34, s[18:19] scale_offset
	global_load_b32 v5, v36, s[18:19] scale_offset
	;; [unrolled: 1-line block ×7, first 2 shown]
	v_add_nc_u32_e32 v56, s21, v52
	v_cmp_eq_u32_e64 s0, 0, v0
	s_delay_alu instid0(VALU_DEP_2) | instskip(NEXT) | instid1(VALU_DEP_1)
	v_add_nc_u32_e32 v58, s21, v56
	v_add_nc_u32_e32 v60, s21, v58
	s_delay_alu instid0(VALU_DEP_1)
	v_add_nc_u32_e32 v62, s21, v60
	s_clause 0x6
	global_load_b32 v2, v0, s[18:19] scale_offset
	global_load_b32 v11, v50, s[18:19] scale_offset
	;; [unrolled: 1-line block ×7, first 2 shown]
	s_cbranch_scc1 .LBB14_3
; %bb.2:
	v_cmp_eq_u32_e64 s1, 1, v0
	v_cmp_eq_u32_e64 s2, 2, v0
	;; [unrolled: 1-line block ×5, first 2 shown]
	s_wait_loadcnt 0x6
	v_cndmask_b32_e64 v17, v2, v3, s1
	v_cmp_eq_u32_e64 s6, 6, v0
	v_cmp_eq_u32_e64 s7, 7, v0
	;; [unrolled: 1-line block ×4, first 2 shown]
	v_cndmask_b32_e64 v17, v17, v4, s2
	v_cmp_eq_u32_e64 s10, 10, v0
	v_cmp_eq_u32_e64 s11, 11, v0
	;; [unrolled: 1-line block ×4, first 2 shown]
	v_cndmask_b32_e64 v17, v17, v5, s3
	v_cmp_eq_u32_e64 s14, 14, v0
	s_delay_alu instid0(VALU_DEP_2) | instskip(NEXT) | instid1(VALU_DEP_1)
	v_cndmask_b32_e64 v17, v17, v6, s4
	v_cndmask_b32_e64 v17, v17, v7, s5
	s_delay_alu instid0(VALU_DEP_1) | instskip(NEXT) | instid1(VALU_DEP_1)
	v_cndmask_b32_e64 v17, v17, v8, s6
	v_cndmask_b32_e64 v17, v17, v9, s7
	s_delay_alu instid0(VALU_DEP_1) | instskip(SKIP_1) | instid1(VALU_DEP_1)
	v_cndmask_b32_e64 v17, v17, v10, s8
	s_wait_loadcnt 0x5
	v_cndmask_b32_e64 v17, v17, v11, s9
	s_wait_loadcnt 0x4
	s_delay_alu instid0(VALU_DEP_1) | instskip(SKIP_1) | instid1(VALU_DEP_1)
	v_cndmask_b32_e64 v17, v17, v12, s10
	s_wait_loadcnt 0x3
	v_cndmask_b32_e64 v17, v17, v13, s11
	s_wait_loadcnt 0x2
	;; [unrolled: 5-line block ×3, first 2 shown]
	s_delay_alu instid0(VALU_DEP_1) | instskip(NEXT) | instid1(VALU_DEP_1)
	v_cndmask_b32_e64 v17, v17, v16, s14
	v_div_scale_f32 v19, null, v17, v17, 1.0
	v_div_scale_f32 v22, vcc_lo, 1.0, v17, 1.0
	s_delay_alu instid0(VALU_DEP_2) | instskip(SKIP_1) | instid1(TRANS32_DEP_1)
	v_rcp_f32_e32 v20, v19
	v_nop
	v_fma_f32 v21, -v19, v20, 1.0
	s_delay_alu instid0(VALU_DEP_1) | instskip(NEXT) | instid1(VALU_DEP_1)
	v_fmac_f32_e32 v20, v21, v20
	v_mul_f32_e32 v21, v22, v20
	s_delay_alu instid0(VALU_DEP_1) | instskip(NEXT) | instid1(VALU_DEP_1)
	v_fma_f32 v23, -v19, v21, v22
	v_fmac_f32_e32 v21, v23, v20
	s_delay_alu instid0(VALU_DEP_1) | instskip(NEXT) | instid1(VALU_DEP_1)
	v_fma_f32 v19, -v19, v21, v22
	v_div_fmas_f32 v19, v19, v20, v21
	s_delay_alu instid0(VALU_DEP_1) | instskip(NEXT) | instid1(VALU_DEP_1)
	v_div_fixup_f32 v17, v19, v17, 1.0
	v_dual_cndmask_b32 v16, v16, v17, s14 :: v_dual_cndmask_b32 v15, v15, v17, s13
	v_dual_cndmask_b32 v14, v14, v17, s12 :: v_dual_cndmask_b32 v13, v13, v17, s11
	;; [unrolled: 1-line block ×7, first 2 shown]
	v_cndmask_b32_e64 v2, v2, v17, s0
	v_xor_b32_e32 v19, 0x80000000, v17
.LBB14_3:
	v_dual_ashrrev_i32 v35, 31, v34 :: v_dual_ashrrev_i32 v37, 31, v36
	v_dual_ashrrev_i32 v39, 31, v38 :: v_dual_ashrrev_i32 v41, 31, v40
	v_dual_ashrrev_i32 v43, 31, v42 :: v_dual_ashrrev_i32 v45, 31, v44
	v_dual_ashrrev_i32 v47, 31, v46 :: v_dual_ashrrev_i32 v53, 31, v52
	v_dual_ashrrev_i32 v51, 31, v50 :: v_dual_ashrrev_i32 v57, 31, v56
	v_dual_ashrrev_i32 v59, 31, v58 :: v_dual_ashrrev_i32 v61, 31, v60
	v_ashrrev_i32_e32 v63, 31, v62
	v_add_nc_u32_e32 v68, 64, v18
	s_cmp_eq_u32 s16, 0x79
	ds_store_b32 v18, v19
	s_cbranch_scc1 .LBB14_7
; %bb.4:
	s_wait_loadcnt 0x0
	v_mov_b64_e32 v[32:33], v[16:17]
	v_mov_b64_e32 v[30:31], v[14:15]
	;; [unrolled: 1-line block ×8, first 2 shown]
	v_cmp_eq_u32_e64 s1, 14, v0
	ds_store_b32 v68, v15
	s_wait_dscnt 0x0
	s_barrier_signal -1
	s_barrier_wait -1
	s_and_saveexec_b32 s0, s1
	s_cbranch_execz .LBB14_11
; %bb.5:
	s_and_b32 vcc_lo, exec_lo, s15
	s_cbranch_vccz .LBB14_8
; %bb.6:
	v_cmp_eq_u32_e32 vcc_lo, 1, v0
	ds_load_b32 v19, v68
	v_cndmask_b32_e32 v18, v2, v3, vcc_lo
	v_cmp_eq_u32_e32 vcc_lo, 2, v0
	s_delay_alu instid0(VALU_DEP_2) | instskip(SKIP_1) | instid1(VALU_DEP_2)
	v_cndmask_b32_e32 v18, v18, v4, vcc_lo
	v_cmp_eq_u32_e32 vcc_lo, 3, v0
	v_cndmask_b32_e32 v18, v18, v5, vcc_lo
	v_cmp_eq_u32_e32 vcc_lo, 4, v0
	s_delay_alu instid0(VALU_DEP_2) | instskip(SKIP_1) | instid1(VALU_DEP_2)
	v_cndmask_b32_e32 v18, v18, v6, vcc_lo
	v_cmp_eq_u32_e32 vcc_lo, 5, v0
	;; [unrolled: 5-line block ×6, first 2 shown]
	v_cndmask_b32_e32 v18, v18, v15, vcc_lo
	v_cmp_eq_u32_e32 vcc_lo, 14, v0
	s_delay_alu instid0(VALU_DEP_2) | instskip(SKIP_1) | instid1(VALU_DEP_1)
	v_cndmask_b32_e32 v18, v18, v16, vcc_lo
	s_wait_dscnt 0x0
	v_mul_f32_e32 v31, v18, v19
	s_cbranch_execz .LBB14_9
	s_branch .LBB14_10
.LBB14_7:
                                        ; implicit-def: $vgpr18_vgpr19_vgpr20_vgpr21_vgpr22_vgpr23_vgpr24_vgpr25_vgpr26_vgpr27_vgpr28_vgpr29_vgpr30_vgpr31_vgpr32_vgpr33
	s_cbranch_execnz .LBB14_210
	s_branch .LBB14_353
.LBB14_8:
                                        ; implicit-def: $vgpr31
.LBB14_9:
	ds_load_b32 v31, v68
.LBB14_10:
	v_dual_mov_b32 v18, 0 :: v_dual_mov_b32 v19, v3
	v_dual_mov_b32 v21, v5 :: v_dual_mov_b32 v22, v6
	;; [unrolled: 1-line block ×3, first 2 shown]
	ds_load_b32 v32, v18 offset:52
	v_dual_mov_b32 v18, v2 :: v_dual_mov_b32 v20, v4
	v_dual_mov_b32 v25, v9 :: v_dual_mov_b32 v26, v10
	;; [unrolled: 1-line block ×4, first 2 shown]
	s_wait_dscnt 0x0
	v_dual_mul_f32 v31, v31, v32 :: v_dual_mov_b32 v32, v16
.LBB14_11:
	s_or_b32 exec_lo, exec_lo, s0
	v_cmp_lt_u32_e64 s0, 12, v0
	ds_store_b32 v68, v30
	s_wait_dscnt 0x0
	s_barrier_signal -1
	s_barrier_wait -1
	s_and_saveexec_b32 s2, s0
	s_cbranch_execz .LBB14_17
; %bb.12:
	s_and_not1_b32 vcc_lo, exec_lo, s15
	s_cbranch_vccnz .LBB14_14
; %bb.13:
	v_cmp_eq_u32_e32 vcc_lo, 1, v0
	ds_load_b32 v64, v68
	v_cndmask_b32_e32 v33, v18, v19, vcc_lo
	v_cmp_eq_u32_e32 vcc_lo, 2, v0
	s_delay_alu instid0(VALU_DEP_2) | instskip(SKIP_1) | instid1(VALU_DEP_2)
	v_cndmask_b32_e32 v33, v33, v20, vcc_lo
	v_cmp_eq_u32_e32 vcc_lo, 3, v0
	v_cndmask_b32_e32 v33, v33, v21, vcc_lo
	v_cmp_eq_u32_e32 vcc_lo, 4, v0
	s_delay_alu instid0(VALU_DEP_2) | instskip(SKIP_1) | instid1(VALU_DEP_2)
	v_cndmask_b32_e32 v33, v33, v22, vcc_lo
	v_cmp_eq_u32_e32 vcc_lo, 5, v0
	;; [unrolled: 5-line block ×6, first 2 shown]
	v_cndmask_b32_e32 v30, v30, v31, vcc_lo
	v_cmp_eq_u32_e32 vcc_lo, 14, v0
	s_delay_alu instid0(VALU_DEP_2) | instskip(SKIP_1) | instid1(VALU_DEP_1)
	v_cndmask_b32_e32 v30, v30, v32, vcc_lo
	s_wait_dscnt 0x0
	v_mul_f32_e32 v30, v30, v64
	s_cbranch_execz .LBB14_15
	s_branch .LBB14_16
.LBB14_14:
                                        ; implicit-def: $vgpr30
.LBB14_15:
	ds_load_b32 v30, v68
.LBB14_16:
	v_mov_b32_e32 v33, 0
	ds_load_2addr_b32 v[64:65], v33 offset0:12 offset1:29
	s_wait_dscnt 0x0
	v_fma_f32 v33, v31, v65, v30
	s_delay_alu instid0(VALU_DEP_1) | instskip(NEXT) | instid1(VALU_DEP_1)
	v_cndmask_b32_e64 v30, v30, v33, s1
	v_mul_f32_e32 v30, v30, v64
.LBB14_17:
	s_or_b32 exec_lo, exec_lo, s2
	v_cmp_lt_u32_e64 s1, 11, v0
	ds_store_b32 v68, v29
	s_wait_dscnt 0x0
	s_barrier_signal -1
	s_barrier_wait -1
	s_and_saveexec_b32 s4, s1
	s_cbranch_execz .LBB14_33
; %bb.18:
	s_and_not1_b32 vcc_lo, exec_lo, s15
	s_cbranch_vccnz .LBB14_20
; %bb.19:
	v_cmp_eq_u32_e32 vcc_lo, 1, v0
	ds_load_b32 v65, v68
	v_cndmask_b32_e32 v64, v18, v19, vcc_lo
	v_cmp_eq_u32_e32 vcc_lo, 2, v0
	s_delay_alu instid0(VALU_DEP_2) | instskip(SKIP_1) | instid1(VALU_DEP_2)
	v_cndmask_b32_e32 v64, v64, v20, vcc_lo
	v_cmp_eq_u32_e32 vcc_lo, 3, v0
	v_cndmask_b32_e32 v64, v64, v21, vcc_lo
	v_cmp_eq_u32_e32 vcc_lo, 4, v0
	s_delay_alu instid0(VALU_DEP_2) | instskip(SKIP_1) | instid1(VALU_DEP_2)
	v_cndmask_b32_e32 v64, v64, v22, vcc_lo
	v_cmp_eq_u32_e32 vcc_lo, 5, v0
	;; [unrolled: 5-line block ×6, first 2 shown]
	v_cndmask_b32_e32 v64, v64, v31, vcc_lo
	v_cmp_eq_u32_e32 vcc_lo, 14, v0
	s_delay_alu instid0(VALU_DEP_2) | instskip(SKIP_1) | instid1(VALU_DEP_1)
	v_cndmask_b32_e32 v64, v64, v32, vcc_lo
	s_wait_dscnt 0x0
	v_mul_f32_e32 v67, v64, v65
	s_cbranch_execz .LBB14_21
	s_branch .LBB14_22
.LBB14_20:
                                        ; implicit-def: $vgpr67
.LBB14_21:
	ds_load_b32 v67, v68
.LBB14_22:
	s_and_saveexec_b32 s5, s0
	s_cbranch_execz .LBB14_32
; %bb.23:
	v_dual_add_nc_u32 v64, -13, v0 :: v_dual_add_nc_u32 v65, -12, v0
	s_delay_alu instid0(VALU_DEP_1)
	v_cmp_lt_u32_e32 vcc_lo, 6, v64
	v_mov_b32_e32 v64, 12
	s_and_saveexec_b32 s0, vcc_lo
	s_cbranch_execz .LBB14_27
; %bb.24:
	v_and_b32_e32 v64, -8, v65
	s_mov_b32 s6, 0
	s_mov_b64 s[2:3], 19
	s_movk_i32 s7, 0x70
	s_delay_alu instid0(VALU_DEP_1)
	v_sub_nc_u32_e32 v66, 0, v64
.LBB14_25:                              ; =>This Inner Loop Header: Depth=1
	s_add_co_i32 m0, s2, -7
	v_movrels_b32_e32 v69, v18
	v_mov_b32_e32 v64, s7
	s_add_co_i32 m0, s2, -6
	s_add_co_i32 s7, s7, 32
	v_movrels_b32_e32 v78, v18
	s_add_co_i32 m0, s2, -5
	ds_load_b128 v[70:73], v64
	ds_load_b128 v[74:77], v64 offset:16
	v_movrels_b32_e32 v64, v18
	s_add_co_i32 m0, s2, -4
	s_wait_dscnt 0x1
	v_fmac_f32_e32 v67, v69, v70
	v_movrels_b32_e32 v69, v18
	s_add_co_i32 m0, s2, -3
	s_delay_alu instid0(VALU_DEP_2) | instskip(NEXT) | instid1(VALU_DEP_1)
	v_fmac_f32_e32 v67, v78, v71
	v_fmac_f32_e32 v67, v64, v72
	v_movrels_b32_e32 v64, v18
	s_add_co_i32 m0, s2, -2
	s_delay_alu instid0(VALU_DEP_2) | instskip(SKIP_3) | instid1(VALU_DEP_2)
	v_fmac_f32_e32 v67, v69, v73
	v_movrels_b32_e32 v69, v18
	s_add_co_i32 m0, s2, -1
	s_wait_dscnt 0x0
	v_fmac_f32_e32 v67, v64, v74
	v_movrels_b32_e32 v64, v18
	s_mov_b32 m0, s2
	s_add_nc_u64 s[2:3], s[2:3], 8
	v_movrels_b32_e32 v70, v18
	v_dual_fmac_f32 v67, v69, v75 :: v_dual_add_nc_u32 v69, s2, v66
	s_add_co_i32 s8, s2, -7
	s_delay_alu instid0(VALU_DEP_1) | instskip(NEXT) | instid1(VALU_DEP_2)
	v_fmac_f32_e32 v67, v64, v76
	v_cmp_eq_u32_e32 vcc_lo, 19, v69
	s_delay_alu instid0(VALU_DEP_2) | instskip(SKIP_1) | instid1(SALU_CYCLE_1)
	v_dual_mov_b32 v64, s8 :: v_dual_fmac_f32 v67, v70, v77
	s_or_b32 s6, vcc_lo, s6
	s_and_not1_b32 exec_lo, exec_lo, s6
	s_cbranch_execnz .LBB14_25
; %bb.26:
	s_or_b32 exec_lo, exec_lo, s6
.LBB14_27:
	s_delay_alu instid0(SALU_CYCLE_1) | instskip(SKIP_3) | instid1(VALU_DEP_1)
	s_or_b32 exec_lo, exec_lo, s0
	v_and_b32_e32 v33, 7, v65
	s_mov_b32 s2, 0
	s_mov_b32 s0, exec_lo
	v_cmpx_ne_u32_e32 0, v33
	s_cbranch_execz .LBB14_31
; %bb.28:
	v_lshl_add_u32 v66, v64, 2, 64
	v_mov_b32_e32 v65, 0
.LBB14_29:                              ; =>This Inner Loop Header: Depth=1
	v_cmp_eq_u32_e32 vcc_lo, 1, v64
	ds_load_b32 v70, v66
	v_dual_add_nc_u32 v33, -1, v33 :: v_dual_add_nc_u32 v66, 4, v66
	v_cndmask_b32_e32 v69, v18, v19, vcc_lo
	v_cmp_eq_u32_e32 vcc_lo, 2, v64
	s_delay_alu instid0(VALU_DEP_2) | instskip(SKIP_1) | instid1(VALU_DEP_2)
	v_cndmask_b32_e32 v69, v69, v20, vcc_lo
	v_cmp_eq_u32_e32 vcc_lo, 3, v64
	v_cndmask_b32_e32 v69, v69, v21, vcc_lo
	v_cmp_eq_u32_e32 vcc_lo, 4, v64
	s_delay_alu instid0(VALU_DEP_2) | instskip(SKIP_1) | instid1(VALU_DEP_2)
	v_cndmask_b32_e32 v69, v69, v22, vcc_lo
	v_cmp_eq_u32_e32 vcc_lo, 5, v64
	;; [unrolled: 5-line block ×6, first 2 shown]
	v_cndmask_b32_e32 v69, v69, v31, vcc_lo
	v_cmp_eq_u32_e32 vcc_lo, 14, v64
	v_add_nc_u64_e32 v[64:65], 1, v[64:65]
	s_delay_alu instid0(VALU_DEP_3) | instskip(SKIP_2) | instid1(VALU_DEP_2)
	v_cndmask_b32_e32 v69, v69, v32, vcc_lo
	v_cmp_eq_u32_e32 vcc_lo, 0, v33
	s_wait_dscnt 0x0
	v_fmac_f32_e32 v67, v69, v70
	s_or_b32 s2, vcc_lo, s2
	s_delay_alu instid0(SALU_CYCLE_1)
	s_and_not1_b32 exec_lo, exec_lo, s2
	s_cbranch_execnz .LBB14_29
; %bb.30:
	s_or_b32 exec_lo, exec_lo, s2
.LBB14_31:
	s_delay_alu instid0(SALU_CYCLE_1)
	s_or_b32 exec_lo, exec_lo, s0
.LBB14_32:
	s_delay_alu instid0(SALU_CYCLE_1)
	s_or_b32 exec_lo, exec_lo, s5
	v_mov_b32_e32 v29, 0
	ds_load_b32 v29, v29 offset:44
	s_wait_dscnt 0x0
	v_mul_f32_e32 v29, v67, v29
.LBB14_33:
	s_or_b32 exec_lo, exec_lo, s4
	v_cmp_lt_u32_e64 s0, 10, v0
	ds_store_b32 v68, v28
	s_wait_dscnt 0x0
	s_barrier_signal -1
	s_barrier_wait -1
	s_and_saveexec_b32 s4, s0
	s_cbranch_execz .LBB14_49
; %bb.34:
	s_and_not1_b32 vcc_lo, exec_lo, s15
	s_cbranch_vccnz .LBB14_36
; %bb.35:
	v_cmp_eq_u32_e32 vcc_lo, 1, v0
	ds_load_b32 v65, v68
	v_cndmask_b32_e32 v64, v18, v19, vcc_lo
	v_cmp_eq_u32_e32 vcc_lo, 2, v0
	s_delay_alu instid0(VALU_DEP_2) | instskip(SKIP_1) | instid1(VALU_DEP_2)
	v_cndmask_b32_e32 v64, v64, v20, vcc_lo
	v_cmp_eq_u32_e32 vcc_lo, 3, v0
	v_cndmask_b32_e32 v64, v64, v21, vcc_lo
	v_cmp_eq_u32_e32 vcc_lo, 4, v0
	s_delay_alu instid0(VALU_DEP_2) | instskip(SKIP_1) | instid1(VALU_DEP_2)
	v_cndmask_b32_e32 v64, v64, v22, vcc_lo
	v_cmp_eq_u32_e32 vcc_lo, 5, v0
	;; [unrolled: 5-line block ×6, first 2 shown]
	v_cndmask_b32_e32 v64, v64, v31, vcc_lo
	v_cmp_eq_u32_e32 vcc_lo, 14, v0
	s_delay_alu instid0(VALU_DEP_2) | instskip(SKIP_1) | instid1(VALU_DEP_1)
	v_cndmask_b32_e32 v64, v64, v32, vcc_lo
	s_wait_dscnt 0x0
	v_mul_f32_e32 v67, v64, v65
	s_cbranch_execz .LBB14_37
	s_branch .LBB14_38
.LBB14_36:
                                        ; implicit-def: $vgpr67
.LBB14_37:
	ds_load_b32 v67, v68
.LBB14_38:
	s_and_saveexec_b32 s5, s1
	s_cbranch_execz .LBB14_48
; %bb.39:
	v_dual_add_nc_u32 v64, -12, v0 :: v_dual_add_nc_u32 v65, -11, v0
	s_delay_alu instid0(VALU_DEP_1)
	v_cmp_lt_u32_e32 vcc_lo, 6, v64
	v_mov_b32_e32 v64, 11
	s_and_saveexec_b32 s1, vcc_lo
	s_cbranch_execz .LBB14_43
; %bb.40:
	v_and_b32_e32 v64, -8, v65
	s_mov_b32 s6, 0
	s_mov_b64 s[2:3], 18
	s_movk_i32 s7, 0x6c
	s_delay_alu instid0(VALU_DEP_1)
	v_sub_nc_u32_e32 v66, 0, v64
.LBB14_41:                              ; =>This Inner Loop Header: Depth=1
	s_add_co_i32 m0, s2, -7
	v_movrels_b32_e32 v69, v18
	v_mov_b32_e32 v64, s7
	s_add_co_i32 m0, s2, -6
	s_add_co_i32 s7, s7, 32
	v_movrels_b32_e32 v78, v18
	ds_load_2addr_b32 v[70:71], v64 offset1:1
	ds_load_2addr_b32 v[72:73], v64 offset0:2 offset1:3
	s_add_co_i32 m0, s2, -5
	s_wait_dscnt 0x1
	v_fmac_f32_e32 v67, v69, v70
	ds_load_2addr_b32 v[74:75], v64 offset0:4 offset1:5
	ds_load_2addr_b32 v[76:77], v64 offset0:6 offset1:7
	v_movrels_b32_e32 v64, v18
	s_add_co_i32 m0, s2, -4
	v_fmac_f32_e32 v67, v78, v71
	v_movrels_b32_e32 v69, v18
	s_add_co_i32 m0, s2, -3
	s_wait_dscnt 0x2
	s_delay_alu instid0(VALU_DEP_2) | instskip(SKIP_2) | instid1(VALU_DEP_2)
	v_fmac_f32_e32 v67, v64, v72
	v_movrels_b32_e32 v64, v18
	s_add_co_i32 m0, s2, -2
	v_fmac_f32_e32 v67, v69, v73
	v_movrels_b32_e32 v69, v18
	s_add_co_i32 m0, s2, -1
	s_wait_dscnt 0x1
	s_delay_alu instid0(VALU_DEP_2)
	v_fmac_f32_e32 v67, v64, v74
	v_movrels_b32_e32 v64, v18
	s_mov_b32 m0, s2
	s_add_nc_u64 s[2:3], s[2:3], 8
	v_movrels_b32_e32 v70, v18
	v_dual_fmac_f32 v67, v69, v75 :: v_dual_add_nc_u32 v69, s2, v66
	s_add_co_i32 s8, s2, -7
	s_wait_dscnt 0x0
	s_delay_alu instid0(VALU_DEP_1) | instskip(NEXT) | instid1(VALU_DEP_2)
	v_fmac_f32_e32 v67, v64, v76
	v_cmp_eq_u32_e32 vcc_lo, 18, v69
	s_delay_alu instid0(VALU_DEP_2) | instskip(SKIP_1) | instid1(SALU_CYCLE_1)
	v_dual_mov_b32 v64, s8 :: v_dual_fmac_f32 v67, v70, v77
	s_or_b32 s6, vcc_lo, s6
	s_and_not1_b32 exec_lo, exec_lo, s6
	s_cbranch_execnz .LBB14_41
; %bb.42:
	s_or_b32 exec_lo, exec_lo, s6
.LBB14_43:
	s_delay_alu instid0(SALU_CYCLE_1) | instskip(SKIP_3) | instid1(VALU_DEP_1)
	s_or_b32 exec_lo, exec_lo, s1
	v_and_b32_e32 v33, 7, v65
	s_mov_b32 s2, 0
	s_mov_b32 s1, exec_lo
	v_cmpx_ne_u32_e32 0, v33
	s_cbranch_execz .LBB14_47
; %bb.44:
	v_lshl_add_u32 v66, v64, 2, 64
	v_mov_b32_e32 v65, 0
.LBB14_45:                              ; =>This Inner Loop Header: Depth=1
	v_cmp_eq_u32_e32 vcc_lo, 1, v64
	ds_load_b32 v70, v66
	v_dual_add_nc_u32 v33, -1, v33 :: v_dual_add_nc_u32 v66, 4, v66
	v_cndmask_b32_e32 v69, v18, v19, vcc_lo
	v_cmp_eq_u32_e32 vcc_lo, 2, v64
	s_delay_alu instid0(VALU_DEP_2) | instskip(SKIP_1) | instid1(VALU_DEP_2)
	v_cndmask_b32_e32 v69, v69, v20, vcc_lo
	v_cmp_eq_u32_e32 vcc_lo, 3, v64
	v_cndmask_b32_e32 v69, v69, v21, vcc_lo
	v_cmp_eq_u32_e32 vcc_lo, 4, v64
	s_delay_alu instid0(VALU_DEP_2) | instskip(SKIP_1) | instid1(VALU_DEP_2)
	v_cndmask_b32_e32 v69, v69, v22, vcc_lo
	v_cmp_eq_u32_e32 vcc_lo, 5, v64
	;; [unrolled: 5-line block ×6, first 2 shown]
	v_cndmask_b32_e32 v69, v69, v31, vcc_lo
	v_cmp_eq_u32_e32 vcc_lo, 14, v64
	v_add_nc_u64_e32 v[64:65], 1, v[64:65]
	s_delay_alu instid0(VALU_DEP_3) | instskip(SKIP_2) | instid1(VALU_DEP_2)
	v_cndmask_b32_e32 v69, v69, v32, vcc_lo
	v_cmp_eq_u32_e32 vcc_lo, 0, v33
	s_wait_dscnt 0x0
	v_fmac_f32_e32 v67, v69, v70
	s_or_b32 s2, vcc_lo, s2
	s_delay_alu instid0(SALU_CYCLE_1)
	s_and_not1_b32 exec_lo, exec_lo, s2
	s_cbranch_execnz .LBB14_45
; %bb.46:
	s_or_b32 exec_lo, exec_lo, s2
.LBB14_47:
	s_delay_alu instid0(SALU_CYCLE_1)
	s_or_b32 exec_lo, exec_lo, s1
.LBB14_48:
	s_delay_alu instid0(SALU_CYCLE_1)
	s_or_b32 exec_lo, exec_lo, s5
	v_mov_b32_e32 v28, 0
	ds_load_b32 v28, v28 offset:40
	s_wait_dscnt 0x0
	v_mul_f32_e32 v28, v67, v28
.LBB14_49:
	s_or_b32 exec_lo, exec_lo, s4
	v_cmp_lt_u32_e64 s1, 9, v0
	ds_store_b32 v68, v27
	s_wait_dscnt 0x0
	s_barrier_signal -1
	s_barrier_wait -1
	s_and_saveexec_b32 s4, s1
	s_cbranch_execz .LBB14_65
; %bb.50:
	s_and_not1_b32 vcc_lo, exec_lo, s15
	s_cbranch_vccnz .LBB14_52
; %bb.51:
	v_cmp_eq_u32_e32 vcc_lo, 1, v0
	ds_load_b32 v65, v68
	v_cndmask_b32_e32 v64, v18, v19, vcc_lo
	v_cmp_eq_u32_e32 vcc_lo, 2, v0
	s_delay_alu instid0(VALU_DEP_2) | instskip(SKIP_1) | instid1(VALU_DEP_2)
	v_cndmask_b32_e32 v64, v64, v20, vcc_lo
	v_cmp_eq_u32_e32 vcc_lo, 3, v0
	v_cndmask_b32_e32 v64, v64, v21, vcc_lo
	v_cmp_eq_u32_e32 vcc_lo, 4, v0
	s_delay_alu instid0(VALU_DEP_2) | instskip(SKIP_1) | instid1(VALU_DEP_2)
	v_cndmask_b32_e32 v64, v64, v22, vcc_lo
	v_cmp_eq_u32_e32 vcc_lo, 5, v0
	v_cndmask_b32_e32 v64, v64, v23, vcc_lo
	v_cmp_eq_u32_e32 vcc_lo, 6, v0
	s_delay_alu instid0(VALU_DEP_2) | instskip(SKIP_1) | instid1(VALU_DEP_2)
	v_cndmask_b32_e32 v64, v64, v24, vcc_lo
	v_cmp_eq_u32_e32 vcc_lo, 7, v0
	v_cndmask_b32_e32 v64, v64, v25, vcc_lo
	v_cmp_eq_u32_e32 vcc_lo, 8, v0
	s_delay_alu instid0(VALU_DEP_2) | instskip(SKIP_1) | instid1(VALU_DEP_2)
	v_cndmask_b32_e32 v64, v64, v26, vcc_lo
	v_cmp_eq_u32_e32 vcc_lo, 9, v0
	v_cndmask_b32_e32 v64, v64, v27, vcc_lo
	v_cmp_eq_u32_e32 vcc_lo, 10, v0
	s_delay_alu instid0(VALU_DEP_2) | instskip(SKIP_1) | instid1(VALU_DEP_2)
	v_cndmask_b32_e32 v64, v64, v28, vcc_lo
	v_cmp_eq_u32_e32 vcc_lo, 11, v0
	v_cndmask_b32_e32 v64, v64, v29, vcc_lo
	v_cmp_eq_u32_e32 vcc_lo, 12, v0
	s_delay_alu instid0(VALU_DEP_2) | instskip(SKIP_1) | instid1(VALU_DEP_2)
	v_cndmask_b32_e32 v64, v64, v30, vcc_lo
	v_cmp_eq_u32_e32 vcc_lo, 13, v0
	v_cndmask_b32_e32 v64, v64, v31, vcc_lo
	v_cmp_eq_u32_e32 vcc_lo, 14, v0
	s_delay_alu instid0(VALU_DEP_2) | instskip(SKIP_1) | instid1(VALU_DEP_1)
	v_cndmask_b32_e32 v64, v64, v32, vcc_lo
	s_wait_dscnt 0x0
	v_mul_f32_e32 v67, v64, v65
	s_cbranch_execz .LBB14_53
	s_branch .LBB14_54
.LBB14_52:
                                        ; implicit-def: $vgpr67
.LBB14_53:
	ds_load_b32 v67, v68
.LBB14_54:
	s_and_saveexec_b32 s5, s0
	s_cbranch_execz .LBB14_64
; %bb.55:
	v_dual_add_nc_u32 v64, -11, v0 :: v_dual_add_nc_u32 v65, -10, v0
	s_delay_alu instid0(VALU_DEP_1)
	v_cmp_lt_u32_e32 vcc_lo, 6, v64
	v_mov_b32_e32 v64, 10
	s_and_saveexec_b32 s0, vcc_lo
	s_cbranch_execz .LBB14_59
; %bb.56:
	v_and_b32_e32 v64, -8, v65
	s_mov_b32 s6, 0
	s_mov_b64 s[2:3], 17
	s_movk_i32 s7, 0x68
	s_delay_alu instid0(VALU_DEP_1)
	v_sub_nc_u32_e32 v66, 0, v64
.LBB14_57:                              ; =>This Inner Loop Header: Depth=1
	s_add_co_i32 m0, s2, -7
	v_movrels_b32_e32 v69, v18
	v_mov_b32_e32 v64, s7
	s_add_co_i32 m0, s2, -6
	s_add_co_i32 s7, s7, 32
	v_movrels_b32_e32 v78, v18
	s_add_co_i32 m0, s2, -5
	ds_load_2addr_b64 v[70:73], v64 offset1:1
	ds_load_2addr_b64 v[74:77], v64 offset0:2 offset1:3
	v_movrels_b32_e32 v64, v18
	s_add_co_i32 m0, s2, -4
	s_wait_dscnt 0x1
	v_fmac_f32_e32 v67, v69, v70
	v_movrels_b32_e32 v69, v18
	s_add_co_i32 m0, s2, -3
	s_delay_alu instid0(VALU_DEP_2) | instskip(NEXT) | instid1(VALU_DEP_1)
	v_fmac_f32_e32 v67, v78, v71
	v_fmac_f32_e32 v67, v64, v72
	v_movrels_b32_e32 v64, v18
	s_add_co_i32 m0, s2, -2
	s_delay_alu instid0(VALU_DEP_2) | instskip(SKIP_3) | instid1(VALU_DEP_2)
	v_fmac_f32_e32 v67, v69, v73
	v_movrels_b32_e32 v69, v18
	s_add_co_i32 m0, s2, -1
	s_wait_dscnt 0x0
	v_fmac_f32_e32 v67, v64, v74
	v_movrels_b32_e32 v64, v18
	s_mov_b32 m0, s2
	s_add_nc_u64 s[2:3], s[2:3], 8
	v_movrels_b32_e32 v70, v18
	v_dual_fmac_f32 v67, v69, v75 :: v_dual_add_nc_u32 v69, s2, v66
	s_add_co_i32 s8, s2, -7
	s_delay_alu instid0(VALU_DEP_1) | instskip(NEXT) | instid1(VALU_DEP_2)
	v_fmac_f32_e32 v67, v64, v76
	v_cmp_eq_u32_e32 vcc_lo, 17, v69
	s_delay_alu instid0(VALU_DEP_2) | instskip(SKIP_1) | instid1(SALU_CYCLE_1)
	v_dual_mov_b32 v64, s8 :: v_dual_fmac_f32 v67, v70, v77
	s_or_b32 s6, vcc_lo, s6
	s_and_not1_b32 exec_lo, exec_lo, s6
	s_cbranch_execnz .LBB14_57
; %bb.58:
	s_or_b32 exec_lo, exec_lo, s6
.LBB14_59:
	s_delay_alu instid0(SALU_CYCLE_1) | instskip(SKIP_3) | instid1(VALU_DEP_1)
	s_or_b32 exec_lo, exec_lo, s0
	v_and_b32_e32 v33, 7, v65
	s_mov_b32 s2, 0
	s_mov_b32 s0, exec_lo
	v_cmpx_ne_u32_e32 0, v33
	s_cbranch_execz .LBB14_63
; %bb.60:
	v_lshl_add_u32 v66, v64, 2, 64
	v_mov_b32_e32 v65, 0
.LBB14_61:                              ; =>This Inner Loop Header: Depth=1
	v_cmp_eq_u32_e32 vcc_lo, 1, v64
	ds_load_b32 v70, v66
	v_dual_add_nc_u32 v33, -1, v33 :: v_dual_add_nc_u32 v66, 4, v66
	v_cndmask_b32_e32 v69, v18, v19, vcc_lo
	v_cmp_eq_u32_e32 vcc_lo, 2, v64
	s_delay_alu instid0(VALU_DEP_2) | instskip(SKIP_1) | instid1(VALU_DEP_2)
	v_cndmask_b32_e32 v69, v69, v20, vcc_lo
	v_cmp_eq_u32_e32 vcc_lo, 3, v64
	v_cndmask_b32_e32 v69, v69, v21, vcc_lo
	v_cmp_eq_u32_e32 vcc_lo, 4, v64
	s_delay_alu instid0(VALU_DEP_2) | instskip(SKIP_1) | instid1(VALU_DEP_2)
	v_cndmask_b32_e32 v69, v69, v22, vcc_lo
	v_cmp_eq_u32_e32 vcc_lo, 5, v64
	;; [unrolled: 5-line block ×6, first 2 shown]
	v_cndmask_b32_e32 v69, v69, v31, vcc_lo
	v_cmp_eq_u32_e32 vcc_lo, 14, v64
	v_add_nc_u64_e32 v[64:65], 1, v[64:65]
	s_delay_alu instid0(VALU_DEP_3) | instskip(SKIP_2) | instid1(VALU_DEP_2)
	v_cndmask_b32_e32 v69, v69, v32, vcc_lo
	v_cmp_eq_u32_e32 vcc_lo, 0, v33
	s_wait_dscnt 0x0
	v_fmac_f32_e32 v67, v69, v70
	s_or_b32 s2, vcc_lo, s2
	s_delay_alu instid0(SALU_CYCLE_1)
	s_and_not1_b32 exec_lo, exec_lo, s2
	s_cbranch_execnz .LBB14_61
; %bb.62:
	s_or_b32 exec_lo, exec_lo, s2
.LBB14_63:
	s_delay_alu instid0(SALU_CYCLE_1)
	s_or_b32 exec_lo, exec_lo, s0
.LBB14_64:
	s_delay_alu instid0(SALU_CYCLE_1)
	s_or_b32 exec_lo, exec_lo, s5
	v_mov_b32_e32 v27, 0
	ds_load_b32 v27, v27 offset:36
	s_wait_dscnt 0x0
	v_mul_f32_e32 v27, v67, v27
.LBB14_65:
	s_or_b32 exec_lo, exec_lo, s4
	v_cmp_lt_u32_e64 s0, 8, v0
	ds_store_b32 v68, v26
	s_wait_dscnt 0x0
	s_barrier_signal -1
	s_barrier_wait -1
	s_and_saveexec_b32 s4, s0
	s_cbranch_execz .LBB14_81
; %bb.66:
	s_and_not1_b32 vcc_lo, exec_lo, s15
	s_cbranch_vccnz .LBB14_68
; %bb.67:
	v_cmp_eq_u32_e32 vcc_lo, 1, v0
	ds_load_b32 v65, v68
	v_cndmask_b32_e32 v64, v18, v19, vcc_lo
	v_cmp_eq_u32_e32 vcc_lo, 2, v0
	s_delay_alu instid0(VALU_DEP_2) | instskip(SKIP_1) | instid1(VALU_DEP_2)
	v_cndmask_b32_e32 v64, v64, v20, vcc_lo
	v_cmp_eq_u32_e32 vcc_lo, 3, v0
	v_cndmask_b32_e32 v64, v64, v21, vcc_lo
	v_cmp_eq_u32_e32 vcc_lo, 4, v0
	s_delay_alu instid0(VALU_DEP_2) | instskip(SKIP_1) | instid1(VALU_DEP_2)
	v_cndmask_b32_e32 v64, v64, v22, vcc_lo
	v_cmp_eq_u32_e32 vcc_lo, 5, v0
	;; [unrolled: 5-line block ×6, first 2 shown]
	v_cndmask_b32_e32 v64, v64, v31, vcc_lo
	v_cmp_eq_u32_e32 vcc_lo, 14, v0
	s_delay_alu instid0(VALU_DEP_2) | instskip(SKIP_1) | instid1(VALU_DEP_1)
	v_cndmask_b32_e32 v64, v64, v32, vcc_lo
	s_wait_dscnt 0x0
	v_mul_f32_e32 v67, v64, v65
	s_cbranch_execz .LBB14_69
	s_branch .LBB14_70
.LBB14_68:
                                        ; implicit-def: $vgpr67
.LBB14_69:
	ds_load_b32 v67, v68
.LBB14_70:
	s_and_saveexec_b32 s5, s1
	s_cbranch_execz .LBB14_80
; %bb.71:
	v_dual_add_nc_u32 v64, -10, v0 :: v_dual_add_nc_u32 v65, -9, v0
	s_delay_alu instid0(VALU_DEP_1)
	v_cmp_lt_u32_e32 vcc_lo, 6, v64
	v_mov_b32_e32 v64, 9
	s_and_saveexec_b32 s1, vcc_lo
	s_cbranch_execz .LBB14_75
; %bb.72:
	v_and_b32_e32 v64, -8, v65
	s_mov_b32 s6, 0
	s_mov_b64 s[2:3], 16
	s_movk_i32 s7, 0x64
	s_delay_alu instid0(VALU_DEP_1)
	v_sub_nc_u32_e32 v66, 0, v64
.LBB14_73:                              ; =>This Inner Loop Header: Depth=1
	s_add_co_i32 m0, s2, -7
	v_movrels_b32_e32 v69, v18
	v_mov_b32_e32 v64, s7
	s_add_co_i32 m0, s2, -6
	s_add_co_i32 s7, s7, 32
	v_movrels_b32_e32 v78, v18
	ds_load_2addr_b32 v[70:71], v64 offset1:1
	ds_load_2addr_b32 v[72:73], v64 offset0:2 offset1:3
	s_add_co_i32 m0, s2, -5
	s_wait_dscnt 0x1
	v_fmac_f32_e32 v67, v69, v70
	ds_load_2addr_b32 v[74:75], v64 offset0:4 offset1:5
	ds_load_2addr_b32 v[76:77], v64 offset0:6 offset1:7
	v_movrels_b32_e32 v64, v18
	s_add_co_i32 m0, s2, -4
	v_fmac_f32_e32 v67, v78, v71
	v_movrels_b32_e32 v69, v18
	s_add_co_i32 m0, s2, -3
	s_wait_dscnt 0x2
	s_delay_alu instid0(VALU_DEP_2) | instskip(SKIP_2) | instid1(VALU_DEP_2)
	v_fmac_f32_e32 v67, v64, v72
	v_movrels_b32_e32 v64, v18
	s_add_co_i32 m0, s2, -2
	v_fmac_f32_e32 v67, v69, v73
	v_movrels_b32_e32 v69, v18
	s_add_co_i32 m0, s2, -1
	s_wait_dscnt 0x1
	s_delay_alu instid0(VALU_DEP_2)
	v_fmac_f32_e32 v67, v64, v74
	v_movrels_b32_e32 v64, v18
	s_mov_b32 m0, s2
	s_add_nc_u64 s[2:3], s[2:3], 8
	v_movrels_b32_e32 v70, v18
	v_dual_fmac_f32 v67, v69, v75 :: v_dual_add_nc_u32 v69, s2, v66
	s_add_co_i32 s8, s2, -7
	s_wait_dscnt 0x0
	s_delay_alu instid0(VALU_DEP_1) | instskip(NEXT) | instid1(VALU_DEP_2)
	v_fmac_f32_e32 v67, v64, v76
	v_cmp_eq_u32_e32 vcc_lo, 16, v69
	s_delay_alu instid0(VALU_DEP_2) | instskip(SKIP_1) | instid1(SALU_CYCLE_1)
	v_dual_mov_b32 v64, s8 :: v_dual_fmac_f32 v67, v70, v77
	s_or_b32 s6, vcc_lo, s6
	s_and_not1_b32 exec_lo, exec_lo, s6
	s_cbranch_execnz .LBB14_73
; %bb.74:
	s_or_b32 exec_lo, exec_lo, s6
.LBB14_75:
	s_delay_alu instid0(SALU_CYCLE_1) | instskip(SKIP_3) | instid1(VALU_DEP_1)
	s_or_b32 exec_lo, exec_lo, s1
	v_and_b32_e32 v33, 7, v65
	s_mov_b32 s2, 0
	s_mov_b32 s1, exec_lo
	v_cmpx_ne_u32_e32 0, v33
	s_cbranch_execz .LBB14_79
; %bb.76:
	v_lshl_add_u32 v66, v64, 2, 64
	v_mov_b32_e32 v65, 0
.LBB14_77:                              ; =>This Inner Loop Header: Depth=1
	v_cmp_eq_u32_e32 vcc_lo, 1, v64
	ds_load_b32 v70, v66
	v_dual_add_nc_u32 v33, -1, v33 :: v_dual_add_nc_u32 v66, 4, v66
	v_cndmask_b32_e32 v69, v18, v19, vcc_lo
	v_cmp_eq_u32_e32 vcc_lo, 2, v64
	s_delay_alu instid0(VALU_DEP_2) | instskip(SKIP_1) | instid1(VALU_DEP_2)
	v_cndmask_b32_e32 v69, v69, v20, vcc_lo
	v_cmp_eq_u32_e32 vcc_lo, 3, v64
	v_cndmask_b32_e32 v69, v69, v21, vcc_lo
	v_cmp_eq_u32_e32 vcc_lo, 4, v64
	s_delay_alu instid0(VALU_DEP_2) | instskip(SKIP_1) | instid1(VALU_DEP_2)
	v_cndmask_b32_e32 v69, v69, v22, vcc_lo
	v_cmp_eq_u32_e32 vcc_lo, 5, v64
	;; [unrolled: 5-line block ×6, first 2 shown]
	v_cndmask_b32_e32 v69, v69, v31, vcc_lo
	v_cmp_eq_u32_e32 vcc_lo, 14, v64
	v_add_nc_u64_e32 v[64:65], 1, v[64:65]
	s_delay_alu instid0(VALU_DEP_3) | instskip(SKIP_2) | instid1(VALU_DEP_2)
	v_cndmask_b32_e32 v69, v69, v32, vcc_lo
	v_cmp_eq_u32_e32 vcc_lo, 0, v33
	s_wait_dscnt 0x0
	v_fmac_f32_e32 v67, v69, v70
	s_or_b32 s2, vcc_lo, s2
	s_delay_alu instid0(SALU_CYCLE_1)
	s_and_not1_b32 exec_lo, exec_lo, s2
	s_cbranch_execnz .LBB14_77
; %bb.78:
	s_or_b32 exec_lo, exec_lo, s2
.LBB14_79:
	s_delay_alu instid0(SALU_CYCLE_1)
	s_or_b32 exec_lo, exec_lo, s1
.LBB14_80:
	s_delay_alu instid0(SALU_CYCLE_1)
	s_or_b32 exec_lo, exec_lo, s5
	v_mov_b32_e32 v26, 0
	ds_load_b32 v26, v26 offset:32
	s_wait_dscnt 0x0
	v_mul_f32_e32 v26, v67, v26
.LBB14_81:
	s_or_b32 exec_lo, exec_lo, s4
	v_cmp_lt_u32_e64 s1, 7, v0
	ds_store_b32 v68, v25
	s_wait_dscnt 0x0
	s_barrier_signal -1
	s_barrier_wait -1
	s_and_saveexec_b32 s4, s1
	s_cbranch_execz .LBB14_97
; %bb.82:
	s_and_not1_b32 vcc_lo, exec_lo, s15
	s_cbranch_vccnz .LBB14_84
; %bb.83:
	v_cmp_eq_u32_e32 vcc_lo, 1, v0
	ds_load_b32 v65, v68
	v_cndmask_b32_e32 v64, v18, v19, vcc_lo
	v_cmp_eq_u32_e32 vcc_lo, 2, v0
	s_delay_alu instid0(VALU_DEP_2) | instskip(SKIP_1) | instid1(VALU_DEP_2)
	v_cndmask_b32_e32 v64, v64, v20, vcc_lo
	v_cmp_eq_u32_e32 vcc_lo, 3, v0
	v_cndmask_b32_e32 v64, v64, v21, vcc_lo
	v_cmp_eq_u32_e32 vcc_lo, 4, v0
	s_delay_alu instid0(VALU_DEP_2) | instskip(SKIP_1) | instid1(VALU_DEP_2)
	v_cndmask_b32_e32 v64, v64, v22, vcc_lo
	v_cmp_eq_u32_e32 vcc_lo, 5, v0
	;; [unrolled: 5-line block ×6, first 2 shown]
	v_cndmask_b32_e32 v64, v64, v31, vcc_lo
	v_cmp_eq_u32_e32 vcc_lo, 14, v0
	s_delay_alu instid0(VALU_DEP_2) | instskip(SKIP_1) | instid1(VALU_DEP_1)
	v_cndmask_b32_e32 v64, v64, v32, vcc_lo
	s_wait_dscnt 0x0
	v_mul_f32_e32 v69, v64, v65
	s_cbranch_execz .LBB14_85
	s_branch .LBB14_86
.LBB14_84:
                                        ; implicit-def: $vgpr69
.LBB14_85:
	ds_load_b32 v69, v68
.LBB14_86:
	s_and_saveexec_b32 s5, s0
	s_cbranch_execz .LBB14_96
; %bb.87:
	v_add_nc_u32_e32 v64, -9, v0
	s_delay_alu instid0(VALU_DEP_1)
	v_cmp_lt_u32_e32 vcc_lo, 6, v64
	v_mov_b32_e32 v64, 8
	s_and_saveexec_b32 s0, vcc_lo
	s_cbranch_execz .LBB14_91
; %bb.88:
	v_bfe_u32 v64, v0, 3, 1
	v_mov_b32_e32 v65, 0
	s_mov_b64 s[2:3], 0xfffffff8
	s_movk_i32 s7, 0x60
	s_mov_b32 s6, 0
	s_delay_alu instid0(VALU_DEP_1)
	v_mul_u64_e32 v[66:67], s[2:3], v[64:65]
	s_mov_b64 s[2:3], 15
.LBB14_89:                              ; =>This Inner Loop Header: Depth=1
	s_delay_alu instid0(SALU_CYCLE_1)
	s_add_co_i32 m0, s2, -7
	v_movrels_b32_e32 v65, v18
	v_mov_b32_e32 v64, s7
	s_add_co_i32 m0, s2, -6
	s_add_co_i32 s7, s7, 32
	v_movrels_b32_e32 v67, v18
	s_add_co_i32 m0, s2, -5
	ds_load_b128 v[70:73], v64
	ds_load_b128 v[74:77], v64 offset:16
	v_movrels_b32_e32 v64, v18
	s_add_co_i32 m0, s2, -4
	s_wait_dscnt 0x1
	v_fmac_f32_e32 v69, v65, v70
	v_movrels_b32_e32 v65, v18
	s_add_co_i32 m0, s2, -3
	s_delay_alu instid0(VALU_DEP_2) | instskip(NEXT) | instid1(VALU_DEP_1)
	v_fmac_f32_e32 v69, v67, v71
	v_fmac_f32_e32 v69, v64, v72
	v_movrels_b32_e32 v64, v18
	s_add_co_i32 m0, s2, -2
	s_delay_alu instid0(VALU_DEP_2) | instskip(SKIP_3) | instid1(VALU_DEP_2)
	v_fmac_f32_e32 v69, v65, v73
	v_movrels_b32_e32 v65, v18
	s_add_co_i32 m0, s2, -1
	s_wait_dscnt 0x0
	v_fmac_f32_e32 v69, v64, v74
	v_movrels_b32_e32 v64, v18
	s_mov_b32 m0, s2
	s_add_nc_u64 s[2:3], s[2:3], 8
	v_movrels_b32_e32 v67, v18
	v_dual_fmac_f32 v69, v65, v75 :: v_dual_add_nc_u32 v65, s2, v66
	s_add_co_i32 s8, s2, -7
	s_delay_alu instid0(VALU_DEP_1) | instskip(NEXT) | instid1(VALU_DEP_2)
	v_fmac_f32_e32 v69, v64, v76
	v_cmp_eq_u32_e32 vcc_lo, 7, v65
	s_delay_alu instid0(VALU_DEP_2) | instskip(SKIP_1) | instid1(SALU_CYCLE_1)
	v_dual_mov_b32 v64, s8 :: v_dual_fmac_f32 v69, v67, v77
	s_or_b32 s6, vcc_lo, s6
	s_and_not1_b32 exec_lo, exec_lo, s6
	s_cbranch_execnz .LBB14_89
; %bb.90:
	s_or_b32 exec_lo, exec_lo, s6
.LBB14_91:
	s_delay_alu instid0(SALU_CYCLE_1) | instskip(SKIP_3) | instid1(VALU_DEP_1)
	s_or_b32 exec_lo, exec_lo, s0
	v_and_b32_e32 v33, 7, v0
	s_mov_b32 s2, 0
	s_mov_b32 s0, exec_lo
	v_cmpx_ne_u32_e32 0, v33
	s_cbranch_execz .LBB14_95
; %bb.92:
	v_lshl_add_u32 v66, v64, 2, 64
	v_mov_b32_e32 v65, 0
.LBB14_93:                              ; =>This Inner Loop Header: Depth=1
	v_cmp_eq_u32_e32 vcc_lo, 1, v64
	ds_load_b32 v70, v66
	v_dual_add_nc_u32 v33, -1, v33 :: v_dual_add_nc_u32 v66, 4, v66
	v_cndmask_b32_e32 v67, v18, v19, vcc_lo
	v_cmp_eq_u32_e32 vcc_lo, 2, v64
	s_delay_alu instid0(VALU_DEP_2) | instskip(SKIP_1) | instid1(VALU_DEP_2)
	v_cndmask_b32_e32 v67, v67, v20, vcc_lo
	v_cmp_eq_u32_e32 vcc_lo, 3, v64
	v_cndmask_b32_e32 v67, v67, v21, vcc_lo
	v_cmp_eq_u32_e32 vcc_lo, 4, v64
	s_delay_alu instid0(VALU_DEP_2) | instskip(SKIP_1) | instid1(VALU_DEP_2)
	v_cndmask_b32_e32 v67, v67, v22, vcc_lo
	v_cmp_eq_u32_e32 vcc_lo, 5, v64
	;; [unrolled: 5-line block ×6, first 2 shown]
	v_cndmask_b32_e32 v67, v67, v31, vcc_lo
	v_cmp_eq_u32_e32 vcc_lo, 14, v64
	v_add_nc_u64_e32 v[64:65], 1, v[64:65]
	s_delay_alu instid0(VALU_DEP_3) | instskip(SKIP_2) | instid1(VALU_DEP_2)
	v_cndmask_b32_e32 v67, v67, v32, vcc_lo
	v_cmp_eq_u32_e32 vcc_lo, 0, v33
	s_wait_dscnt 0x0
	v_fmac_f32_e32 v69, v67, v70
	s_or_b32 s2, vcc_lo, s2
	s_delay_alu instid0(SALU_CYCLE_1)
	s_and_not1_b32 exec_lo, exec_lo, s2
	s_cbranch_execnz .LBB14_93
; %bb.94:
	s_or_b32 exec_lo, exec_lo, s2
.LBB14_95:
	s_delay_alu instid0(SALU_CYCLE_1)
	s_or_b32 exec_lo, exec_lo, s0
.LBB14_96:
	s_delay_alu instid0(SALU_CYCLE_1)
	s_or_b32 exec_lo, exec_lo, s5
	v_mov_b32_e32 v25, 0
	ds_load_b32 v25, v25 offset:28
	s_wait_dscnt 0x0
	v_mul_f32_e32 v25, v69, v25
.LBB14_97:
	s_or_b32 exec_lo, exec_lo, s4
	v_cmp_lt_u32_e64 s0, 6, v0
	ds_store_b32 v68, v24
	s_wait_dscnt 0x0
	s_barrier_signal -1
	s_barrier_wait -1
	s_and_saveexec_b32 s4, s0
	s_cbranch_execz .LBB14_113
; %bb.98:
	s_and_not1_b32 vcc_lo, exec_lo, s15
	s_cbranch_vccnz .LBB14_100
; %bb.99:
	v_cmp_eq_u32_e32 vcc_lo, 1, v0
	ds_load_b32 v65, v68
	v_cndmask_b32_e32 v64, v18, v19, vcc_lo
	v_cmp_eq_u32_e32 vcc_lo, 2, v0
	s_delay_alu instid0(VALU_DEP_2) | instskip(SKIP_1) | instid1(VALU_DEP_2)
	v_cndmask_b32_e32 v64, v64, v20, vcc_lo
	v_cmp_eq_u32_e32 vcc_lo, 3, v0
	v_cndmask_b32_e32 v64, v64, v21, vcc_lo
	v_cmp_eq_u32_e32 vcc_lo, 4, v0
	s_delay_alu instid0(VALU_DEP_2) | instskip(SKIP_1) | instid1(VALU_DEP_2)
	v_cndmask_b32_e32 v64, v64, v22, vcc_lo
	v_cmp_eq_u32_e32 vcc_lo, 5, v0
	;; [unrolled: 5-line block ×6, first 2 shown]
	v_cndmask_b32_e32 v64, v64, v31, vcc_lo
	v_cmp_eq_u32_e32 vcc_lo, 14, v0
	s_delay_alu instid0(VALU_DEP_2) | instskip(SKIP_1) | instid1(VALU_DEP_1)
	v_cndmask_b32_e32 v64, v64, v32, vcc_lo
	s_wait_dscnt 0x0
	v_mul_f32_e32 v67, v64, v65
	s_cbranch_execz .LBB14_101
	s_branch .LBB14_102
.LBB14_100:
                                        ; implicit-def: $vgpr67
.LBB14_101:
	ds_load_b32 v67, v68
.LBB14_102:
	s_and_saveexec_b32 s5, s1
	s_cbranch_execz .LBB14_112
; %bb.103:
	v_dual_add_nc_u32 v64, -8, v0 :: v_dual_add_nc_u32 v65, -7, v0
	s_delay_alu instid0(VALU_DEP_1)
	v_cmp_lt_u32_e32 vcc_lo, 6, v64
	v_mov_b32_e32 v64, 7
	s_and_saveexec_b32 s1, vcc_lo
	s_cbranch_execz .LBB14_107
; %bb.104:
	v_and_b32_e32 v64, -8, v65
	s_mov_b32 s6, 0
	s_mov_b64 s[2:3], 14
	s_movk_i32 s7, 0x5c
	s_delay_alu instid0(VALU_DEP_1)
	v_sub_nc_u32_e32 v66, 0, v64
.LBB14_105:                             ; =>This Inner Loop Header: Depth=1
	s_add_co_i32 m0, s2, -7
	v_movrels_b32_e32 v69, v18
	v_mov_b32_e32 v64, s7
	s_add_co_i32 m0, s2, -6
	s_add_co_i32 s7, s7, 32
	v_movrels_b32_e32 v78, v18
	ds_load_2addr_b32 v[70:71], v64 offset1:1
	ds_load_2addr_b32 v[72:73], v64 offset0:2 offset1:3
	s_add_co_i32 m0, s2, -5
	s_wait_dscnt 0x1
	v_fmac_f32_e32 v67, v69, v70
	ds_load_2addr_b32 v[74:75], v64 offset0:4 offset1:5
	ds_load_2addr_b32 v[76:77], v64 offset0:6 offset1:7
	v_movrels_b32_e32 v64, v18
	s_add_co_i32 m0, s2, -4
	v_fmac_f32_e32 v67, v78, v71
	v_movrels_b32_e32 v69, v18
	s_add_co_i32 m0, s2, -3
	s_wait_dscnt 0x2
	s_delay_alu instid0(VALU_DEP_2) | instskip(SKIP_2) | instid1(VALU_DEP_2)
	v_fmac_f32_e32 v67, v64, v72
	v_movrels_b32_e32 v64, v18
	s_add_co_i32 m0, s2, -2
	v_fmac_f32_e32 v67, v69, v73
	v_movrels_b32_e32 v69, v18
	s_add_co_i32 m0, s2, -1
	s_wait_dscnt 0x1
	s_delay_alu instid0(VALU_DEP_2)
	v_fmac_f32_e32 v67, v64, v74
	v_movrels_b32_e32 v64, v18
	s_mov_b32 m0, s2
	s_add_nc_u64 s[2:3], s[2:3], 8
	v_movrels_b32_e32 v70, v18
	v_dual_fmac_f32 v67, v69, v75 :: v_dual_add_nc_u32 v69, s2, v66
	s_add_co_i32 s8, s2, -7
	s_wait_dscnt 0x0
	s_delay_alu instid0(VALU_DEP_1) | instskip(NEXT) | instid1(VALU_DEP_2)
	v_fmac_f32_e32 v67, v64, v76
	v_cmp_eq_u32_e32 vcc_lo, 14, v69
	s_delay_alu instid0(VALU_DEP_2) | instskip(SKIP_1) | instid1(SALU_CYCLE_1)
	v_dual_mov_b32 v64, s8 :: v_dual_fmac_f32 v67, v70, v77
	s_or_b32 s6, vcc_lo, s6
	s_and_not1_b32 exec_lo, exec_lo, s6
	s_cbranch_execnz .LBB14_105
; %bb.106:
	s_or_b32 exec_lo, exec_lo, s6
.LBB14_107:
	s_delay_alu instid0(SALU_CYCLE_1) | instskip(SKIP_3) | instid1(VALU_DEP_1)
	s_or_b32 exec_lo, exec_lo, s1
	v_and_b32_e32 v33, 7, v65
	s_mov_b32 s2, 0
	s_mov_b32 s1, exec_lo
	v_cmpx_ne_u32_e32 0, v33
	s_cbranch_execz .LBB14_111
; %bb.108:
	v_lshl_add_u32 v66, v64, 2, 64
	v_mov_b32_e32 v65, 0
.LBB14_109:                             ; =>This Inner Loop Header: Depth=1
	v_cmp_eq_u32_e32 vcc_lo, 1, v64
	ds_load_b32 v70, v66
	v_dual_add_nc_u32 v33, -1, v33 :: v_dual_add_nc_u32 v66, 4, v66
	v_cndmask_b32_e32 v69, v18, v19, vcc_lo
	v_cmp_eq_u32_e32 vcc_lo, 2, v64
	s_delay_alu instid0(VALU_DEP_2) | instskip(SKIP_1) | instid1(VALU_DEP_2)
	v_cndmask_b32_e32 v69, v69, v20, vcc_lo
	v_cmp_eq_u32_e32 vcc_lo, 3, v64
	v_cndmask_b32_e32 v69, v69, v21, vcc_lo
	v_cmp_eq_u32_e32 vcc_lo, 4, v64
	s_delay_alu instid0(VALU_DEP_2) | instskip(SKIP_1) | instid1(VALU_DEP_2)
	v_cndmask_b32_e32 v69, v69, v22, vcc_lo
	v_cmp_eq_u32_e32 vcc_lo, 5, v64
	;; [unrolled: 5-line block ×6, first 2 shown]
	v_cndmask_b32_e32 v69, v69, v31, vcc_lo
	v_cmp_eq_u32_e32 vcc_lo, 14, v64
	v_add_nc_u64_e32 v[64:65], 1, v[64:65]
	s_delay_alu instid0(VALU_DEP_3) | instskip(SKIP_2) | instid1(VALU_DEP_2)
	v_cndmask_b32_e32 v69, v69, v32, vcc_lo
	v_cmp_eq_u32_e32 vcc_lo, 0, v33
	s_wait_dscnt 0x0
	v_fmac_f32_e32 v67, v69, v70
	s_or_b32 s2, vcc_lo, s2
	s_delay_alu instid0(SALU_CYCLE_1)
	s_and_not1_b32 exec_lo, exec_lo, s2
	s_cbranch_execnz .LBB14_109
; %bb.110:
	s_or_b32 exec_lo, exec_lo, s2
.LBB14_111:
	s_delay_alu instid0(SALU_CYCLE_1)
	s_or_b32 exec_lo, exec_lo, s1
.LBB14_112:
	s_delay_alu instid0(SALU_CYCLE_1)
	s_or_b32 exec_lo, exec_lo, s5
	v_mov_b32_e32 v24, 0
	ds_load_b32 v24, v24 offset:24
	s_wait_dscnt 0x0
	v_mul_f32_e32 v24, v67, v24
.LBB14_113:
	s_or_b32 exec_lo, exec_lo, s4
	v_cmp_lt_u32_e64 s1, 5, v0
	ds_store_b32 v68, v23
	s_wait_dscnt 0x0
	s_barrier_signal -1
	s_barrier_wait -1
	s_and_saveexec_b32 s4, s1
	s_cbranch_execz .LBB14_129
; %bb.114:
	s_and_not1_b32 vcc_lo, exec_lo, s15
	s_cbranch_vccnz .LBB14_116
; %bb.115:
	v_cmp_eq_u32_e32 vcc_lo, 1, v0
	ds_load_b32 v65, v68
	v_cndmask_b32_e32 v64, v18, v19, vcc_lo
	v_cmp_eq_u32_e32 vcc_lo, 2, v0
	s_delay_alu instid0(VALU_DEP_2) | instskip(SKIP_1) | instid1(VALU_DEP_2)
	v_cndmask_b32_e32 v64, v64, v20, vcc_lo
	v_cmp_eq_u32_e32 vcc_lo, 3, v0
	v_cndmask_b32_e32 v64, v64, v21, vcc_lo
	v_cmp_eq_u32_e32 vcc_lo, 4, v0
	s_delay_alu instid0(VALU_DEP_2) | instskip(SKIP_1) | instid1(VALU_DEP_2)
	v_cndmask_b32_e32 v64, v64, v22, vcc_lo
	v_cmp_eq_u32_e32 vcc_lo, 5, v0
	;; [unrolled: 5-line block ×6, first 2 shown]
	v_cndmask_b32_e32 v64, v64, v31, vcc_lo
	v_cmp_eq_u32_e32 vcc_lo, 14, v0
	s_delay_alu instid0(VALU_DEP_2) | instskip(SKIP_1) | instid1(VALU_DEP_1)
	v_cndmask_b32_e32 v64, v64, v32, vcc_lo
	s_wait_dscnt 0x0
	v_mul_f32_e32 v67, v64, v65
	s_cbranch_execz .LBB14_117
	s_branch .LBB14_118
.LBB14_116:
                                        ; implicit-def: $vgpr67
.LBB14_117:
	ds_load_b32 v67, v68
.LBB14_118:
	s_and_saveexec_b32 s5, s0
	s_cbranch_execz .LBB14_128
; %bb.119:
	v_dual_add_nc_u32 v66, -7, v0 :: v_dual_add_nc_u32 v65, -6, v0
	v_mov_b32_e32 v64, 6
	s_mov_b32 s0, exec_lo
	s_delay_alu instid0(VALU_DEP_2)
	v_cmpx_lt_u32_e32 6, v66
	s_cbranch_execz .LBB14_123
; %bb.120:
	v_and_b32_e32 v64, -8, v65
	s_mov_b32 s6, 0
	s_mov_b64 s[2:3], 13
	s_movk_i32 s7, 0x58
	s_delay_alu instid0(VALU_DEP_1)
	v_sub_nc_u32_e32 v66, 0, v64
.LBB14_121:                             ; =>This Inner Loop Header: Depth=1
	s_add_co_i32 m0, s2, -7
	v_movrels_b32_e32 v69, v18
	v_mov_b32_e32 v64, s7
	s_add_co_i32 m0, s2, -6
	s_add_co_i32 s7, s7, 32
	v_movrels_b32_e32 v78, v18
	s_add_co_i32 m0, s2, -5
	ds_load_2addr_b64 v[70:73], v64 offset1:1
	ds_load_2addr_b64 v[74:77], v64 offset0:2 offset1:3
	v_movrels_b32_e32 v64, v18
	s_add_co_i32 m0, s2, -4
	s_wait_dscnt 0x1
	v_fmac_f32_e32 v67, v69, v70
	v_movrels_b32_e32 v69, v18
	s_add_co_i32 m0, s2, -3
	s_delay_alu instid0(VALU_DEP_2) | instskip(NEXT) | instid1(VALU_DEP_1)
	v_fmac_f32_e32 v67, v78, v71
	v_fmac_f32_e32 v67, v64, v72
	v_movrels_b32_e32 v64, v18
	s_add_co_i32 m0, s2, -2
	s_delay_alu instid0(VALU_DEP_2) | instskip(SKIP_3) | instid1(VALU_DEP_2)
	v_fmac_f32_e32 v67, v69, v73
	v_movrels_b32_e32 v69, v18
	s_add_co_i32 m0, s2, -1
	s_wait_dscnt 0x0
	v_fmac_f32_e32 v67, v64, v74
	v_movrels_b32_e32 v64, v18
	s_mov_b32 m0, s2
	s_add_nc_u64 s[2:3], s[2:3], 8
	v_movrels_b32_e32 v70, v18
	v_dual_fmac_f32 v67, v69, v75 :: v_dual_add_nc_u32 v69, s2, v66
	s_add_co_i32 s8, s2, -7
	s_delay_alu instid0(VALU_DEP_1) | instskip(NEXT) | instid1(VALU_DEP_2)
	v_fmac_f32_e32 v67, v64, v76
	v_cmp_eq_u32_e32 vcc_lo, 13, v69
	s_delay_alu instid0(VALU_DEP_2) | instskip(SKIP_1) | instid1(SALU_CYCLE_1)
	v_dual_mov_b32 v64, s8 :: v_dual_fmac_f32 v67, v70, v77
	s_or_b32 s6, vcc_lo, s6
	s_and_not1_b32 exec_lo, exec_lo, s6
	s_cbranch_execnz .LBB14_121
; %bb.122:
	s_or_b32 exec_lo, exec_lo, s6
.LBB14_123:
	s_delay_alu instid0(SALU_CYCLE_1) | instskip(SKIP_3) | instid1(VALU_DEP_1)
	s_or_b32 exec_lo, exec_lo, s0
	v_and_b32_e32 v33, 7, v65
	s_mov_b32 s2, 0
	s_mov_b32 s0, exec_lo
	v_cmpx_ne_u32_e32 0, v33
	s_cbranch_execz .LBB14_127
; %bb.124:
	v_lshl_add_u32 v66, v64, 2, 64
	v_mov_b32_e32 v65, 0
.LBB14_125:                             ; =>This Inner Loop Header: Depth=1
	v_cmp_eq_u32_e32 vcc_lo, 1, v64
	ds_load_b32 v70, v66
	v_dual_add_nc_u32 v33, -1, v33 :: v_dual_add_nc_u32 v66, 4, v66
	v_cndmask_b32_e32 v69, v18, v19, vcc_lo
	v_cmp_eq_u32_e32 vcc_lo, 2, v64
	s_delay_alu instid0(VALU_DEP_2) | instskip(SKIP_1) | instid1(VALU_DEP_2)
	v_cndmask_b32_e32 v69, v69, v20, vcc_lo
	v_cmp_eq_u32_e32 vcc_lo, 3, v64
	v_cndmask_b32_e32 v69, v69, v21, vcc_lo
	v_cmp_eq_u32_e32 vcc_lo, 4, v64
	s_delay_alu instid0(VALU_DEP_2) | instskip(SKIP_1) | instid1(VALU_DEP_2)
	v_cndmask_b32_e32 v69, v69, v22, vcc_lo
	v_cmp_eq_u32_e32 vcc_lo, 5, v64
	;; [unrolled: 5-line block ×6, first 2 shown]
	v_cndmask_b32_e32 v69, v69, v31, vcc_lo
	v_cmp_eq_u32_e32 vcc_lo, 14, v64
	v_add_nc_u64_e32 v[64:65], 1, v[64:65]
	s_delay_alu instid0(VALU_DEP_3) | instskip(SKIP_2) | instid1(VALU_DEP_2)
	v_cndmask_b32_e32 v69, v69, v32, vcc_lo
	v_cmp_eq_u32_e32 vcc_lo, 0, v33
	s_wait_dscnt 0x0
	v_fmac_f32_e32 v67, v69, v70
	s_or_b32 s2, vcc_lo, s2
	s_delay_alu instid0(SALU_CYCLE_1)
	s_and_not1_b32 exec_lo, exec_lo, s2
	s_cbranch_execnz .LBB14_125
; %bb.126:
	s_or_b32 exec_lo, exec_lo, s2
.LBB14_127:
	s_delay_alu instid0(SALU_CYCLE_1)
	s_or_b32 exec_lo, exec_lo, s0
.LBB14_128:
	s_delay_alu instid0(SALU_CYCLE_1)
	s_or_b32 exec_lo, exec_lo, s5
	v_mov_b32_e32 v23, 0
	ds_load_b32 v23, v23 offset:20
	s_wait_dscnt 0x0
	v_mul_f32_e32 v23, v67, v23
.LBB14_129:
	s_or_b32 exec_lo, exec_lo, s4
	v_cmp_lt_u32_e64 s0, 4, v0
	ds_store_b32 v68, v22
	s_wait_dscnt 0x0
	s_barrier_signal -1
	s_barrier_wait -1
	s_and_saveexec_b32 s4, s0
	s_cbranch_execz .LBB14_145
; %bb.130:
	s_and_not1_b32 vcc_lo, exec_lo, s15
	s_cbranch_vccnz .LBB14_132
; %bb.131:
	v_cmp_eq_u32_e32 vcc_lo, 1, v0
	ds_load_b32 v65, v68
	v_cndmask_b32_e32 v64, v18, v19, vcc_lo
	v_cmp_eq_u32_e32 vcc_lo, 2, v0
	s_delay_alu instid0(VALU_DEP_2) | instskip(SKIP_1) | instid1(VALU_DEP_2)
	v_cndmask_b32_e32 v64, v64, v20, vcc_lo
	v_cmp_eq_u32_e32 vcc_lo, 3, v0
	v_cndmask_b32_e32 v64, v64, v21, vcc_lo
	v_cmp_eq_u32_e32 vcc_lo, 4, v0
	s_delay_alu instid0(VALU_DEP_2) | instskip(SKIP_1) | instid1(VALU_DEP_2)
	v_cndmask_b32_e32 v64, v64, v22, vcc_lo
	v_cmp_eq_u32_e32 vcc_lo, 5, v0
	;; [unrolled: 5-line block ×6, first 2 shown]
	v_cndmask_b32_e32 v64, v64, v31, vcc_lo
	v_cmp_eq_u32_e32 vcc_lo, 14, v0
	s_delay_alu instid0(VALU_DEP_2) | instskip(SKIP_1) | instid1(VALU_DEP_1)
	v_cndmask_b32_e32 v64, v64, v32, vcc_lo
	s_wait_dscnt 0x0
	v_mul_f32_e32 v67, v64, v65
	s_cbranch_execz .LBB14_133
	s_branch .LBB14_134
.LBB14_132:
                                        ; implicit-def: $vgpr67
.LBB14_133:
	ds_load_b32 v67, v68
.LBB14_134:
	s_and_saveexec_b32 s5, s1
	s_cbranch_execz .LBB14_144
; %bb.135:
	v_dual_add_nc_u32 v64, -6, v0 :: v_dual_add_nc_u32 v65, -5, v0
	s_delay_alu instid0(VALU_DEP_1)
	v_cmp_lt_u32_e32 vcc_lo, 6, v64
	v_mov_b32_e32 v64, 5
	s_and_saveexec_b32 s1, vcc_lo
	s_cbranch_execz .LBB14_139
; %bb.136:
	v_and_b32_e32 v64, -8, v65
	s_mov_b32 s6, 0
	s_mov_b64 s[2:3], 12
	s_movk_i32 s7, 0x54
	s_delay_alu instid0(VALU_DEP_1)
	v_sub_nc_u32_e32 v66, 0, v64
.LBB14_137:                             ; =>This Inner Loop Header: Depth=1
	s_add_co_i32 m0, s2, -7
	v_movrels_b32_e32 v69, v18
	v_mov_b32_e32 v64, s7
	s_add_co_i32 m0, s2, -6
	s_add_co_i32 s7, s7, 32
	v_movrels_b32_e32 v78, v18
	ds_load_2addr_b32 v[70:71], v64 offset1:1
	ds_load_2addr_b32 v[72:73], v64 offset0:2 offset1:3
	s_add_co_i32 m0, s2, -5
	s_wait_dscnt 0x1
	v_fmac_f32_e32 v67, v69, v70
	ds_load_2addr_b32 v[74:75], v64 offset0:4 offset1:5
	ds_load_2addr_b32 v[76:77], v64 offset0:6 offset1:7
	v_movrels_b32_e32 v64, v18
	s_add_co_i32 m0, s2, -4
	v_fmac_f32_e32 v67, v78, v71
	v_movrels_b32_e32 v69, v18
	s_add_co_i32 m0, s2, -3
	s_wait_dscnt 0x2
	s_delay_alu instid0(VALU_DEP_2) | instskip(SKIP_2) | instid1(VALU_DEP_2)
	v_fmac_f32_e32 v67, v64, v72
	v_movrels_b32_e32 v64, v18
	s_add_co_i32 m0, s2, -2
	v_fmac_f32_e32 v67, v69, v73
	v_movrels_b32_e32 v69, v18
	s_add_co_i32 m0, s2, -1
	s_wait_dscnt 0x1
	s_delay_alu instid0(VALU_DEP_2)
	v_fmac_f32_e32 v67, v64, v74
	v_movrels_b32_e32 v64, v18
	s_mov_b32 m0, s2
	s_add_nc_u64 s[2:3], s[2:3], 8
	v_movrels_b32_e32 v70, v18
	v_dual_fmac_f32 v67, v69, v75 :: v_dual_add_nc_u32 v69, s2, v66
	s_add_co_i32 s8, s2, -7
	s_wait_dscnt 0x0
	s_delay_alu instid0(VALU_DEP_1) | instskip(NEXT) | instid1(VALU_DEP_2)
	v_fmac_f32_e32 v67, v64, v76
	v_cmp_eq_u32_e32 vcc_lo, 12, v69
	s_delay_alu instid0(VALU_DEP_2) | instskip(SKIP_1) | instid1(SALU_CYCLE_1)
	v_dual_mov_b32 v64, s8 :: v_dual_fmac_f32 v67, v70, v77
	s_or_b32 s6, vcc_lo, s6
	s_and_not1_b32 exec_lo, exec_lo, s6
	s_cbranch_execnz .LBB14_137
; %bb.138:
	s_or_b32 exec_lo, exec_lo, s6
.LBB14_139:
	s_delay_alu instid0(SALU_CYCLE_1) | instskip(SKIP_3) | instid1(VALU_DEP_1)
	s_or_b32 exec_lo, exec_lo, s1
	v_and_b32_e32 v33, 7, v65
	s_mov_b32 s2, 0
	s_mov_b32 s1, exec_lo
	v_cmpx_ne_u32_e32 0, v33
	s_cbranch_execz .LBB14_143
; %bb.140:
	v_lshl_add_u32 v66, v64, 2, 64
	v_mov_b32_e32 v65, 0
.LBB14_141:                             ; =>This Inner Loop Header: Depth=1
	v_cmp_eq_u32_e32 vcc_lo, 1, v64
	ds_load_b32 v70, v66
	v_dual_add_nc_u32 v33, -1, v33 :: v_dual_add_nc_u32 v66, 4, v66
	v_cndmask_b32_e32 v69, v18, v19, vcc_lo
	v_cmp_eq_u32_e32 vcc_lo, 2, v64
	s_delay_alu instid0(VALU_DEP_2) | instskip(SKIP_1) | instid1(VALU_DEP_2)
	v_cndmask_b32_e32 v69, v69, v20, vcc_lo
	v_cmp_eq_u32_e32 vcc_lo, 3, v64
	v_cndmask_b32_e32 v69, v69, v21, vcc_lo
	v_cmp_eq_u32_e32 vcc_lo, 4, v64
	s_delay_alu instid0(VALU_DEP_2) | instskip(SKIP_1) | instid1(VALU_DEP_2)
	v_cndmask_b32_e32 v69, v69, v22, vcc_lo
	v_cmp_eq_u32_e32 vcc_lo, 5, v64
	;; [unrolled: 5-line block ×6, first 2 shown]
	v_cndmask_b32_e32 v69, v69, v31, vcc_lo
	v_cmp_eq_u32_e32 vcc_lo, 14, v64
	v_add_nc_u64_e32 v[64:65], 1, v[64:65]
	s_delay_alu instid0(VALU_DEP_3) | instskip(SKIP_2) | instid1(VALU_DEP_2)
	v_cndmask_b32_e32 v69, v69, v32, vcc_lo
	v_cmp_eq_u32_e32 vcc_lo, 0, v33
	s_wait_dscnt 0x0
	v_fmac_f32_e32 v67, v69, v70
	s_or_b32 s2, vcc_lo, s2
	s_delay_alu instid0(SALU_CYCLE_1)
	s_and_not1_b32 exec_lo, exec_lo, s2
	s_cbranch_execnz .LBB14_141
; %bb.142:
	s_or_b32 exec_lo, exec_lo, s2
.LBB14_143:
	s_delay_alu instid0(SALU_CYCLE_1)
	s_or_b32 exec_lo, exec_lo, s1
.LBB14_144:
	s_delay_alu instid0(SALU_CYCLE_1)
	s_or_b32 exec_lo, exec_lo, s5
	v_mov_b32_e32 v22, 0
	ds_load_b32 v22, v22 offset:16
	s_wait_dscnt 0x0
	v_mul_f32_e32 v22, v67, v22
.LBB14_145:
	s_or_b32 exec_lo, exec_lo, s4
	v_cmp_lt_u32_e64 s1, 3, v0
	ds_store_b32 v68, v21
	s_wait_dscnt 0x0
	s_barrier_signal -1
	s_barrier_wait -1
	s_and_saveexec_b32 s4, s1
	s_cbranch_execz .LBB14_161
; %bb.146:
	s_and_not1_b32 vcc_lo, exec_lo, s15
	s_cbranch_vccnz .LBB14_148
; %bb.147:
	v_cmp_eq_u32_e32 vcc_lo, 1, v0
	ds_load_b32 v65, v68
	v_cndmask_b32_e32 v64, v18, v19, vcc_lo
	v_cmp_eq_u32_e32 vcc_lo, 2, v0
	s_delay_alu instid0(VALU_DEP_2) | instskip(SKIP_1) | instid1(VALU_DEP_2)
	v_cndmask_b32_e32 v64, v64, v20, vcc_lo
	v_cmp_eq_u32_e32 vcc_lo, 3, v0
	v_cndmask_b32_e32 v64, v64, v21, vcc_lo
	v_cmp_eq_u32_e32 vcc_lo, 4, v0
	s_delay_alu instid0(VALU_DEP_2) | instskip(SKIP_1) | instid1(VALU_DEP_2)
	v_cndmask_b32_e32 v64, v64, v22, vcc_lo
	v_cmp_eq_u32_e32 vcc_lo, 5, v0
	;; [unrolled: 5-line block ×6, first 2 shown]
	v_cndmask_b32_e32 v64, v64, v31, vcc_lo
	v_cmp_eq_u32_e32 vcc_lo, 14, v0
	s_delay_alu instid0(VALU_DEP_2) | instskip(SKIP_1) | instid1(VALU_DEP_1)
	v_cndmask_b32_e32 v64, v64, v32, vcc_lo
	s_wait_dscnt 0x0
	v_mul_f32_e32 v67, v64, v65
	s_cbranch_execz .LBB14_149
	s_branch .LBB14_150
.LBB14_148:
                                        ; implicit-def: $vgpr67
.LBB14_149:
	ds_load_b32 v67, v68
.LBB14_150:
	s_and_saveexec_b32 s5, s0
	s_cbranch_execz .LBB14_160
; %bb.151:
	v_dual_add_nc_u32 v64, -5, v0 :: v_dual_add_nc_u32 v65, -4, v0
	s_delay_alu instid0(VALU_DEP_1)
	v_cmp_lt_u32_e32 vcc_lo, 6, v64
	v_mov_b32_e32 v64, 4
	s_and_saveexec_b32 s0, vcc_lo
	s_cbranch_execz .LBB14_155
; %bb.152:
	v_and_b32_e32 v64, -8, v65
	s_mov_b32 s6, 0
	s_mov_b64 s[2:3], 5
	s_movk_i32 s7, 0x50
	s_delay_alu instid0(VALU_DEP_1)
	v_sub_nc_u32_e32 v66, 0, v64
.LBB14_153:                             ; =>This Inner Loop Header: Depth=1
	s_add_co_i32 m0, s2, -1
	v_movrels_b32_e32 v69, v18
	v_mov_b32_e32 v64, s7
	s_mov_b32 m0, s2
	s_add_co_i32 s7, s7, 32
	v_movrels_b32_e32 v78, v18
	s_add_co_i32 m0, s2, 1
	ds_load_b128 v[70:73], v64
	ds_load_b128 v[74:77], v64 offset:16
	v_movrels_b32_e32 v64, v18
	s_add_co_i32 m0, s2, 2
	s_wait_dscnt 0x1
	v_fmac_f32_e32 v67, v69, v70
	v_movrels_b32_e32 v69, v18
	s_add_co_i32 m0, s2, 3
	s_delay_alu instid0(VALU_DEP_2) | instskip(NEXT) | instid1(VALU_DEP_1)
	v_fmac_f32_e32 v67, v78, v71
	v_fmac_f32_e32 v67, v64, v72
	v_movrels_b32_e32 v64, v18
	s_add_co_i32 m0, s2, 4
	s_delay_alu instid0(VALU_DEP_2) | instskip(SKIP_3) | instid1(VALU_DEP_2)
	v_fmac_f32_e32 v67, v69, v73
	v_movrels_b32_e32 v69, v18
	s_add_co_i32 m0, s2, 5
	s_wait_dscnt 0x0
	v_fmac_f32_e32 v67, v64, v74
	v_movrels_b32_e32 v64, v18
	s_add_co_i32 m0, s2, 6
	s_add_nc_u64 s[2:3], s[2:3], 8
	v_movrels_b32_e32 v70, v18
	v_dual_fmac_f32 v67, v69, v75 :: v_dual_add_nc_u32 v69, s2, v66
	s_add_co_i32 s8, s2, -1
	s_delay_alu instid0(VALU_DEP_1) | instskip(NEXT) | instid1(VALU_DEP_2)
	v_fmac_f32_e32 v67, v64, v76
	v_cmp_eq_u32_e32 vcc_lo, 5, v69
	s_delay_alu instid0(VALU_DEP_2) | instskip(SKIP_1) | instid1(SALU_CYCLE_1)
	v_dual_mov_b32 v64, s8 :: v_dual_fmac_f32 v67, v70, v77
	s_or_b32 s6, vcc_lo, s6
	s_and_not1_b32 exec_lo, exec_lo, s6
	s_cbranch_execnz .LBB14_153
; %bb.154:
	s_or_b32 exec_lo, exec_lo, s6
.LBB14_155:
	s_delay_alu instid0(SALU_CYCLE_1) | instskip(SKIP_3) | instid1(VALU_DEP_1)
	s_or_b32 exec_lo, exec_lo, s0
	v_and_b32_e32 v33, 7, v65
	s_mov_b32 s2, 0
	s_mov_b32 s0, exec_lo
	v_cmpx_ne_u32_e32 0, v33
	s_cbranch_execz .LBB14_159
; %bb.156:
	v_lshl_add_u32 v66, v64, 2, 64
	v_mov_b32_e32 v65, 0
.LBB14_157:                             ; =>This Inner Loop Header: Depth=1
	v_cmp_eq_u32_e32 vcc_lo, 1, v64
	ds_load_b32 v70, v66
	v_dual_add_nc_u32 v33, -1, v33 :: v_dual_add_nc_u32 v66, 4, v66
	v_cndmask_b32_e32 v69, v18, v19, vcc_lo
	v_cmp_eq_u32_e32 vcc_lo, 2, v64
	s_delay_alu instid0(VALU_DEP_2) | instskip(SKIP_1) | instid1(VALU_DEP_2)
	v_cndmask_b32_e32 v69, v69, v20, vcc_lo
	v_cmp_eq_u32_e32 vcc_lo, 3, v64
	v_cndmask_b32_e32 v69, v69, v21, vcc_lo
	v_cmp_eq_u32_e32 vcc_lo, 4, v64
	s_delay_alu instid0(VALU_DEP_2) | instskip(SKIP_1) | instid1(VALU_DEP_2)
	v_cndmask_b32_e32 v69, v69, v22, vcc_lo
	v_cmp_eq_u32_e32 vcc_lo, 5, v64
	;; [unrolled: 5-line block ×6, first 2 shown]
	v_cndmask_b32_e32 v69, v69, v31, vcc_lo
	v_cmp_eq_u32_e32 vcc_lo, 14, v64
	v_add_nc_u64_e32 v[64:65], 1, v[64:65]
	s_delay_alu instid0(VALU_DEP_3) | instskip(SKIP_2) | instid1(VALU_DEP_2)
	v_cndmask_b32_e32 v69, v69, v32, vcc_lo
	v_cmp_eq_u32_e32 vcc_lo, 0, v33
	s_wait_dscnt 0x0
	v_fmac_f32_e32 v67, v69, v70
	s_or_b32 s2, vcc_lo, s2
	s_delay_alu instid0(SALU_CYCLE_1)
	s_and_not1_b32 exec_lo, exec_lo, s2
	s_cbranch_execnz .LBB14_157
; %bb.158:
	s_or_b32 exec_lo, exec_lo, s2
.LBB14_159:
	s_delay_alu instid0(SALU_CYCLE_1)
	s_or_b32 exec_lo, exec_lo, s0
.LBB14_160:
	s_delay_alu instid0(SALU_CYCLE_1)
	s_or_b32 exec_lo, exec_lo, s5
	v_mov_b32_e32 v21, 0
	ds_load_b32 v21, v21 offset:12
	s_wait_dscnt 0x0
	v_mul_f32_e32 v21, v67, v21
.LBB14_161:
	s_or_b32 exec_lo, exec_lo, s4
	v_cmp_lt_u32_e64 s0, 2, v0
	ds_store_b32 v68, v20
	s_wait_dscnt 0x0
	s_barrier_signal -1
	s_barrier_wait -1
	s_and_saveexec_b32 s4, s0
	s_cbranch_execz .LBB14_177
; %bb.162:
	s_and_not1_b32 vcc_lo, exec_lo, s15
	s_cbranch_vccnz .LBB14_164
; %bb.163:
	v_cmp_eq_u32_e32 vcc_lo, 1, v0
	ds_load_b32 v65, v68
	v_cndmask_b32_e32 v64, v18, v19, vcc_lo
	v_cmp_eq_u32_e32 vcc_lo, 2, v0
	s_delay_alu instid0(VALU_DEP_2) | instskip(SKIP_1) | instid1(VALU_DEP_2)
	v_cndmask_b32_e32 v64, v64, v20, vcc_lo
	v_cmp_eq_u32_e32 vcc_lo, 3, v0
	v_cndmask_b32_e32 v64, v64, v21, vcc_lo
	v_cmp_eq_u32_e32 vcc_lo, 4, v0
	s_delay_alu instid0(VALU_DEP_2) | instskip(SKIP_1) | instid1(VALU_DEP_2)
	v_cndmask_b32_e32 v64, v64, v22, vcc_lo
	v_cmp_eq_u32_e32 vcc_lo, 5, v0
	;; [unrolled: 5-line block ×6, first 2 shown]
	v_cndmask_b32_e32 v64, v64, v31, vcc_lo
	v_cmp_eq_u32_e32 vcc_lo, 14, v0
	s_delay_alu instid0(VALU_DEP_2) | instskip(SKIP_1) | instid1(VALU_DEP_1)
	v_cndmask_b32_e32 v64, v64, v32, vcc_lo
	s_wait_dscnt 0x0
	v_mul_f32_e32 v67, v64, v65
	s_cbranch_execz .LBB14_165
	s_branch .LBB14_166
.LBB14_164:
                                        ; implicit-def: $vgpr67
.LBB14_165:
	ds_load_b32 v67, v68
.LBB14_166:
	s_and_saveexec_b32 s5, s1
	s_cbranch_execz .LBB14_176
; %bb.167:
	v_dual_add_nc_u32 v64, -4, v0 :: v_dual_add_nc_u32 v65, -3, v0
	s_delay_alu instid0(VALU_DEP_1)
	v_cmp_lt_u32_e32 vcc_lo, 6, v64
	v_mov_b32_e32 v64, 3
	s_and_saveexec_b32 s1, vcc_lo
	s_cbranch_execz .LBB14_171
; %bb.168:
	v_and_b32_e32 v64, -8, v65
	s_mov_b32 s6, 0
	s_mov_b64 s[2:3], 10
	s_movk_i32 s7, 0x4c
	s_delay_alu instid0(VALU_DEP_1)
	v_sub_nc_u32_e32 v66, 0, v64
.LBB14_169:                             ; =>This Inner Loop Header: Depth=1
	s_add_co_i32 m0, s2, -7
	v_movrels_b32_e32 v69, v18
	v_mov_b32_e32 v64, s7
	s_add_co_i32 m0, s2, -6
	s_add_co_i32 s7, s7, 32
	v_movrels_b32_e32 v78, v18
	ds_load_2addr_b32 v[70:71], v64 offset1:1
	ds_load_2addr_b32 v[72:73], v64 offset0:2 offset1:3
	s_add_co_i32 m0, s2, -5
	s_wait_dscnt 0x1
	v_fmac_f32_e32 v67, v69, v70
	ds_load_2addr_b32 v[74:75], v64 offset0:4 offset1:5
	ds_load_2addr_b32 v[76:77], v64 offset0:6 offset1:7
	v_movrels_b32_e32 v64, v18
	s_add_co_i32 m0, s2, -4
	v_fmac_f32_e32 v67, v78, v71
	v_movrels_b32_e32 v69, v18
	s_add_co_i32 m0, s2, -3
	s_wait_dscnt 0x2
	s_delay_alu instid0(VALU_DEP_2) | instskip(SKIP_2) | instid1(VALU_DEP_2)
	v_fmac_f32_e32 v67, v64, v72
	v_movrels_b32_e32 v64, v18
	s_add_co_i32 m0, s2, -2
	v_fmac_f32_e32 v67, v69, v73
	v_movrels_b32_e32 v69, v18
	s_add_co_i32 m0, s2, -1
	s_wait_dscnt 0x1
	s_delay_alu instid0(VALU_DEP_2)
	v_fmac_f32_e32 v67, v64, v74
	v_movrels_b32_e32 v64, v18
	s_mov_b32 m0, s2
	s_add_nc_u64 s[2:3], s[2:3], 8
	v_movrels_b32_e32 v70, v18
	v_dual_fmac_f32 v67, v69, v75 :: v_dual_add_nc_u32 v69, s2, v66
	s_add_co_i32 s8, s2, -7
	s_wait_dscnt 0x0
	s_delay_alu instid0(VALU_DEP_1) | instskip(NEXT) | instid1(VALU_DEP_2)
	v_fmac_f32_e32 v67, v64, v76
	v_cmp_eq_u32_e32 vcc_lo, 10, v69
	s_delay_alu instid0(VALU_DEP_2) | instskip(SKIP_1) | instid1(SALU_CYCLE_1)
	v_dual_mov_b32 v64, s8 :: v_dual_fmac_f32 v67, v70, v77
	s_or_b32 s6, vcc_lo, s6
	s_and_not1_b32 exec_lo, exec_lo, s6
	s_cbranch_execnz .LBB14_169
; %bb.170:
	s_or_b32 exec_lo, exec_lo, s6
.LBB14_171:
	s_delay_alu instid0(SALU_CYCLE_1) | instskip(SKIP_3) | instid1(VALU_DEP_1)
	s_or_b32 exec_lo, exec_lo, s1
	v_and_b32_e32 v33, 7, v65
	s_mov_b32 s2, 0
	s_mov_b32 s1, exec_lo
	v_cmpx_ne_u32_e32 0, v33
	s_cbranch_execz .LBB14_175
; %bb.172:
	v_lshl_add_u32 v66, v64, 2, 64
	v_mov_b32_e32 v65, 0
.LBB14_173:                             ; =>This Inner Loop Header: Depth=1
	v_cmp_eq_u32_e32 vcc_lo, 1, v64
	ds_load_b32 v70, v66
	v_dual_add_nc_u32 v33, -1, v33 :: v_dual_add_nc_u32 v66, 4, v66
	v_cndmask_b32_e32 v69, v18, v19, vcc_lo
	v_cmp_eq_u32_e32 vcc_lo, 2, v64
	s_delay_alu instid0(VALU_DEP_2) | instskip(SKIP_1) | instid1(VALU_DEP_2)
	v_cndmask_b32_e32 v69, v69, v20, vcc_lo
	v_cmp_eq_u32_e32 vcc_lo, 3, v64
	v_cndmask_b32_e32 v69, v69, v21, vcc_lo
	v_cmp_eq_u32_e32 vcc_lo, 4, v64
	s_delay_alu instid0(VALU_DEP_2) | instskip(SKIP_1) | instid1(VALU_DEP_2)
	v_cndmask_b32_e32 v69, v69, v22, vcc_lo
	v_cmp_eq_u32_e32 vcc_lo, 5, v64
	v_cndmask_b32_e32 v69, v69, v23, vcc_lo
	v_cmp_eq_u32_e32 vcc_lo, 6, v64
	s_delay_alu instid0(VALU_DEP_2) | instskip(SKIP_1) | instid1(VALU_DEP_2)
	v_cndmask_b32_e32 v69, v69, v24, vcc_lo
	v_cmp_eq_u32_e32 vcc_lo, 7, v64
	v_cndmask_b32_e32 v69, v69, v25, vcc_lo
	v_cmp_eq_u32_e32 vcc_lo, 8, v64
	s_delay_alu instid0(VALU_DEP_2) | instskip(SKIP_1) | instid1(VALU_DEP_2)
	v_cndmask_b32_e32 v69, v69, v26, vcc_lo
	v_cmp_eq_u32_e32 vcc_lo, 9, v64
	v_cndmask_b32_e32 v69, v69, v27, vcc_lo
	v_cmp_eq_u32_e32 vcc_lo, 10, v64
	s_delay_alu instid0(VALU_DEP_2) | instskip(SKIP_1) | instid1(VALU_DEP_2)
	v_cndmask_b32_e32 v69, v69, v28, vcc_lo
	v_cmp_eq_u32_e32 vcc_lo, 11, v64
	v_cndmask_b32_e32 v69, v69, v29, vcc_lo
	v_cmp_eq_u32_e32 vcc_lo, 12, v64
	s_delay_alu instid0(VALU_DEP_2) | instskip(SKIP_1) | instid1(VALU_DEP_2)
	v_cndmask_b32_e32 v69, v69, v30, vcc_lo
	v_cmp_eq_u32_e32 vcc_lo, 13, v64
	v_cndmask_b32_e32 v69, v69, v31, vcc_lo
	v_cmp_eq_u32_e32 vcc_lo, 14, v64
	v_add_nc_u64_e32 v[64:65], 1, v[64:65]
	s_delay_alu instid0(VALU_DEP_3) | instskip(SKIP_2) | instid1(VALU_DEP_2)
	v_cndmask_b32_e32 v69, v69, v32, vcc_lo
	v_cmp_eq_u32_e32 vcc_lo, 0, v33
	s_wait_dscnt 0x0
	v_fmac_f32_e32 v67, v69, v70
	s_or_b32 s2, vcc_lo, s2
	s_delay_alu instid0(SALU_CYCLE_1)
	s_and_not1_b32 exec_lo, exec_lo, s2
	s_cbranch_execnz .LBB14_173
; %bb.174:
	s_or_b32 exec_lo, exec_lo, s2
.LBB14_175:
	s_delay_alu instid0(SALU_CYCLE_1)
	s_or_b32 exec_lo, exec_lo, s1
.LBB14_176:
	s_delay_alu instid0(SALU_CYCLE_1)
	s_or_b32 exec_lo, exec_lo, s5
	v_mov_b32_e32 v20, 0
	ds_load_b32 v20, v20 offset:8
	s_wait_dscnt 0x0
	v_mul_f32_e32 v20, v67, v20
.LBB14_177:
	s_or_b32 exec_lo, exec_lo, s4
	v_cmp_lt_u32_e64 s1, 1, v0
	ds_store_b32 v68, v19
	s_wait_dscnt 0x0
	s_barrier_signal -1
	s_barrier_wait -1
	s_and_saveexec_b32 s4, s1
	s_cbranch_execz .LBB14_193
; %bb.178:
	s_and_not1_b32 vcc_lo, exec_lo, s15
	s_cbranch_vccnz .LBB14_180
; %bb.179:
	v_cmp_eq_u32_e32 vcc_lo, 1, v0
	ds_load_b32 v65, v68
	v_cndmask_b32_e32 v64, v18, v19, vcc_lo
	v_cmp_eq_u32_e32 vcc_lo, 2, v0
	s_delay_alu instid0(VALU_DEP_2) | instskip(SKIP_1) | instid1(VALU_DEP_2)
	v_cndmask_b32_e32 v64, v64, v20, vcc_lo
	v_cmp_eq_u32_e32 vcc_lo, 3, v0
	v_cndmask_b32_e32 v64, v64, v21, vcc_lo
	v_cmp_eq_u32_e32 vcc_lo, 4, v0
	s_delay_alu instid0(VALU_DEP_2) | instskip(SKIP_1) | instid1(VALU_DEP_2)
	v_cndmask_b32_e32 v64, v64, v22, vcc_lo
	v_cmp_eq_u32_e32 vcc_lo, 5, v0
	;; [unrolled: 5-line block ×6, first 2 shown]
	v_cndmask_b32_e32 v64, v64, v31, vcc_lo
	v_cmp_eq_u32_e32 vcc_lo, 14, v0
	s_delay_alu instid0(VALU_DEP_2) | instskip(SKIP_1) | instid1(VALU_DEP_1)
	v_cndmask_b32_e32 v64, v64, v32, vcc_lo
	s_wait_dscnt 0x0
	v_mul_f32_e32 v67, v64, v65
	s_cbranch_execz .LBB14_181
	s_branch .LBB14_182
.LBB14_180:
                                        ; implicit-def: $vgpr67
.LBB14_181:
	ds_load_b32 v67, v68
.LBB14_182:
	s_and_saveexec_b32 s5, s0
	s_cbranch_execz .LBB14_192
; %bb.183:
	v_dual_add_nc_u32 v64, -3, v0 :: v_dual_add_nc_u32 v65, -2, v0
	s_delay_alu instid0(VALU_DEP_1)
	v_cmp_lt_u32_e32 vcc_lo, 6, v64
	v_mov_b32_e32 v64, 2
	s_and_saveexec_b32 s0, vcc_lo
	s_cbranch_execz .LBB14_187
; %bb.184:
	v_and_b32_e32 v64, -8, v65
	s_mov_b32 s6, 0
	s_mov_b64 s[2:3], 9
	s_movk_i32 s7, 0x48
	s_delay_alu instid0(VALU_DEP_1)
	v_sub_nc_u32_e32 v66, 0, v64
.LBB14_185:                             ; =>This Inner Loop Header: Depth=1
	s_add_co_i32 m0, s2, -7
	v_movrels_b32_e32 v69, v18
	v_mov_b32_e32 v64, s7
	s_add_co_i32 m0, s2, -6
	s_add_co_i32 s7, s7, 32
	v_movrels_b32_e32 v78, v18
	s_add_co_i32 m0, s2, -5
	ds_load_2addr_b64 v[70:73], v64 offset1:1
	ds_load_2addr_b64 v[74:77], v64 offset0:2 offset1:3
	v_movrels_b32_e32 v64, v18
	s_add_co_i32 m0, s2, -4
	s_wait_dscnt 0x1
	v_fmac_f32_e32 v67, v69, v70
	v_movrels_b32_e32 v69, v18
	s_add_co_i32 m0, s2, -3
	s_delay_alu instid0(VALU_DEP_2) | instskip(NEXT) | instid1(VALU_DEP_1)
	v_fmac_f32_e32 v67, v78, v71
	v_fmac_f32_e32 v67, v64, v72
	v_movrels_b32_e32 v64, v18
	s_add_co_i32 m0, s2, -2
	s_delay_alu instid0(VALU_DEP_2) | instskip(SKIP_3) | instid1(VALU_DEP_2)
	v_fmac_f32_e32 v67, v69, v73
	v_movrels_b32_e32 v69, v18
	s_add_co_i32 m0, s2, -1
	s_wait_dscnt 0x0
	v_fmac_f32_e32 v67, v64, v74
	v_movrels_b32_e32 v64, v18
	s_mov_b32 m0, s2
	s_add_nc_u64 s[2:3], s[2:3], 8
	v_movrels_b32_e32 v70, v18
	v_dual_fmac_f32 v67, v69, v75 :: v_dual_add_nc_u32 v69, s2, v66
	s_add_co_i32 s8, s2, -7
	s_delay_alu instid0(VALU_DEP_1) | instskip(NEXT) | instid1(VALU_DEP_2)
	v_fmac_f32_e32 v67, v64, v76
	v_cmp_eq_u32_e32 vcc_lo, 9, v69
	s_delay_alu instid0(VALU_DEP_2) | instskip(SKIP_1) | instid1(SALU_CYCLE_1)
	v_dual_mov_b32 v64, s8 :: v_dual_fmac_f32 v67, v70, v77
	s_or_b32 s6, vcc_lo, s6
	s_and_not1_b32 exec_lo, exec_lo, s6
	s_cbranch_execnz .LBB14_185
; %bb.186:
	s_or_b32 exec_lo, exec_lo, s6
.LBB14_187:
	s_delay_alu instid0(SALU_CYCLE_1) | instskip(SKIP_3) | instid1(VALU_DEP_1)
	s_or_b32 exec_lo, exec_lo, s0
	v_and_b32_e32 v33, 7, v65
	s_mov_b32 s2, 0
	s_mov_b32 s0, exec_lo
	v_cmpx_ne_u32_e32 0, v33
	s_cbranch_execz .LBB14_191
; %bb.188:
	v_lshl_add_u32 v66, v64, 2, 64
	v_mov_b32_e32 v65, 0
.LBB14_189:                             ; =>This Inner Loop Header: Depth=1
	v_cmp_eq_u32_e32 vcc_lo, 1, v64
	ds_load_b32 v70, v66
	v_dual_add_nc_u32 v33, -1, v33 :: v_dual_add_nc_u32 v66, 4, v66
	v_cndmask_b32_e32 v69, v18, v19, vcc_lo
	v_cmp_eq_u32_e32 vcc_lo, 2, v64
	s_delay_alu instid0(VALU_DEP_2) | instskip(SKIP_1) | instid1(VALU_DEP_2)
	v_cndmask_b32_e32 v69, v69, v20, vcc_lo
	v_cmp_eq_u32_e32 vcc_lo, 3, v64
	v_cndmask_b32_e32 v69, v69, v21, vcc_lo
	v_cmp_eq_u32_e32 vcc_lo, 4, v64
	s_delay_alu instid0(VALU_DEP_2) | instskip(SKIP_1) | instid1(VALU_DEP_2)
	v_cndmask_b32_e32 v69, v69, v22, vcc_lo
	v_cmp_eq_u32_e32 vcc_lo, 5, v64
	v_cndmask_b32_e32 v69, v69, v23, vcc_lo
	v_cmp_eq_u32_e32 vcc_lo, 6, v64
	s_delay_alu instid0(VALU_DEP_2) | instskip(SKIP_1) | instid1(VALU_DEP_2)
	v_cndmask_b32_e32 v69, v69, v24, vcc_lo
	v_cmp_eq_u32_e32 vcc_lo, 7, v64
	v_cndmask_b32_e32 v69, v69, v25, vcc_lo
	v_cmp_eq_u32_e32 vcc_lo, 8, v64
	s_delay_alu instid0(VALU_DEP_2) | instskip(SKIP_1) | instid1(VALU_DEP_2)
	v_cndmask_b32_e32 v69, v69, v26, vcc_lo
	v_cmp_eq_u32_e32 vcc_lo, 9, v64
	v_cndmask_b32_e32 v69, v69, v27, vcc_lo
	v_cmp_eq_u32_e32 vcc_lo, 10, v64
	s_delay_alu instid0(VALU_DEP_2) | instskip(SKIP_1) | instid1(VALU_DEP_2)
	v_cndmask_b32_e32 v69, v69, v28, vcc_lo
	v_cmp_eq_u32_e32 vcc_lo, 11, v64
	v_cndmask_b32_e32 v69, v69, v29, vcc_lo
	v_cmp_eq_u32_e32 vcc_lo, 12, v64
	s_delay_alu instid0(VALU_DEP_2) | instskip(SKIP_1) | instid1(VALU_DEP_2)
	v_cndmask_b32_e32 v69, v69, v30, vcc_lo
	v_cmp_eq_u32_e32 vcc_lo, 13, v64
	v_cndmask_b32_e32 v69, v69, v31, vcc_lo
	v_cmp_eq_u32_e32 vcc_lo, 14, v64
	v_add_nc_u64_e32 v[64:65], 1, v[64:65]
	s_delay_alu instid0(VALU_DEP_3) | instskip(SKIP_2) | instid1(VALU_DEP_2)
	v_cndmask_b32_e32 v69, v69, v32, vcc_lo
	v_cmp_eq_u32_e32 vcc_lo, 0, v33
	s_wait_dscnt 0x0
	v_fmac_f32_e32 v67, v69, v70
	s_or_b32 s2, vcc_lo, s2
	s_delay_alu instid0(SALU_CYCLE_1)
	s_and_not1_b32 exec_lo, exec_lo, s2
	s_cbranch_execnz .LBB14_189
; %bb.190:
	s_or_b32 exec_lo, exec_lo, s2
.LBB14_191:
	s_delay_alu instid0(SALU_CYCLE_1)
	s_or_b32 exec_lo, exec_lo, s0
.LBB14_192:
	s_delay_alu instid0(SALU_CYCLE_1)
	s_or_b32 exec_lo, exec_lo, s5
	v_mov_b32_e32 v19, 0
	ds_load_b32 v19, v19 offset:4
	s_wait_dscnt 0x0
	v_mul_f32_e32 v19, v67, v19
.LBB14_193:
	s_or_b32 exec_lo, exec_lo, s4
	s_mov_b32 s2, 0
	s_mov_b32 s3, exec_lo
	ds_store_b32 v68, v18
	s_wait_dscnt 0x0
	s_barrier_signal -1
	s_barrier_wait -1
	v_cmpx_ne_u32_e32 0, v0
	s_cbranch_execz .LBB14_209
; %bb.194:
	s_and_not1_b32 vcc_lo, exec_lo, s15
	s_cbranch_vccnz .LBB14_196
; %bb.195:
	v_cmp_eq_u32_e32 vcc_lo, 1, v0
	ds_load_b32 v65, v68
	v_cndmask_b32_e32 v64, v18, v19, vcc_lo
	v_cmp_eq_u32_e32 vcc_lo, 2, v0
	s_delay_alu instid0(VALU_DEP_2) | instskip(SKIP_1) | instid1(VALU_DEP_2)
	v_cndmask_b32_e32 v64, v64, v20, vcc_lo
	v_cmp_eq_u32_e32 vcc_lo, 3, v0
	v_cndmask_b32_e32 v64, v64, v21, vcc_lo
	v_cmp_eq_u32_e32 vcc_lo, 4, v0
	s_delay_alu instid0(VALU_DEP_2) | instskip(SKIP_1) | instid1(VALU_DEP_2)
	v_cndmask_b32_e32 v64, v64, v22, vcc_lo
	v_cmp_eq_u32_e32 vcc_lo, 5, v0
	;; [unrolled: 5-line block ×6, first 2 shown]
	v_cndmask_b32_e32 v64, v64, v31, vcc_lo
	v_cmp_eq_u32_e32 vcc_lo, 14, v0
	s_delay_alu instid0(VALU_DEP_2) | instskip(SKIP_1) | instid1(VALU_DEP_1)
	v_cndmask_b32_e32 v64, v64, v32, vcc_lo
	s_wait_dscnt 0x0
	v_mul_f32_e32 v67, v64, v65
	s_cbranch_execz .LBB14_197
	s_branch .LBB14_198
.LBB14_196:
                                        ; implicit-def: $vgpr67
.LBB14_197:
	ds_load_b32 v67, v68
.LBB14_198:
	s_and_saveexec_b32 s4, s1
	s_cbranch_execz .LBB14_208
; %bb.199:
	v_dual_add_nc_u32 v64, -2, v0 :: v_dual_add_nc_u32 v65, -1, v0
	s_delay_alu instid0(VALU_DEP_1)
	v_cmp_lt_u32_e32 vcc_lo, 6, v64
	v_mov_b32_e32 v64, 1
	s_and_saveexec_b32 s5, vcc_lo
	s_cbranch_execz .LBB14_203
; %bb.200:
	v_and_b32_e32 v64, -8, v65
	s_mov_b32 s6, 0
	s_mov_b64 s[0:1], 8
	s_movk_i32 s7, 0x44
	s_delay_alu instid0(VALU_DEP_1)
	v_sub_nc_u32_e32 v66, 0, v64
.LBB14_201:                             ; =>This Inner Loop Header: Depth=1
	s_add_co_i32 m0, s0, -7
	v_movrels_b32_e32 v69, v18
	v_mov_b32_e32 v64, s7
	s_add_co_i32 m0, s0, -6
	s_add_co_i32 s7, s7, 32
	v_movrels_b32_e32 v78, v18
	ds_load_2addr_b32 v[70:71], v64 offset1:1
	ds_load_2addr_b32 v[72:73], v64 offset0:2 offset1:3
	s_add_co_i32 m0, s0, -5
	s_wait_dscnt 0x1
	v_fmac_f32_e32 v67, v69, v70
	ds_load_2addr_b32 v[74:75], v64 offset0:4 offset1:5
	ds_load_2addr_b32 v[76:77], v64 offset0:6 offset1:7
	v_movrels_b32_e32 v64, v18
	s_add_co_i32 m0, s0, -4
	v_fmac_f32_e32 v67, v78, v71
	v_movrels_b32_e32 v69, v18
	s_add_co_i32 m0, s0, -3
	s_wait_dscnt 0x2
	s_delay_alu instid0(VALU_DEP_2) | instskip(SKIP_2) | instid1(VALU_DEP_2)
	v_fmac_f32_e32 v67, v64, v72
	v_movrels_b32_e32 v64, v18
	s_add_co_i32 m0, s0, -2
	v_fmac_f32_e32 v67, v69, v73
	v_movrels_b32_e32 v69, v18
	s_add_co_i32 m0, s0, -1
	s_wait_dscnt 0x1
	s_delay_alu instid0(VALU_DEP_2)
	v_fmac_f32_e32 v67, v64, v74
	v_movrels_b32_e32 v64, v18
	s_mov_b32 m0, s0
	s_add_nc_u64 s[0:1], s[0:1], 8
	v_movrels_b32_e32 v70, v18
	v_dual_fmac_f32 v67, v69, v75 :: v_dual_add_nc_u32 v69, s0, v66
	s_add_co_i32 s8, s0, -7
	s_wait_dscnt 0x0
	s_delay_alu instid0(VALU_DEP_1) | instskip(NEXT) | instid1(VALU_DEP_2)
	v_fmac_f32_e32 v67, v64, v76
	v_cmp_eq_u32_e32 vcc_lo, 8, v69
	s_delay_alu instid0(VALU_DEP_2) | instskip(SKIP_1) | instid1(SALU_CYCLE_1)
	v_dual_mov_b32 v64, s8 :: v_dual_fmac_f32 v67, v70, v77
	s_or_b32 s6, vcc_lo, s6
	s_and_not1_b32 exec_lo, exec_lo, s6
	s_cbranch_execnz .LBB14_201
; %bb.202:
	s_or_b32 exec_lo, exec_lo, s6
.LBB14_203:
	s_delay_alu instid0(SALU_CYCLE_1) | instskip(SKIP_3) | instid1(VALU_DEP_1)
	s_or_b32 exec_lo, exec_lo, s5
	v_and_b32_e32 v33, 7, v65
	s_mov_b32 s1, 0
	s_mov_b32 s0, exec_lo
	v_cmpx_ne_u32_e32 0, v33
	s_cbranch_execz .LBB14_207
; %bb.204:
	v_lshl_add_u32 v66, v64, 2, 64
	v_mov_b32_e32 v65, 0
.LBB14_205:                             ; =>This Inner Loop Header: Depth=1
	v_cmp_eq_u32_e32 vcc_lo, 1, v64
	ds_load_b32 v70, v66
	v_dual_add_nc_u32 v33, -1, v33 :: v_dual_add_nc_u32 v66, 4, v66
	v_cndmask_b32_e32 v69, v18, v19, vcc_lo
	v_cmp_eq_u32_e32 vcc_lo, 2, v64
	s_delay_alu instid0(VALU_DEP_2) | instskip(SKIP_1) | instid1(VALU_DEP_2)
	v_cndmask_b32_e32 v69, v69, v20, vcc_lo
	v_cmp_eq_u32_e32 vcc_lo, 3, v64
	v_cndmask_b32_e32 v69, v69, v21, vcc_lo
	v_cmp_eq_u32_e32 vcc_lo, 4, v64
	s_delay_alu instid0(VALU_DEP_2) | instskip(SKIP_1) | instid1(VALU_DEP_2)
	v_cndmask_b32_e32 v69, v69, v22, vcc_lo
	v_cmp_eq_u32_e32 vcc_lo, 5, v64
	;; [unrolled: 5-line block ×6, first 2 shown]
	v_cndmask_b32_e32 v69, v69, v31, vcc_lo
	v_cmp_eq_u32_e32 vcc_lo, 14, v64
	v_add_nc_u64_e32 v[64:65], 1, v[64:65]
	s_delay_alu instid0(VALU_DEP_3) | instskip(SKIP_2) | instid1(VALU_DEP_2)
	v_cndmask_b32_e32 v69, v69, v32, vcc_lo
	v_cmp_eq_u32_e32 vcc_lo, 0, v33
	s_wait_dscnt 0x0
	v_fmac_f32_e32 v67, v69, v70
	s_or_b32 s1, vcc_lo, s1
	s_delay_alu instid0(SALU_CYCLE_1)
	s_and_not1_b32 exec_lo, exec_lo, s1
	s_cbranch_execnz .LBB14_205
; %bb.206:
	s_or_b32 exec_lo, exec_lo, s1
.LBB14_207:
	s_delay_alu instid0(SALU_CYCLE_1)
	s_or_b32 exec_lo, exec_lo, s0
.LBB14_208:
	s_delay_alu instid0(SALU_CYCLE_1)
	s_or_b32 exec_lo, exec_lo, s4
	v_mov_b32_e32 v18, 0
	ds_load_b32 v18, v18
	s_wait_dscnt 0x0
	v_mul_f32_e32 v18, v67, v18
.LBB14_209:
	s_or_b32 exec_lo, exec_lo, s3
	s_delay_alu instid0(SALU_CYCLE_1)
	s_and_b32 vcc_lo, exec_lo, s2
	s_cbranch_vccz .LBB14_353
.LBB14_210:
	v_cmp_eq_u32_e64 s0, 0, v0
	s_wait_loadcnt 0xe
	ds_store_b32 v68, v3
	s_wait_loadcnt_dscnt 0x0
	s_barrier_signal -1
	s_barrier_wait -1
	s_and_saveexec_b32 s1, s0
	s_cbranch_execz .LBB14_216
; %bb.211:
	s_and_b32 vcc_lo, exec_lo, s15
	s_cbranch_vccz .LBB14_213
; %bb.212:
	v_cmp_eq_u32_e32 vcc_lo, 1, v0
	ds_load_b32 v17, v68
	v_cndmask_b32_e32 v3, v2, v3, vcc_lo
	v_cmp_eq_u32_e32 vcc_lo, 2, v0
	s_delay_alu instid0(VALU_DEP_2) | instskip(SKIP_1) | instid1(VALU_DEP_2)
	v_cndmask_b32_e32 v3, v3, v4, vcc_lo
	v_cmp_eq_u32_e32 vcc_lo, 3, v0
	v_cndmask_b32_e32 v3, v3, v5, vcc_lo
	v_cmp_eq_u32_e32 vcc_lo, 4, v0
	s_delay_alu instid0(VALU_DEP_2) | instskip(SKIP_1) | instid1(VALU_DEP_2)
	v_cndmask_b32_e32 v3, v3, v6, vcc_lo
	v_cmp_eq_u32_e32 vcc_lo, 5, v0
	;; [unrolled: 5-line block ×6, first 2 shown]
	v_cndmask_b32_e32 v3, v3, v15, vcc_lo
	v_cmp_eq_u32_e32 vcc_lo, 14, v0
	s_delay_alu instid0(VALU_DEP_2) | instskip(SKIP_1) | instid1(VALU_DEP_1)
	v_cndmask_b32_e32 v3, v3, v16, vcc_lo
	s_wait_dscnt 0x0
	v_mul_f32_e32 v3, v3, v17
	s_cbranch_execz .LBB14_214
	s_branch .LBB14_215
.LBB14_213:
                                        ; implicit-def: $vgpr3
.LBB14_214:
	ds_load_b32 v3, v68
.LBB14_215:
	v_mov_b32_e32 v17, 0
	ds_load_b32 v17, v17 offset:4
	s_wait_dscnt 0x0
	v_mul_f32_e32 v3, v3, v17
.LBB14_216:
	s_or_b32 exec_lo, exec_lo, s1
	v_cndmask_b32_e64 v20, 0, 1, s15
	s_mov_b32 s1, exec_lo
	ds_store_b32 v68, v4
	s_wait_dscnt 0x0
	s_barrier_signal -1
	s_barrier_wait -1
	v_cmpx_gt_u32_e32 2, v0
	s_cbranch_execz .LBB14_222
; %bb.217:
	s_and_not1_b32 vcc_lo, exec_lo, s15
	s_cbranch_vccnz .LBB14_219
; %bb.218:
	v_cmp_eq_u32_e32 vcc_lo, 1, v0
	v_cndmask_b32_e32 v17, v2, v3, vcc_lo
	v_cmp_eq_u32_e32 vcc_lo, 2, v0
	s_delay_alu instid0(VALU_DEP_2) | instskip(SKIP_4) | instid1(VALU_DEP_2)
	v_cndmask_b32_e32 v4, v17, v4, vcc_lo
	v_cmp_eq_u32_e32 vcc_lo, 3, v0
	ds_load_b32 v17, v68
	v_cndmask_b32_e32 v4, v4, v5, vcc_lo
	v_cmp_eq_u32_e32 vcc_lo, 4, v0
	v_cndmask_b32_e32 v4, v4, v6, vcc_lo
	v_cmp_eq_u32_e32 vcc_lo, 5, v0
	s_delay_alu instid0(VALU_DEP_2) | instskip(SKIP_1) | instid1(VALU_DEP_2)
	v_cndmask_b32_e32 v4, v4, v7, vcc_lo
	v_cmp_eq_u32_e32 vcc_lo, 6, v0
	v_cndmask_b32_e32 v4, v4, v8, vcc_lo
	v_cmp_eq_u32_e32 vcc_lo, 7, v0
	s_delay_alu instid0(VALU_DEP_2) | instskip(SKIP_1) | instid1(VALU_DEP_2)
	;; [unrolled: 5-line block ×5, first 2 shown]
	v_cndmask_b32_e32 v4, v4, v15, vcc_lo
	v_cmp_eq_u32_e32 vcc_lo, 14, v0
	v_cndmask_b32_e32 v4, v4, v16, vcc_lo
	s_wait_dscnt 0x0
	s_delay_alu instid0(VALU_DEP_1)
	v_mul_f32_e32 v4, v4, v17
	s_cbranch_execz .LBB14_220
	s_branch .LBB14_221
.LBB14_219:
                                        ; implicit-def: $vgpr4
.LBB14_220:
	ds_load_b32 v4, v68
.LBB14_221:
	v_mov_b32_e32 v17, 0
	ds_load_2addr_b32 v[18:19], v17 offset0:2 offset1:17
	s_wait_dscnt 0x0
	v_fma_f32 v17, v3, v19, v4
	s_delay_alu instid0(VALU_DEP_1) | instskip(NEXT) | instid1(VALU_DEP_1)
	v_cndmask_b32_e64 v4, v4, v17, s0
	v_mul_f32_e32 v4, v4, v18
.LBB14_222:
	s_or_b32 exec_lo, exec_lo, s1
	v_add_nc_u32_e32 v21, 1, v0
	v_cmp_gt_u32_e64 s1, 3, v0
	ds_store_b32 v68, v5
	s_wait_dscnt 0x0
	s_barrier_signal -1
	s_barrier_wait -1
	s_and_saveexec_b32 s2, s1
	s_cbranch_execz .LBB14_230
; %bb.223:
	v_cmp_ne_u32_e32 vcc_lo, 1, v20
	s_cbranch_vccnz .LBB14_225
; %bb.224:
	v_cmp_eq_u32_e32 vcc_lo, 1, v0
	ds_load_b32 v18, v68
	v_cndmask_b32_e32 v17, v2, v3, vcc_lo
	v_cmp_eq_u32_e32 vcc_lo, 2, v0
	s_delay_alu instid0(VALU_DEP_2) | instskip(SKIP_1) | instid1(VALU_DEP_2)
	v_cndmask_b32_e32 v17, v17, v4, vcc_lo
	v_cmp_eq_u32_e32 vcc_lo, 3, v0
	v_cndmask_b32_e32 v17, v17, v5, vcc_lo
	v_cmp_eq_u32_e32 vcc_lo, 4, v0
	s_delay_alu instid0(VALU_DEP_2) | instskip(SKIP_1) | instid1(VALU_DEP_2)
	v_cndmask_b32_e32 v17, v17, v6, vcc_lo
	v_cmp_eq_u32_e32 vcc_lo, 5, v0
	;; [unrolled: 5-line block ×6, first 2 shown]
	v_cndmask_b32_e32 v17, v17, v15, vcc_lo
	v_cmp_eq_u32_e32 vcc_lo, 14, v0
	s_delay_alu instid0(VALU_DEP_2) | instskip(SKIP_1) | instid1(VALU_DEP_1)
	v_cndmask_b32_e32 v17, v17, v16, vcc_lo
	s_wait_dscnt 0x0
	v_mul_f32_e32 v17, v17, v18
	s_cbranch_execz .LBB14_226
	s_branch .LBB14_227
.LBB14_225:
                                        ; implicit-def: $vgpr17
.LBB14_226:
	ds_load_b32 v17, v68
.LBB14_227:
	s_mov_b32 s3, exec_lo
	v_cmpx_ne_u32_e32 2, v0
	s_cbranch_execz .LBB14_229
; %bb.228:
	v_cmp_eq_u32_e32 vcc_lo, 1, v21
	v_dual_mov_b32 v19, 0 :: v_dual_cndmask_b32 v18, v2, v3
	v_cmp_eq_u32_e32 vcc_lo, 2, v21
	ds_load_b32 v19, v19 offset:72
	v_cndmask_b32_e32 v18, v18, v4, vcc_lo
	v_cmp_eq_u32_e32 vcc_lo, 3, v21
	s_delay_alu instid0(VALU_DEP_2) | instskip(SKIP_4) | instid1(VALU_DEP_2)
	v_cndmask_b32_e32 v5, v18, v5, vcc_lo
	v_cmp_eq_u32_e32 vcc_lo, 4, v21
	ds_load_b32 v18, v68 offset:4
	v_cndmask_b32_e32 v5, v5, v6, vcc_lo
	v_cmp_eq_u32_e32 vcc_lo, 5, v21
	v_cndmask_b32_e32 v5, v5, v7, vcc_lo
	v_cmp_eq_u32_e32 vcc_lo, 6, v21
	s_delay_alu instid0(VALU_DEP_2) | instskip(SKIP_1) | instid1(VALU_DEP_2)
	v_cndmask_b32_e32 v5, v5, v8, vcc_lo
	v_cmp_eq_u32_e32 vcc_lo, 7, v21
	v_cndmask_b32_e32 v5, v5, v9, vcc_lo
	v_cmp_eq_u32_e32 vcc_lo, 8, v21
	s_delay_alu instid0(VALU_DEP_2) | instskip(SKIP_1) | instid1(VALU_DEP_2)
	;; [unrolled: 5-line block ×4, first 2 shown]
	v_cndmask_b32_e32 v5, v5, v14, vcc_lo
	v_cmp_eq_u32_e32 vcc_lo, 13, v21
	v_cndmask_b32_e32 v5, v5, v15, vcc_lo
	v_cmp_eq_u32_e32 vcc_lo, 14, v21
	s_delay_alu instid0(VALU_DEP_2) | instskip(SKIP_1) | instid1(VALU_DEP_1)
	v_cndmask_b32_e32 v5, v5, v16, vcc_lo
	s_wait_dscnt 0x0
	v_fmac_f32_e32 v17, v5, v18
	s_delay_alu instid0(VALU_DEP_1) | instskip(NEXT) | instid1(VALU_DEP_1)
	v_fma_f32 v5, v4, v19, v17
	v_cndmask_b32_e64 v17, v17, v5, s0
.LBB14_229:
	s_or_b32 exec_lo, exec_lo, s3
	v_mov_b32_e32 v5, 0
	ds_load_b32 v5, v5 offset:12
	s_wait_dscnt 0x0
	v_mul_f32_e32 v5, v17, v5
.LBB14_230:
	s_or_b32 exec_lo, exec_lo, s2
	s_delay_alu instid0(SALU_CYCLE_1)
	s_mov_b32 s2, exec_lo
	ds_store_b32 v68, v6
	s_wait_dscnt 0x0
	s_barrier_signal -1
	s_barrier_wait -1
	v_cmpx_gt_u32_e32 4, v0
	s_cbranch_execz .LBB14_240
; %bb.231:
	v_cmp_ne_u32_e32 vcc_lo, 1, v20
	s_cbranch_vccnz .LBB14_233
; %bb.232:
	v_cmp_eq_u32_e32 vcc_lo, 1, v0
	ds_load_b32 v18, v68
	v_cndmask_b32_e32 v17, v2, v3, vcc_lo
	v_cmp_eq_u32_e32 vcc_lo, 2, v0
	s_delay_alu instid0(VALU_DEP_2) | instskip(SKIP_1) | instid1(VALU_DEP_2)
	v_cndmask_b32_e32 v17, v17, v4, vcc_lo
	v_cmp_eq_u32_e32 vcc_lo, 3, v0
	v_cndmask_b32_e32 v17, v17, v5, vcc_lo
	v_cmp_eq_u32_e32 vcc_lo, 4, v0
	s_delay_alu instid0(VALU_DEP_2) | instskip(SKIP_1) | instid1(VALU_DEP_2)
	v_cndmask_b32_e32 v17, v17, v6, vcc_lo
	v_cmp_eq_u32_e32 vcc_lo, 5, v0
	;; [unrolled: 5-line block ×6, first 2 shown]
	v_cndmask_b32_e32 v17, v17, v15, vcc_lo
	v_cmp_eq_u32_e32 vcc_lo, 14, v0
	s_delay_alu instid0(VALU_DEP_2) | instskip(SKIP_1) | instid1(VALU_DEP_1)
	v_cndmask_b32_e32 v17, v17, v16, vcc_lo
	s_wait_dscnt 0x0
	v_mul_f32_e32 v17, v17, v18
	s_cbranch_execz .LBB14_234
	s_branch .LBB14_235
.LBB14_233:
                                        ; implicit-def: $vgpr17
.LBB14_234:
	ds_load_b32 v17, v68
.LBB14_235:
	s_mov_b32 s3, exec_lo
	v_cmpx_ne_u32_e32 3, v0
	s_cbranch_execz .LBB14_239
; %bb.236:
	v_mov_b64_e32 v[18:19], v[0:1]
	v_lshl_add_u32 v22, v0, 2, 0x44
	s_mov_b32 s4, 0
.LBB14_237:                             ; =>This Inner Loop Header: Depth=1
	s_delay_alu instid0(VALU_DEP_2)
	v_add_nc_u64_e32 v[18:19], 1, v[18:19]
	ds_load_b32 v24, v22
	v_add_nc_u32_e32 v22, 4, v22
	v_cmp_eq_u32_e32 vcc_lo, 1, v18
	v_cndmask_b32_e32 v23, v2, v3, vcc_lo
	v_cmp_eq_u32_e32 vcc_lo, 2, v18
	s_delay_alu instid0(VALU_DEP_2) | instskip(SKIP_1) | instid1(VALU_DEP_2)
	v_cndmask_b32_e32 v23, v23, v4, vcc_lo
	v_cmp_eq_u32_e32 vcc_lo, 3, v18
	v_cndmask_b32_e32 v23, v23, v5, vcc_lo
	v_cmp_eq_u32_e32 vcc_lo, 4, v18
	s_delay_alu instid0(VALU_DEP_2) | instskip(SKIP_1) | instid1(VALU_DEP_2)
	v_cndmask_b32_e32 v23, v23, v6, vcc_lo
	;; [unrolled: 5-line block ×6, first 2 shown]
	v_cmp_eq_u32_e32 vcc_lo, 13, v18
	v_cndmask_b32_e32 v23, v23, v15, vcc_lo
	v_cmp_eq_u32_e32 vcc_lo, 14, v18
	s_delay_alu instid0(VALU_DEP_2) | instskip(SKIP_2) | instid1(VALU_DEP_2)
	v_cndmask_b32_e32 v23, v23, v16, vcc_lo
	v_cmp_lt_u32_e32 vcc_lo, 2, v18
	s_wait_dscnt 0x0
	v_fmac_f32_e32 v17, v23, v24
	s_or_b32 s4, vcc_lo, s4
	s_delay_alu instid0(SALU_CYCLE_1)
	s_and_not1_b32 exec_lo, exec_lo, s4
	s_cbranch_execnz .LBB14_237
; %bb.238:
	s_or_b32 exec_lo, exec_lo, s4
.LBB14_239:
	s_delay_alu instid0(SALU_CYCLE_1)
	s_or_b32 exec_lo, exec_lo, s3
	v_mov_b32_e32 v6, 0
	ds_load_b32 v6, v6 offset:16
	s_wait_dscnt 0x0
	v_mul_f32_e32 v6, v17, v6
.LBB14_240:
	s_or_b32 exec_lo, exec_lo, s2
	v_cmp_gt_u32_e64 s2, 5, v0
	ds_store_b32 v68, v7
	s_wait_dscnt 0x0
	s_barrier_signal -1
	s_barrier_wait -1
	s_and_saveexec_b32 s3, s2
	s_cbranch_execz .LBB14_250
; %bb.241:
	v_cmp_ne_u32_e32 vcc_lo, 1, v20
	s_cbranch_vccnz .LBB14_243
; %bb.242:
	v_cmp_eq_u32_e32 vcc_lo, 1, v0
	ds_load_b32 v18, v68
	v_cndmask_b32_e32 v17, v2, v3, vcc_lo
	v_cmp_eq_u32_e32 vcc_lo, 2, v0
	s_delay_alu instid0(VALU_DEP_2) | instskip(SKIP_1) | instid1(VALU_DEP_2)
	v_cndmask_b32_e32 v17, v17, v4, vcc_lo
	v_cmp_eq_u32_e32 vcc_lo, 3, v0
	v_cndmask_b32_e32 v17, v17, v5, vcc_lo
	v_cmp_eq_u32_e32 vcc_lo, 4, v0
	s_delay_alu instid0(VALU_DEP_2) | instskip(SKIP_1) | instid1(VALU_DEP_2)
	v_cndmask_b32_e32 v17, v17, v6, vcc_lo
	v_cmp_eq_u32_e32 vcc_lo, 5, v0
	;; [unrolled: 5-line block ×6, first 2 shown]
	v_cndmask_b32_e32 v17, v17, v15, vcc_lo
	v_cmp_eq_u32_e32 vcc_lo, 14, v0
	s_delay_alu instid0(VALU_DEP_2) | instskip(SKIP_1) | instid1(VALU_DEP_1)
	v_cndmask_b32_e32 v17, v17, v16, vcc_lo
	s_wait_dscnt 0x0
	v_mul_f32_e32 v17, v17, v18
	s_cbranch_execz .LBB14_244
	s_branch .LBB14_245
.LBB14_243:
                                        ; implicit-def: $vgpr17
.LBB14_244:
	ds_load_b32 v17, v68
.LBB14_245:
	s_mov_b32 s4, exec_lo
	v_cmpx_ne_u32_e32 4, v0
	s_cbranch_execz .LBB14_249
; %bb.246:
	v_mov_b64_e32 v[18:19], v[0:1]
	v_lshl_add_u32 v22, v0, 2, 0x44
	s_mov_b32 s5, 0
.LBB14_247:                             ; =>This Inner Loop Header: Depth=1
	s_delay_alu instid0(VALU_DEP_2)
	v_add_nc_u64_e32 v[18:19], 1, v[18:19]
	ds_load_b32 v24, v22
	v_add_nc_u32_e32 v22, 4, v22
	v_cmp_eq_u32_e32 vcc_lo, 1, v18
	v_cndmask_b32_e32 v23, v2, v3, vcc_lo
	v_cmp_eq_u32_e32 vcc_lo, 2, v18
	s_delay_alu instid0(VALU_DEP_2) | instskip(SKIP_1) | instid1(VALU_DEP_2)
	v_cndmask_b32_e32 v23, v23, v4, vcc_lo
	v_cmp_eq_u32_e32 vcc_lo, 3, v18
	v_cndmask_b32_e32 v23, v23, v5, vcc_lo
	v_cmp_eq_u32_e32 vcc_lo, 4, v18
	s_delay_alu instid0(VALU_DEP_2) | instskip(SKIP_1) | instid1(VALU_DEP_2)
	v_cndmask_b32_e32 v23, v23, v6, vcc_lo
	v_cmp_eq_u32_e32 vcc_lo, 5, v18
	v_cndmask_b32_e32 v23, v23, v7, vcc_lo
	v_cmp_eq_u32_e32 vcc_lo, 6, v18
	s_delay_alu instid0(VALU_DEP_2) | instskip(SKIP_1) | instid1(VALU_DEP_2)
	v_cndmask_b32_e32 v23, v23, v8, vcc_lo
	v_cmp_eq_u32_e32 vcc_lo, 7, v18
	v_cndmask_b32_e32 v23, v23, v9, vcc_lo
	v_cmp_eq_u32_e32 vcc_lo, 8, v18
	s_delay_alu instid0(VALU_DEP_2) | instskip(SKIP_1) | instid1(VALU_DEP_2)
	v_cndmask_b32_e32 v23, v23, v10, vcc_lo
	v_cmp_eq_u32_e32 vcc_lo, 9, v18
	v_cndmask_b32_e32 v23, v23, v11, vcc_lo
	v_cmp_eq_u32_e32 vcc_lo, 10, v18
	s_delay_alu instid0(VALU_DEP_2) | instskip(SKIP_1) | instid1(VALU_DEP_2)
	v_cndmask_b32_e32 v23, v23, v12, vcc_lo
	v_cmp_eq_u32_e32 vcc_lo, 11, v18
	v_cndmask_b32_e32 v23, v23, v13, vcc_lo
	v_cmp_eq_u32_e32 vcc_lo, 12, v18
	s_delay_alu instid0(VALU_DEP_2) | instskip(SKIP_1) | instid1(VALU_DEP_2)
	v_cndmask_b32_e32 v23, v23, v14, vcc_lo
	v_cmp_eq_u32_e32 vcc_lo, 13, v18
	v_cndmask_b32_e32 v23, v23, v15, vcc_lo
	v_cmp_eq_u32_e32 vcc_lo, 14, v18
	s_delay_alu instid0(VALU_DEP_2) | instskip(SKIP_2) | instid1(VALU_DEP_2)
	v_cndmask_b32_e32 v23, v23, v16, vcc_lo
	v_cmp_lt_u32_e32 vcc_lo, 3, v18
	s_wait_dscnt 0x0
	v_fmac_f32_e32 v17, v23, v24
	s_or_b32 s5, vcc_lo, s5
	s_delay_alu instid0(SALU_CYCLE_1)
	s_and_not1_b32 exec_lo, exec_lo, s5
	s_cbranch_execnz .LBB14_247
; %bb.248:
	s_or_b32 exec_lo, exec_lo, s5
.LBB14_249:
	s_delay_alu instid0(SALU_CYCLE_1)
	s_or_b32 exec_lo, exec_lo, s4
	v_mov_b32_e32 v7, 0
	ds_load_b32 v7, v7 offset:20
	s_wait_dscnt 0x0
	v_mul_f32_e32 v7, v17, v7
.LBB14_250:
	s_or_b32 exec_lo, exec_lo, s3
	s_delay_alu instid0(SALU_CYCLE_1)
	s_mov_b32 s3, exec_lo
	ds_store_b32 v68, v8
	s_wait_dscnt 0x0
	s_barrier_signal -1
	s_barrier_wait -1
	v_cmpx_gt_u32_e32 6, v0
	s_cbranch_execz .LBB14_260
; %bb.251:
	v_cmp_ne_u32_e32 vcc_lo, 1, v20
	s_cbranch_vccnz .LBB14_253
; %bb.252:
	v_cmp_eq_u32_e32 vcc_lo, 1, v0
	ds_load_b32 v18, v68
	v_cndmask_b32_e32 v17, v2, v3, vcc_lo
	v_cmp_eq_u32_e32 vcc_lo, 2, v0
	s_delay_alu instid0(VALU_DEP_2) | instskip(SKIP_1) | instid1(VALU_DEP_2)
	v_cndmask_b32_e32 v17, v17, v4, vcc_lo
	v_cmp_eq_u32_e32 vcc_lo, 3, v0
	v_cndmask_b32_e32 v17, v17, v5, vcc_lo
	v_cmp_eq_u32_e32 vcc_lo, 4, v0
	s_delay_alu instid0(VALU_DEP_2) | instskip(SKIP_1) | instid1(VALU_DEP_2)
	v_cndmask_b32_e32 v17, v17, v6, vcc_lo
	v_cmp_eq_u32_e32 vcc_lo, 5, v0
	;; [unrolled: 5-line block ×6, first 2 shown]
	v_cndmask_b32_e32 v17, v17, v15, vcc_lo
	v_cmp_eq_u32_e32 vcc_lo, 14, v0
	s_delay_alu instid0(VALU_DEP_2) | instskip(SKIP_1) | instid1(VALU_DEP_1)
	v_cndmask_b32_e32 v17, v17, v16, vcc_lo
	s_wait_dscnt 0x0
	v_mul_f32_e32 v17, v17, v18
	s_cbranch_execz .LBB14_254
	s_branch .LBB14_255
.LBB14_253:
                                        ; implicit-def: $vgpr17
.LBB14_254:
	ds_load_b32 v17, v68
.LBB14_255:
	s_mov_b32 s4, exec_lo
	v_cmpx_ne_u32_e32 5, v0
	s_cbranch_execz .LBB14_259
; %bb.256:
	v_mov_b64_e32 v[18:19], v[0:1]
	v_lshl_add_u32 v22, v0, 2, 0x44
	s_mov_b32 s5, 0
.LBB14_257:                             ; =>This Inner Loop Header: Depth=1
	s_delay_alu instid0(VALU_DEP_2)
	v_add_nc_u64_e32 v[18:19], 1, v[18:19]
	ds_load_b32 v24, v22
	v_add_nc_u32_e32 v22, 4, v22
	v_cmp_eq_u32_e32 vcc_lo, 1, v18
	v_cndmask_b32_e32 v23, v2, v3, vcc_lo
	v_cmp_eq_u32_e32 vcc_lo, 2, v18
	s_delay_alu instid0(VALU_DEP_2) | instskip(SKIP_1) | instid1(VALU_DEP_2)
	v_cndmask_b32_e32 v23, v23, v4, vcc_lo
	v_cmp_eq_u32_e32 vcc_lo, 3, v18
	v_cndmask_b32_e32 v23, v23, v5, vcc_lo
	v_cmp_eq_u32_e32 vcc_lo, 4, v18
	s_delay_alu instid0(VALU_DEP_2) | instskip(SKIP_1) | instid1(VALU_DEP_2)
	v_cndmask_b32_e32 v23, v23, v6, vcc_lo
	;; [unrolled: 5-line block ×6, first 2 shown]
	v_cmp_eq_u32_e32 vcc_lo, 13, v18
	v_cndmask_b32_e32 v23, v23, v15, vcc_lo
	v_cmp_eq_u32_e32 vcc_lo, 14, v18
	s_delay_alu instid0(VALU_DEP_2) | instskip(SKIP_2) | instid1(VALU_DEP_2)
	v_cndmask_b32_e32 v23, v23, v16, vcc_lo
	v_cmp_lt_u32_e32 vcc_lo, 4, v18
	s_wait_dscnt 0x0
	v_fmac_f32_e32 v17, v23, v24
	s_or_b32 s5, vcc_lo, s5
	s_delay_alu instid0(SALU_CYCLE_1)
	s_and_not1_b32 exec_lo, exec_lo, s5
	s_cbranch_execnz .LBB14_257
; %bb.258:
	s_or_b32 exec_lo, exec_lo, s5
.LBB14_259:
	s_delay_alu instid0(SALU_CYCLE_1)
	s_or_b32 exec_lo, exec_lo, s4
	v_mov_b32_e32 v8, 0
	ds_load_b32 v8, v8 offset:24
	s_wait_dscnt 0x0
	v_mul_f32_e32 v8, v17, v8
.LBB14_260:
	s_or_b32 exec_lo, exec_lo, s3
	v_cmp_gt_u32_e64 s3, 7, v0
	ds_store_b32 v68, v9
	s_wait_dscnt 0x0
	s_barrier_signal -1
	s_barrier_wait -1
	s_and_saveexec_b32 s4, s3
	s_cbranch_execz .LBB14_270
; %bb.261:
	v_cmp_ne_u32_e32 vcc_lo, 1, v20
	s_cbranch_vccnz .LBB14_263
; %bb.262:
	v_cmp_eq_u32_e32 vcc_lo, 1, v0
	ds_load_b32 v18, v68
	v_cndmask_b32_e32 v17, v2, v3, vcc_lo
	v_cmp_eq_u32_e32 vcc_lo, 2, v0
	s_delay_alu instid0(VALU_DEP_2) | instskip(SKIP_1) | instid1(VALU_DEP_2)
	v_cndmask_b32_e32 v17, v17, v4, vcc_lo
	v_cmp_eq_u32_e32 vcc_lo, 3, v0
	v_cndmask_b32_e32 v17, v17, v5, vcc_lo
	v_cmp_eq_u32_e32 vcc_lo, 4, v0
	s_delay_alu instid0(VALU_DEP_2) | instskip(SKIP_1) | instid1(VALU_DEP_2)
	v_cndmask_b32_e32 v17, v17, v6, vcc_lo
	v_cmp_eq_u32_e32 vcc_lo, 5, v0
	;; [unrolled: 5-line block ×6, first 2 shown]
	v_cndmask_b32_e32 v17, v17, v15, vcc_lo
	v_cmp_eq_u32_e32 vcc_lo, 14, v0
	s_delay_alu instid0(VALU_DEP_2) | instskip(SKIP_1) | instid1(VALU_DEP_1)
	v_cndmask_b32_e32 v17, v17, v16, vcc_lo
	s_wait_dscnt 0x0
	v_mul_f32_e32 v17, v17, v18
	s_cbranch_execz .LBB14_264
	s_branch .LBB14_265
.LBB14_263:
                                        ; implicit-def: $vgpr17
.LBB14_264:
	ds_load_b32 v17, v68
.LBB14_265:
	s_mov_b32 s5, exec_lo
	v_cmpx_ne_u32_e32 6, v0
	s_cbranch_execz .LBB14_269
; %bb.266:
	v_mov_b64_e32 v[18:19], v[0:1]
	v_lshl_add_u32 v22, v0, 2, 0x44
	s_mov_b32 s6, 0
.LBB14_267:                             ; =>This Inner Loop Header: Depth=1
	s_delay_alu instid0(VALU_DEP_2)
	v_add_nc_u64_e32 v[18:19], 1, v[18:19]
	ds_load_b32 v24, v22
	v_add_nc_u32_e32 v22, 4, v22
	v_cmp_eq_u32_e32 vcc_lo, 1, v18
	v_cndmask_b32_e32 v23, v2, v3, vcc_lo
	v_cmp_eq_u32_e32 vcc_lo, 2, v18
	s_delay_alu instid0(VALU_DEP_2) | instskip(SKIP_1) | instid1(VALU_DEP_2)
	v_cndmask_b32_e32 v23, v23, v4, vcc_lo
	v_cmp_eq_u32_e32 vcc_lo, 3, v18
	v_cndmask_b32_e32 v23, v23, v5, vcc_lo
	v_cmp_eq_u32_e32 vcc_lo, 4, v18
	s_delay_alu instid0(VALU_DEP_2) | instskip(SKIP_1) | instid1(VALU_DEP_2)
	v_cndmask_b32_e32 v23, v23, v6, vcc_lo
	;; [unrolled: 5-line block ×6, first 2 shown]
	v_cmp_eq_u32_e32 vcc_lo, 13, v18
	v_cndmask_b32_e32 v23, v23, v15, vcc_lo
	v_cmp_eq_u32_e32 vcc_lo, 14, v18
	s_delay_alu instid0(VALU_DEP_2) | instskip(SKIP_2) | instid1(VALU_DEP_2)
	v_cndmask_b32_e32 v23, v23, v16, vcc_lo
	v_cmp_lt_u32_e32 vcc_lo, 5, v18
	s_wait_dscnt 0x0
	v_fmac_f32_e32 v17, v23, v24
	s_or_b32 s6, vcc_lo, s6
	s_delay_alu instid0(SALU_CYCLE_1)
	s_and_not1_b32 exec_lo, exec_lo, s6
	s_cbranch_execnz .LBB14_267
; %bb.268:
	s_or_b32 exec_lo, exec_lo, s6
.LBB14_269:
	s_delay_alu instid0(SALU_CYCLE_1)
	s_or_b32 exec_lo, exec_lo, s5
	v_mov_b32_e32 v9, 0
	ds_load_b32 v9, v9 offset:28
	s_wait_dscnt 0x0
	v_mul_f32_e32 v9, v17, v9
.LBB14_270:
	s_or_b32 exec_lo, exec_lo, s4
	s_delay_alu instid0(SALU_CYCLE_1)
	s_mov_b32 s4, exec_lo
	ds_store_b32 v68, v10
	s_wait_dscnt 0x0
	s_barrier_signal -1
	s_barrier_wait -1
	v_cmpx_gt_u32_e32 8, v0
	s_cbranch_execz .LBB14_280
; %bb.271:
	v_cmp_ne_u32_e32 vcc_lo, 1, v20
	s_cbranch_vccnz .LBB14_273
; %bb.272:
	v_cmp_eq_u32_e32 vcc_lo, 1, v0
	ds_load_b32 v18, v68
	v_cndmask_b32_e32 v17, v2, v3, vcc_lo
	v_cmp_eq_u32_e32 vcc_lo, 2, v0
	s_delay_alu instid0(VALU_DEP_2) | instskip(SKIP_1) | instid1(VALU_DEP_2)
	v_cndmask_b32_e32 v17, v17, v4, vcc_lo
	v_cmp_eq_u32_e32 vcc_lo, 3, v0
	v_cndmask_b32_e32 v17, v17, v5, vcc_lo
	v_cmp_eq_u32_e32 vcc_lo, 4, v0
	s_delay_alu instid0(VALU_DEP_2) | instskip(SKIP_1) | instid1(VALU_DEP_2)
	v_cndmask_b32_e32 v17, v17, v6, vcc_lo
	v_cmp_eq_u32_e32 vcc_lo, 5, v0
	;; [unrolled: 5-line block ×6, first 2 shown]
	v_cndmask_b32_e32 v17, v17, v15, vcc_lo
	v_cmp_eq_u32_e32 vcc_lo, 14, v0
	s_delay_alu instid0(VALU_DEP_2) | instskip(SKIP_1) | instid1(VALU_DEP_1)
	v_cndmask_b32_e32 v17, v17, v16, vcc_lo
	s_wait_dscnt 0x0
	v_mul_f32_e32 v17, v17, v18
	s_cbranch_execz .LBB14_274
	s_branch .LBB14_275
.LBB14_273:
                                        ; implicit-def: $vgpr17
.LBB14_274:
	ds_load_b32 v17, v68
.LBB14_275:
	s_mov_b32 s5, exec_lo
	v_cmpx_ne_u32_e32 7, v0
	s_cbranch_execz .LBB14_279
; %bb.276:
	v_mov_b64_e32 v[18:19], v[0:1]
	v_lshl_add_u32 v22, v0, 2, 0x44
	s_mov_b32 s6, 0
.LBB14_277:                             ; =>This Inner Loop Header: Depth=1
	s_delay_alu instid0(VALU_DEP_2)
	v_add_nc_u64_e32 v[18:19], 1, v[18:19]
	ds_load_b32 v24, v22
	v_add_nc_u32_e32 v22, 4, v22
	v_cmp_eq_u32_e32 vcc_lo, 1, v18
	v_cndmask_b32_e32 v23, v2, v3, vcc_lo
	v_cmp_eq_u32_e32 vcc_lo, 2, v18
	s_delay_alu instid0(VALU_DEP_2) | instskip(SKIP_1) | instid1(VALU_DEP_2)
	v_cndmask_b32_e32 v23, v23, v4, vcc_lo
	v_cmp_eq_u32_e32 vcc_lo, 3, v18
	v_cndmask_b32_e32 v23, v23, v5, vcc_lo
	v_cmp_eq_u32_e32 vcc_lo, 4, v18
	s_delay_alu instid0(VALU_DEP_2) | instskip(SKIP_1) | instid1(VALU_DEP_2)
	v_cndmask_b32_e32 v23, v23, v6, vcc_lo
	;; [unrolled: 5-line block ×6, first 2 shown]
	v_cmp_eq_u32_e32 vcc_lo, 13, v18
	v_cndmask_b32_e32 v23, v23, v15, vcc_lo
	v_cmp_eq_u32_e32 vcc_lo, 14, v18
	s_delay_alu instid0(VALU_DEP_2) | instskip(SKIP_2) | instid1(VALU_DEP_2)
	v_cndmask_b32_e32 v23, v23, v16, vcc_lo
	v_cmp_lt_u32_e32 vcc_lo, 6, v18
	s_wait_dscnt 0x0
	v_fmac_f32_e32 v17, v23, v24
	s_or_b32 s6, vcc_lo, s6
	s_delay_alu instid0(SALU_CYCLE_1)
	s_and_not1_b32 exec_lo, exec_lo, s6
	s_cbranch_execnz .LBB14_277
; %bb.278:
	s_or_b32 exec_lo, exec_lo, s6
.LBB14_279:
	s_delay_alu instid0(SALU_CYCLE_1)
	s_or_b32 exec_lo, exec_lo, s5
	v_mov_b32_e32 v10, 0
	ds_load_b32 v10, v10 offset:32
	s_wait_dscnt 0x0
	v_mul_f32_e32 v10, v17, v10
.LBB14_280:
	s_or_b32 exec_lo, exec_lo, s4
	s_delay_alu instid0(SALU_CYCLE_1)
	s_mov_b32 s4, exec_lo
	ds_store_b32 v68, v11
	s_wait_dscnt 0x0
	s_barrier_signal -1
	s_barrier_wait -1
	v_cmpx_gt_u32_e32 9, v0
	s_cbranch_execz .LBB14_302
; %bb.281:
	v_cmp_ne_u32_e32 vcc_lo, 1, v20
	s_cbranch_vccnz .LBB14_283
; %bb.282:
	v_cmp_eq_u32_e32 vcc_lo, 1, v0
	ds_load_b32 v18, v68
	v_cndmask_b32_e32 v17, v2, v3, vcc_lo
	v_cmp_eq_u32_e32 vcc_lo, 2, v0
	s_delay_alu instid0(VALU_DEP_2) | instskip(SKIP_1) | instid1(VALU_DEP_2)
	v_cndmask_b32_e32 v17, v17, v4, vcc_lo
	v_cmp_eq_u32_e32 vcc_lo, 3, v0
	v_cndmask_b32_e32 v17, v17, v5, vcc_lo
	v_cmp_eq_u32_e32 vcc_lo, 4, v0
	s_delay_alu instid0(VALU_DEP_2) | instskip(SKIP_1) | instid1(VALU_DEP_2)
	v_cndmask_b32_e32 v17, v17, v6, vcc_lo
	v_cmp_eq_u32_e32 vcc_lo, 5, v0
	;; [unrolled: 5-line block ×6, first 2 shown]
	v_cndmask_b32_e32 v17, v17, v15, vcc_lo
	v_cmp_eq_u32_e32 vcc_lo, 14, v0
	s_delay_alu instid0(VALU_DEP_2) | instskip(SKIP_1) | instid1(VALU_DEP_1)
	v_cndmask_b32_e32 v17, v17, v16, vcc_lo
	s_wait_dscnt 0x0
	v_mul_f32_e32 v17, v17, v18
	s_cbranch_execz .LBB14_284
	s_branch .LBB14_285
.LBB14_283:
                                        ; implicit-def: $vgpr17
.LBB14_284:
	ds_load_b32 v17, v68
.LBB14_285:
	s_mov_b32 s5, exec_lo
	v_cmpx_ne_u32_e32 8, v0
	s_cbranch_execz .LBB14_301
; %bb.286:
	v_cmp_eq_u32_e32 vcc_lo, 1, v21
	ds_load_b32 v19, v68 offset:4
	v_cndmask_b32_e32 v18, v2, v3, vcc_lo
	v_cmp_eq_u32_e32 vcc_lo, 2, v21
	s_delay_alu instid0(VALU_DEP_2) | instskip(SKIP_1) | instid1(VALU_DEP_2)
	v_cndmask_b32_e32 v18, v18, v4, vcc_lo
	v_cmp_eq_u32_e32 vcc_lo, 3, v21
	v_cndmask_b32_e32 v18, v18, v5, vcc_lo
	v_cmp_eq_u32_e32 vcc_lo, 4, v21
	s_delay_alu instid0(VALU_DEP_2) | instskip(SKIP_1) | instid1(VALU_DEP_2)
	v_cndmask_b32_e32 v18, v18, v6, vcc_lo
	v_cmp_eq_u32_e32 vcc_lo, 5, v21
	;; [unrolled: 5-line block ×6, first 2 shown]
	v_cndmask_b32_e32 v18, v18, v15, vcc_lo
	v_cmp_eq_u32_e32 vcc_lo, 14, v21
	s_delay_alu instid0(VALU_DEP_2) | instskip(SKIP_1) | instid1(VALU_DEP_1)
	v_cndmask_b32_e32 v18, v18, v16, vcc_lo
	s_wait_dscnt 0x0
	v_fmac_f32_e32 v17, v18, v19
	s_and_saveexec_b32 s6, s3
	s_cbranch_execz .LBB14_300
; %bb.287:
	v_add_nc_u32_e32 v18, 2, v0
	ds_load_b32 v21, v68 offset:8
	s_mov_b32 s3, exec_lo
	v_cmp_eq_u32_e32 vcc_lo, 1, v18
	v_cndmask_b32_e32 v19, v2, v3, vcc_lo
	v_cmp_eq_u32_e32 vcc_lo, 2, v18
	s_delay_alu instid0(VALU_DEP_2) | instskip(SKIP_1) | instid1(VALU_DEP_2)
	v_cndmask_b32_e32 v19, v19, v4, vcc_lo
	v_cmp_eq_u32_e32 vcc_lo, 3, v18
	v_cndmask_b32_e32 v19, v19, v5, vcc_lo
	v_cmp_eq_u32_e32 vcc_lo, 4, v18
	s_delay_alu instid0(VALU_DEP_2) | instskip(SKIP_1) | instid1(VALU_DEP_2)
	v_cndmask_b32_e32 v19, v19, v6, vcc_lo
	;; [unrolled: 5-line block ×6, first 2 shown]
	v_cmp_eq_u32_e32 vcc_lo, 13, v18
	v_cndmask_b32_e32 v19, v19, v15, vcc_lo
	v_cmp_eq_u32_e32 vcc_lo, 14, v18
	s_delay_alu instid0(VALU_DEP_2) | instskip(SKIP_1) | instid1(VALU_DEP_1)
	v_cndmask_b32_e32 v18, v19, v16, vcc_lo
	s_wait_dscnt 0x0
	v_fmac_f32_e32 v17, v18, v21
	v_cmpx_ne_u32_e32 6, v0
	s_cbranch_execz .LBB14_299
; %bb.288:
	v_add_nc_u32_e32 v18, 3, v0
	ds_load_b32 v21, v68 offset:12
	v_cmp_eq_u32_e32 vcc_lo, 1, v18
	v_cndmask_b32_e32 v19, v2, v3, vcc_lo
	v_cmp_eq_u32_e32 vcc_lo, 2, v18
	s_delay_alu instid0(VALU_DEP_2) | instskip(SKIP_1) | instid1(VALU_DEP_2)
	v_cndmask_b32_e32 v19, v19, v4, vcc_lo
	v_cmp_eq_u32_e32 vcc_lo, 3, v18
	v_cndmask_b32_e32 v19, v19, v5, vcc_lo
	v_cmp_eq_u32_e32 vcc_lo, 4, v18
	s_delay_alu instid0(VALU_DEP_2) | instskip(SKIP_1) | instid1(VALU_DEP_2)
	v_cndmask_b32_e32 v19, v19, v6, vcc_lo
	;; [unrolled: 5-line block ×6, first 2 shown]
	v_cmp_eq_u32_e32 vcc_lo, 13, v18
	v_cndmask_b32_e32 v19, v19, v15, vcc_lo
	v_cmp_eq_u32_e32 vcc_lo, 14, v18
	s_delay_alu instid0(VALU_DEP_2) | instskip(SKIP_1) | instid1(VALU_DEP_1)
	v_cndmask_b32_e32 v18, v19, v16, vcc_lo
	s_wait_dscnt 0x0
	v_fmac_f32_e32 v17, v18, v21
	s_and_saveexec_b32 s7, s2
	s_cbranch_execz .LBB14_298
; %bb.289:
	v_add_nc_u32_e32 v18, 4, v0
	ds_load_b32 v21, v68 offset:16
	s_mov_b32 s2, exec_lo
	v_cmp_eq_u32_e32 vcc_lo, 1, v18
	v_cndmask_b32_e32 v19, v2, v3, vcc_lo
	v_cmp_eq_u32_e32 vcc_lo, 2, v18
	s_delay_alu instid0(VALU_DEP_2) | instskip(SKIP_1) | instid1(VALU_DEP_2)
	v_cndmask_b32_e32 v19, v19, v4, vcc_lo
	v_cmp_eq_u32_e32 vcc_lo, 3, v18
	v_cndmask_b32_e32 v19, v19, v5, vcc_lo
	v_cmp_eq_u32_e32 vcc_lo, 4, v18
	s_delay_alu instid0(VALU_DEP_2) | instskip(SKIP_1) | instid1(VALU_DEP_2)
	v_cndmask_b32_e32 v19, v19, v6, vcc_lo
	;; [unrolled: 5-line block ×6, first 2 shown]
	v_cmp_eq_u32_e32 vcc_lo, 13, v18
	v_cndmask_b32_e32 v19, v19, v15, vcc_lo
	v_cmp_eq_u32_e32 vcc_lo, 14, v18
	s_delay_alu instid0(VALU_DEP_2) | instskip(SKIP_1) | instid1(VALU_DEP_1)
	v_cndmask_b32_e32 v18, v19, v16, vcc_lo
	s_wait_dscnt 0x0
	v_fmac_f32_e32 v17, v18, v21
	v_cmpx_ne_u32_e32 4, v0
	s_cbranch_execz .LBB14_297
; %bb.290:
	v_add_nc_u32_e32 v18, 5, v0
	ds_load_b32 v21, v68 offset:20
	v_cmp_eq_u32_e32 vcc_lo, 1, v18
	v_cndmask_b32_e32 v19, v2, v3, vcc_lo
	v_cmp_eq_u32_e32 vcc_lo, 2, v18
	s_delay_alu instid0(VALU_DEP_2) | instskip(SKIP_1) | instid1(VALU_DEP_2)
	v_cndmask_b32_e32 v19, v19, v4, vcc_lo
	v_cmp_eq_u32_e32 vcc_lo, 3, v18
	v_cndmask_b32_e32 v19, v19, v5, vcc_lo
	v_cmp_eq_u32_e32 vcc_lo, 4, v18
	s_delay_alu instid0(VALU_DEP_2) | instskip(SKIP_1) | instid1(VALU_DEP_2)
	v_cndmask_b32_e32 v19, v19, v6, vcc_lo
	;; [unrolled: 5-line block ×6, first 2 shown]
	v_cmp_eq_u32_e32 vcc_lo, 13, v18
	v_cndmask_b32_e32 v19, v19, v15, vcc_lo
	v_cmp_eq_u32_e32 vcc_lo, 14, v18
	s_delay_alu instid0(VALU_DEP_2) | instskip(SKIP_1) | instid1(VALU_DEP_1)
	v_cndmask_b32_e32 v18, v19, v16, vcc_lo
	s_wait_dscnt 0x0
	v_fmac_f32_e32 v17, v18, v21
	s_and_saveexec_b32 s8, s1
	s_cbranch_execz .LBB14_296
; %bb.291:
	v_add_nc_u32_e32 v18, 6, v0
	ds_load_b32 v21, v68 offset:24
	s_mov_b32 s1, exec_lo
	v_cmp_eq_u32_e32 vcc_lo, 1, v18
	v_cndmask_b32_e32 v19, v2, v3, vcc_lo
	v_cmp_eq_u32_e32 vcc_lo, 2, v18
	s_delay_alu instid0(VALU_DEP_2) | instskip(SKIP_1) | instid1(VALU_DEP_2)
	v_cndmask_b32_e32 v19, v19, v4, vcc_lo
	v_cmp_eq_u32_e32 vcc_lo, 3, v18
	v_cndmask_b32_e32 v19, v19, v5, vcc_lo
	v_cmp_eq_u32_e32 vcc_lo, 4, v18
	s_delay_alu instid0(VALU_DEP_2) | instskip(SKIP_1) | instid1(VALU_DEP_2)
	v_cndmask_b32_e32 v19, v19, v6, vcc_lo
	;; [unrolled: 5-line block ×6, first 2 shown]
	v_cmp_eq_u32_e32 vcc_lo, 13, v18
	v_cndmask_b32_e32 v19, v19, v15, vcc_lo
	v_cmp_eq_u32_e32 vcc_lo, 14, v18
	s_delay_alu instid0(VALU_DEP_2) | instskip(SKIP_1) | instid1(VALU_DEP_1)
	v_cndmask_b32_e32 v18, v19, v16, vcc_lo
	s_wait_dscnt 0x0
	v_fmac_f32_e32 v17, v18, v21
	v_cmpx_ne_u32_e32 2, v0
	s_cbranch_execz .LBB14_295
; %bb.292:
	v_add_nc_u32_e32 v18, 7, v0
	s_delay_alu instid0(VALU_DEP_1) | instskip(SKIP_2) | instid1(VALU_DEP_2)
	v_cmp_eq_u32_e32 vcc_lo, 1, v18
	v_cndmask_b32_e32 v19, v2, v3, vcc_lo
	v_cmp_eq_u32_e32 vcc_lo, 2, v18
	v_cndmask_b32_e32 v19, v19, v4, vcc_lo
	v_cmp_eq_u32_e32 vcc_lo, 3, v18
	s_delay_alu instid0(VALU_DEP_2) | instskip(SKIP_1) | instid1(VALU_DEP_2)
	v_cndmask_b32_e32 v19, v19, v5, vcc_lo
	v_cmp_eq_u32_e32 vcc_lo, 4, v18
	v_cndmask_b32_e32 v19, v19, v6, vcc_lo
	v_cmp_eq_u32_e32 vcc_lo, 5, v18
	s_delay_alu instid0(VALU_DEP_2) | instskip(SKIP_1) | instid1(VALU_DEP_2)
	v_cndmask_b32_e32 v19, v19, v7, vcc_lo
	v_cmp_eq_u32_e32 vcc_lo, 6, v18
	v_cndmask_b32_e32 v19, v19, v8, vcc_lo
	v_cmp_eq_u32_e32 vcc_lo, 7, v18
	s_delay_alu instid0(VALU_DEP_2) | instskip(SKIP_1) | instid1(VALU_DEP_2)
	v_cndmask_b32_e32 v19, v19, v9, vcc_lo
	v_cmp_eq_u32_e32 vcc_lo, 8, v18
	v_cndmask_b32_e32 v19, v19, v10, vcc_lo
	v_cmp_eq_u32_e32 vcc_lo, 9, v18
	s_delay_alu instid0(VALU_DEP_2) | instskip(SKIP_4) | instid1(VALU_DEP_2)
	v_cndmask_b32_e32 v11, v19, v11, vcc_lo
	v_cmp_eq_u32_e32 vcc_lo, 10, v18
	ds_load_b32 v19, v68 offset:28
	v_cndmask_b32_e32 v11, v11, v12, vcc_lo
	v_cmp_eq_u32_e32 vcc_lo, 11, v18
	v_cndmask_b32_e32 v11, v11, v13, vcc_lo
	v_cmp_eq_u32_e32 vcc_lo, 12, v18
	s_delay_alu instid0(VALU_DEP_2) | instskip(SKIP_1) | instid1(VALU_DEP_2)
	v_cndmask_b32_e32 v11, v11, v14, vcc_lo
	v_cmp_eq_u32_e32 vcc_lo, 13, v18
	v_cndmask_b32_e32 v11, v11, v15, vcc_lo
	v_cmp_eq_u32_e32 vcc_lo, 14, v18
	s_delay_alu instid0(VALU_DEP_2) | instskip(SKIP_1) | instid1(VALU_DEP_1)
	v_cndmask_b32_e32 v11, v11, v16, vcc_lo
	s_wait_dscnt 0x0
	v_fmac_f32_e32 v17, v11, v19
	s_and_saveexec_b32 s9, s0
	s_cbranch_execz .LBB14_294
; %bb.293:
	ds_load_b32 v11, v68 offset:32
	s_wait_dscnt 0x0
	v_fmac_f32_e32 v17, v10, v11
.LBB14_294:
	s_or_b32 exec_lo, exec_lo, s9
.LBB14_295:
	s_delay_alu instid0(SALU_CYCLE_1)
	s_or_b32 exec_lo, exec_lo, s1
.LBB14_296:
	s_delay_alu instid0(SALU_CYCLE_1)
	s_or_b32 exec_lo, exec_lo, s8
.LBB14_297:
	s_delay_alu instid0(SALU_CYCLE_1)
	s_or_b32 exec_lo, exec_lo, s2
.LBB14_298:
	s_delay_alu instid0(SALU_CYCLE_1)
	s_or_b32 exec_lo, exec_lo, s7
.LBB14_299:
	s_delay_alu instid0(SALU_CYCLE_1)
	s_or_b32 exec_lo, exec_lo, s3
.LBB14_300:
	s_delay_alu instid0(SALU_CYCLE_1)
	s_or_b32 exec_lo, exec_lo, s6
.LBB14_301:
	s_delay_alu instid0(SALU_CYCLE_1)
	s_or_b32 exec_lo, exec_lo, s5
	v_mov_b32_e32 v11, 0
	ds_load_b32 v11, v11 offset:36
	s_wait_dscnt 0x0
	v_mul_f32_e32 v11, v17, v11
.LBB14_302:
	s_or_b32 exec_lo, exec_lo, s4
	s_delay_alu instid0(SALU_CYCLE_1)
	s_mov_b32 s0, exec_lo
	ds_store_b32 v68, v12
	s_wait_dscnt 0x0
	s_barrier_signal -1
	s_barrier_wait -1
	v_cmpx_gt_u32_e32 10, v0
	s_cbranch_execz .LBB14_312
; %bb.303:
	v_cmp_ne_u32_e32 vcc_lo, 1, v20
	s_cbranch_vccnz .LBB14_305
; %bb.304:
	v_cmp_eq_u32_e32 vcc_lo, 1, v0
	ds_load_b32 v18, v68
	v_cndmask_b32_e32 v17, v2, v3, vcc_lo
	v_cmp_eq_u32_e32 vcc_lo, 2, v0
	s_delay_alu instid0(VALU_DEP_2) | instskip(SKIP_1) | instid1(VALU_DEP_2)
	v_cndmask_b32_e32 v17, v17, v4, vcc_lo
	v_cmp_eq_u32_e32 vcc_lo, 3, v0
	v_cndmask_b32_e32 v17, v17, v5, vcc_lo
	v_cmp_eq_u32_e32 vcc_lo, 4, v0
	s_delay_alu instid0(VALU_DEP_2) | instskip(SKIP_1) | instid1(VALU_DEP_2)
	v_cndmask_b32_e32 v17, v17, v6, vcc_lo
	v_cmp_eq_u32_e32 vcc_lo, 5, v0
	;; [unrolled: 5-line block ×6, first 2 shown]
	v_cndmask_b32_e32 v17, v17, v15, vcc_lo
	v_cmp_eq_u32_e32 vcc_lo, 14, v0
	s_delay_alu instid0(VALU_DEP_2) | instskip(SKIP_1) | instid1(VALU_DEP_1)
	v_cndmask_b32_e32 v17, v17, v16, vcc_lo
	s_wait_dscnt 0x0
	v_mul_f32_e32 v17, v17, v18
	s_cbranch_execz .LBB14_306
	s_branch .LBB14_307
.LBB14_305:
                                        ; implicit-def: $vgpr17
.LBB14_306:
	ds_load_b32 v17, v68
.LBB14_307:
	s_mov_b32 s1, exec_lo
	v_cmpx_ne_u32_e32 9, v0
	s_cbranch_execz .LBB14_311
; %bb.308:
	v_mov_b64_e32 v[18:19], v[0:1]
	v_lshl_add_u32 v21, v0, 2, 0x44
	s_mov_b32 s2, 0
.LBB14_309:                             ; =>This Inner Loop Header: Depth=1
	s_delay_alu instid0(VALU_DEP_2)
	v_add_nc_u64_e32 v[18:19], 1, v[18:19]
	ds_load_b32 v23, v21
	v_add_nc_u32_e32 v21, 4, v21
	v_cmp_eq_u32_e32 vcc_lo, 1, v18
	v_cndmask_b32_e32 v22, v2, v3, vcc_lo
	v_cmp_eq_u32_e32 vcc_lo, 2, v18
	s_delay_alu instid0(VALU_DEP_2) | instskip(SKIP_1) | instid1(VALU_DEP_2)
	v_cndmask_b32_e32 v22, v22, v4, vcc_lo
	v_cmp_eq_u32_e32 vcc_lo, 3, v18
	v_cndmask_b32_e32 v22, v22, v5, vcc_lo
	v_cmp_eq_u32_e32 vcc_lo, 4, v18
	s_delay_alu instid0(VALU_DEP_2) | instskip(SKIP_1) | instid1(VALU_DEP_2)
	v_cndmask_b32_e32 v22, v22, v6, vcc_lo
	;; [unrolled: 5-line block ×6, first 2 shown]
	v_cmp_eq_u32_e32 vcc_lo, 13, v18
	v_cndmask_b32_e32 v22, v22, v15, vcc_lo
	v_cmp_eq_u32_e32 vcc_lo, 14, v18
	s_delay_alu instid0(VALU_DEP_2) | instskip(SKIP_2) | instid1(VALU_DEP_2)
	v_cndmask_b32_e32 v22, v22, v16, vcc_lo
	v_cmp_lt_u32_e32 vcc_lo, 8, v18
	s_wait_dscnt 0x0
	v_fmac_f32_e32 v17, v22, v23
	s_or_b32 s2, vcc_lo, s2
	s_delay_alu instid0(SALU_CYCLE_1)
	s_and_not1_b32 exec_lo, exec_lo, s2
	s_cbranch_execnz .LBB14_309
; %bb.310:
	s_or_b32 exec_lo, exec_lo, s2
.LBB14_311:
	s_delay_alu instid0(SALU_CYCLE_1)
	s_or_b32 exec_lo, exec_lo, s1
	v_mov_b32_e32 v12, 0
	ds_load_b32 v12, v12 offset:40
	s_wait_dscnt 0x0
	v_mul_f32_e32 v12, v17, v12
.LBB14_312:
	s_or_b32 exec_lo, exec_lo, s0
	s_delay_alu instid0(SALU_CYCLE_1)
	s_mov_b32 s0, exec_lo
	ds_store_b32 v68, v13
	s_wait_dscnt 0x0
	s_barrier_signal -1
	s_barrier_wait -1
	v_cmpx_gt_u32_e32 11, v0
	s_cbranch_execz .LBB14_322
; %bb.313:
	v_cmp_ne_u32_e32 vcc_lo, 1, v20
	s_cbranch_vccnz .LBB14_315
; %bb.314:
	v_cmp_eq_u32_e32 vcc_lo, 1, v0
	ds_load_b32 v18, v68
	v_cndmask_b32_e32 v17, v2, v3, vcc_lo
	v_cmp_eq_u32_e32 vcc_lo, 2, v0
	s_delay_alu instid0(VALU_DEP_2) | instskip(SKIP_1) | instid1(VALU_DEP_2)
	v_cndmask_b32_e32 v17, v17, v4, vcc_lo
	v_cmp_eq_u32_e32 vcc_lo, 3, v0
	v_cndmask_b32_e32 v17, v17, v5, vcc_lo
	v_cmp_eq_u32_e32 vcc_lo, 4, v0
	s_delay_alu instid0(VALU_DEP_2) | instskip(SKIP_1) | instid1(VALU_DEP_2)
	v_cndmask_b32_e32 v17, v17, v6, vcc_lo
	v_cmp_eq_u32_e32 vcc_lo, 5, v0
	v_cndmask_b32_e32 v17, v17, v7, vcc_lo
	v_cmp_eq_u32_e32 vcc_lo, 6, v0
	s_delay_alu instid0(VALU_DEP_2) | instskip(SKIP_1) | instid1(VALU_DEP_2)
	v_cndmask_b32_e32 v17, v17, v8, vcc_lo
	v_cmp_eq_u32_e32 vcc_lo, 7, v0
	v_cndmask_b32_e32 v17, v17, v9, vcc_lo
	v_cmp_eq_u32_e32 vcc_lo, 8, v0
	s_delay_alu instid0(VALU_DEP_2) | instskip(SKIP_1) | instid1(VALU_DEP_2)
	v_cndmask_b32_e32 v17, v17, v10, vcc_lo
	v_cmp_eq_u32_e32 vcc_lo, 9, v0
	v_cndmask_b32_e32 v17, v17, v11, vcc_lo
	v_cmp_eq_u32_e32 vcc_lo, 10, v0
	s_delay_alu instid0(VALU_DEP_2) | instskip(SKIP_1) | instid1(VALU_DEP_2)
	v_cndmask_b32_e32 v17, v17, v12, vcc_lo
	v_cmp_eq_u32_e32 vcc_lo, 11, v0
	v_cndmask_b32_e32 v17, v17, v13, vcc_lo
	v_cmp_eq_u32_e32 vcc_lo, 12, v0
	s_delay_alu instid0(VALU_DEP_2) | instskip(SKIP_1) | instid1(VALU_DEP_2)
	v_cndmask_b32_e32 v17, v17, v14, vcc_lo
	v_cmp_eq_u32_e32 vcc_lo, 13, v0
	v_cndmask_b32_e32 v17, v17, v15, vcc_lo
	v_cmp_eq_u32_e32 vcc_lo, 14, v0
	s_delay_alu instid0(VALU_DEP_2) | instskip(SKIP_1) | instid1(VALU_DEP_1)
	v_cndmask_b32_e32 v17, v17, v16, vcc_lo
	s_wait_dscnt 0x0
	v_mul_f32_e32 v17, v17, v18
	s_cbranch_execz .LBB14_316
	s_branch .LBB14_317
.LBB14_315:
                                        ; implicit-def: $vgpr17
.LBB14_316:
	ds_load_b32 v17, v68
.LBB14_317:
	s_mov_b32 s1, exec_lo
	v_cmpx_ne_u32_e32 10, v0
	s_cbranch_execz .LBB14_321
; %bb.318:
	v_mov_b64_e32 v[18:19], v[0:1]
	v_lshl_add_u32 v21, v0, 2, 0x44
	s_mov_b32 s2, 0
.LBB14_319:                             ; =>This Inner Loop Header: Depth=1
	s_delay_alu instid0(VALU_DEP_2)
	v_add_nc_u64_e32 v[18:19], 1, v[18:19]
	ds_load_b32 v23, v21
	v_add_nc_u32_e32 v21, 4, v21
	v_cmp_eq_u32_e32 vcc_lo, 1, v18
	v_cndmask_b32_e32 v22, v2, v3, vcc_lo
	v_cmp_eq_u32_e32 vcc_lo, 2, v18
	s_delay_alu instid0(VALU_DEP_2) | instskip(SKIP_1) | instid1(VALU_DEP_2)
	v_cndmask_b32_e32 v22, v22, v4, vcc_lo
	v_cmp_eq_u32_e32 vcc_lo, 3, v18
	v_cndmask_b32_e32 v22, v22, v5, vcc_lo
	v_cmp_eq_u32_e32 vcc_lo, 4, v18
	s_delay_alu instid0(VALU_DEP_2) | instskip(SKIP_1) | instid1(VALU_DEP_2)
	v_cndmask_b32_e32 v22, v22, v6, vcc_lo
	;; [unrolled: 5-line block ×6, first 2 shown]
	v_cmp_eq_u32_e32 vcc_lo, 13, v18
	v_cndmask_b32_e32 v22, v22, v15, vcc_lo
	v_cmp_eq_u32_e32 vcc_lo, 14, v18
	s_delay_alu instid0(VALU_DEP_2) | instskip(SKIP_2) | instid1(VALU_DEP_2)
	v_cndmask_b32_e32 v22, v22, v16, vcc_lo
	v_cmp_lt_u32_e32 vcc_lo, 9, v18
	s_wait_dscnt 0x0
	v_fmac_f32_e32 v17, v22, v23
	s_or_b32 s2, vcc_lo, s2
	s_delay_alu instid0(SALU_CYCLE_1)
	s_and_not1_b32 exec_lo, exec_lo, s2
	s_cbranch_execnz .LBB14_319
; %bb.320:
	s_or_b32 exec_lo, exec_lo, s2
.LBB14_321:
	s_delay_alu instid0(SALU_CYCLE_1)
	s_or_b32 exec_lo, exec_lo, s1
	v_mov_b32_e32 v13, 0
	ds_load_b32 v13, v13 offset:44
	s_wait_dscnt 0x0
	v_mul_f32_e32 v13, v17, v13
.LBB14_322:
	s_or_b32 exec_lo, exec_lo, s0
	s_delay_alu instid0(SALU_CYCLE_1)
	s_mov_b32 s0, exec_lo
	ds_store_b32 v68, v14
	s_wait_dscnt 0x0
	s_barrier_signal -1
	s_barrier_wait -1
	v_cmpx_gt_u32_e32 12, v0
	s_cbranch_execz .LBB14_332
; %bb.323:
	v_cmp_ne_u32_e32 vcc_lo, 1, v20
	s_cbranch_vccnz .LBB14_325
; %bb.324:
	v_cmp_eq_u32_e32 vcc_lo, 1, v0
	ds_load_b32 v18, v68
	v_cndmask_b32_e32 v17, v2, v3, vcc_lo
	v_cmp_eq_u32_e32 vcc_lo, 2, v0
	s_delay_alu instid0(VALU_DEP_2) | instskip(SKIP_1) | instid1(VALU_DEP_2)
	v_cndmask_b32_e32 v17, v17, v4, vcc_lo
	v_cmp_eq_u32_e32 vcc_lo, 3, v0
	v_cndmask_b32_e32 v17, v17, v5, vcc_lo
	v_cmp_eq_u32_e32 vcc_lo, 4, v0
	s_delay_alu instid0(VALU_DEP_2) | instskip(SKIP_1) | instid1(VALU_DEP_2)
	v_cndmask_b32_e32 v17, v17, v6, vcc_lo
	v_cmp_eq_u32_e32 vcc_lo, 5, v0
	v_cndmask_b32_e32 v17, v17, v7, vcc_lo
	v_cmp_eq_u32_e32 vcc_lo, 6, v0
	s_delay_alu instid0(VALU_DEP_2) | instskip(SKIP_1) | instid1(VALU_DEP_2)
	v_cndmask_b32_e32 v17, v17, v8, vcc_lo
	v_cmp_eq_u32_e32 vcc_lo, 7, v0
	v_cndmask_b32_e32 v17, v17, v9, vcc_lo
	v_cmp_eq_u32_e32 vcc_lo, 8, v0
	s_delay_alu instid0(VALU_DEP_2) | instskip(SKIP_1) | instid1(VALU_DEP_2)
	v_cndmask_b32_e32 v17, v17, v10, vcc_lo
	v_cmp_eq_u32_e32 vcc_lo, 9, v0
	v_cndmask_b32_e32 v17, v17, v11, vcc_lo
	v_cmp_eq_u32_e32 vcc_lo, 10, v0
	s_delay_alu instid0(VALU_DEP_2) | instskip(SKIP_1) | instid1(VALU_DEP_2)
	v_cndmask_b32_e32 v17, v17, v12, vcc_lo
	v_cmp_eq_u32_e32 vcc_lo, 11, v0
	v_cndmask_b32_e32 v17, v17, v13, vcc_lo
	v_cmp_eq_u32_e32 vcc_lo, 12, v0
	s_delay_alu instid0(VALU_DEP_2) | instskip(SKIP_1) | instid1(VALU_DEP_2)
	v_cndmask_b32_e32 v17, v17, v14, vcc_lo
	v_cmp_eq_u32_e32 vcc_lo, 13, v0
	v_cndmask_b32_e32 v17, v17, v15, vcc_lo
	v_cmp_eq_u32_e32 vcc_lo, 14, v0
	s_delay_alu instid0(VALU_DEP_2) | instskip(SKIP_1) | instid1(VALU_DEP_1)
	v_cndmask_b32_e32 v17, v17, v16, vcc_lo
	s_wait_dscnt 0x0
	v_mul_f32_e32 v17, v17, v18
	s_cbranch_execz .LBB14_326
	s_branch .LBB14_327
.LBB14_325:
                                        ; implicit-def: $vgpr17
.LBB14_326:
	ds_load_b32 v17, v68
.LBB14_327:
	s_mov_b32 s1, exec_lo
	v_cmpx_ne_u32_e32 11, v0
	s_cbranch_execz .LBB14_331
; %bb.328:
	v_mov_b64_e32 v[18:19], v[0:1]
	v_lshl_add_u32 v21, v0, 2, 0x44
	s_mov_b32 s2, 0
.LBB14_329:                             ; =>This Inner Loop Header: Depth=1
	s_delay_alu instid0(VALU_DEP_2)
	v_add_nc_u64_e32 v[18:19], 1, v[18:19]
	ds_load_b32 v23, v21
	v_add_nc_u32_e32 v21, 4, v21
	v_cmp_eq_u32_e32 vcc_lo, 1, v18
	v_cndmask_b32_e32 v22, v2, v3, vcc_lo
	v_cmp_eq_u32_e32 vcc_lo, 2, v18
	s_delay_alu instid0(VALU_DEP_2) | instskip(SKIP_1) | instid1(VALU_DEP_2)
	v_cndmask_b32_e32 v22, v22, v4, vcc_lo
	v_cmp_eq_u32_e32 vcc_lo, 3, v18
	v_cndmask_b32_e32 v22, v22, v5, vcc_lo
	v_cmp_eq_u32_e32 vcc_lo, 4, v18
	s_delay_alu instid0(VALU_DEP_2) | instskip(SKIP_1) | instid1(VALU_DEP_2)
	v_cndmask_b32_e32 v22, v22, v6, vcc_lo
	;; [unrolled: 5-line block ×6, first 2 shown]
	v_cmp_eq_u32_e32 vcc_lo, 13, v18
	v_cndmask_b32_e32 v22, v22, v15, vcc_lo
	v_cmp_eq_u32_e32 vcc_lo, 14, v18
	s_delay_alu instid0(VALU_DEP_2) | instskip(SKIP_2) | instid1(VALU_DEP_2)
	v_cndmask_b32_e32 v22, v22, v16, vcc_lo
	v_cmp_lt_u32_e32 vcc_lo, 10, v18
	s_wait_dscnt 0x0
	v_fmac_f32_e32 v17, v22, v23
	s_or_b32 s2, vcc_lo, s2
	s_delay_alu instid0(SALU_CYCLE_1)
	s_and_not1_b32 exec_lo, exec_lo, s2
	s_cbranch_execnz .LBB14_329
; %bb.330:
	s_or_b32 exec_lo, exec_lo, s2
.LBB14_331:
	s_delay_alu instid0(SALU_CYCLE_1)
	s_or_b32 exec_lo, exec_lo, s1
	v_mov_b32_e32 v14, 0
	ds_load_b32 v14, v14 offset:48
	s_wait_dscnt 0x0
	v_mul_f32_e32 v14, v17, v14
.LBB14_332:
	s_or_b32 exec_lo, exec_lo, s0
	v_cmp_gt_u32_e64 s0, 13, v0
	ds_store_b32 v68, v15
	s_wait_dscnt 0x0
	s_barrier_signal -1
	s_barrier_wait -1
	s_and_saveexec_b32 s1, s0
	s_cbranch_execz .LBB14_342
; %bb.333:
	v_cmp_ne_u32_e32 vcc_lo, 1, v20
	s_cbranch_vccnz .LBB14_335
; %bb.334:
	v_cmp_eq_u32_e32 vcc_lo, 1, v0
	ds_load_b32 v18, v68
	v_cndmask_b32_e32 v17, v2, v3, vcc_lo
	v_cmp_eq_u32_e32 vcc_lo, 2, v0
	s_delay_alu instid0(VALU_DEP_2) | instskip(SKIP_1) | instid1(VALU_DEP_2)
	v_cndmask_b32_e32 v17, v17, v4, vcc_lo
	v_cmp_eq_u32_e32 vcc_lo, 3, v0
	v_cndmask_b32_e32 v17, v17, v5, vcc_lo
	v_cmp_eq_u32_e32 vcc_lo, 4, v0
	s_delay_alu instid0(VALU_DEP_2) | instskip(SKIP_1) | instid1(VALU_DEP_2)
	v_cndmask_b32_e32 v17, v17, v6, vcc_lo
	v_cmp_eq_u32_e32 vcc_lo, 5, v0
	;; [unrolled: 5-line block ×6, first 2 shown]
	v_cndmask_b32_e32 v17, v17, v15, vcc_lo
	v_cmp_eq_u32_e32 vcc_lo, 14, v0
	s_delay_alu instid0(VALU_DEP_2) | instskip(SKIP_1) | instid1(VALU_DEP_1)
	v_cndmask_b32_e32 v17, v17, v16, vcc_lo
	s_wait_dscnt 0x0
	v_mul_f32_e32 v17, v17, v18
	s_cbranch_execz .LBB14_336
	s_branch .LBB14_337
.LBB14_335:
                                        ; implicit-def: $vgpr17
.LBB14_336:
	ds_load_b32 v17, v68
.LBB14_337:
	s_mov_b32 s2, exec_lo
	v_cmpx_ne_u32_e32 12, v0
	s_cbranch_execz .LBB14_341
; %bb.338:
	v_mov_b64_e32 v[18:19], v[0:1]
	v_lshl_add_u32 v21, v0, 2, 0x44
	s_mov_b32 s3, 0
.LBB14_339:                             ; =>This Inner Loop Header: Depth=1
	s_delay_alu instid0(VALU_DEP_2)
	v_add_nc_u64_e32 v[18:19], 1, v[18:19]
	ds_load_b32 v23, v21
	v_add_nc_u32_e32 v21, 4, v21
	v_cmp_eq_u32_e32 vcc_lo, 1, v18
	v_cndmask_b32_e32 v22, v2, v3, vcc_lo
	v_cmp_eq_u32_e32 vcc_lo, 2, v18
	s_delay_alu instid0(VALU_DEP_2) | instskip(SKIP_1) | instid1(VALU_DEP_2)
	v_cndmask_b32_e32 v22, v22, v4, vcc_lo
	v_cmp_eq_u32_e32 vcc_lo, 3, v18
	v_cndmask_b32_e32 v22, v22, v5, vcc_lo
	v_cmp_eq_u32_e32 vcc_lo, 4, v18
	s_delay_alu instid0(VALU_DEP_2) | instskip(SKIP_1) | instid1(VALU_DEP_2)
	v_cndmask_b32_e32 v22, v22, v6, vcc_lo
	;; [unrolled: 5-line block ×6, first 2 shown]
	v_cmp_eq_u32_e32 vcc_lo, 13, v18
	v_cndmask_b32_e32 v22, v22, v15, vcc_lo
	v_cmp_eq_u32_e32 vcc_lo, 14, v18
	s_delay_alu instid0(VALU_DEP_2) | instskip(SKIP_2) | instid1(VALU_DEP_2)
	v_cndmask_b32_e32 v22, v22, v16, vcc_lo
	v_cmp_lt_u32_e32 vcc_lo, 11, v18
	s_wait_dscnt 0x0
	v_fmac_f32_e32 v17, v22, v23
	s_or_b32 s3, vcc_lo, s3
	s_delay_alu instid0(SALU_CYCLE_1)
	s_and_not1_b32 exec_lo, exec_lo, s3
	s_cbranch_execnz .LBB14_339
; %bb.340:
	s_or_b32 exec_lo, exec_lo, s3
.LBB14_341:
	s_delay_alu instid0(SALU_CYCLE_1)
	s_or_b32 exec_lo, exec_lo, s2
	v_mov_b32_e32 v15, 0
	ds_load_b32 v15, v15 offset:52
	s_wait_dscnt 0x0
	v_mul_f32_e32 v15, v17, v15
.LBB14_342:
	s_or_b32 exec_lo, exec_lo, s1
	s_delay_alu instid0(SALU_CYCLE_1)
	s_mov_b32 s1, exec_lo
	ds_store_b32 v68, v16
	s_wait_dscnt 0x0
	s_barrier_signal -1
	s_barrier_wait -1
	v_cmpx_ne_u32_e32 14, v0
	s_cbranch_execz .LBB14_352
; %bb.343:
	v_cmp_ne_u32_e32 vcc_lo, 1, v20
	s_cbranch_vccnz .LBB14_345
; %bb.344:
	v_cmp_eq_u32_e32 vcc_lo, 1, v0
	ds_load_b32 v18, v68
	v_cndmask_b32_e32 v17, v2, v3, vcc_lo
	v_cmp_eq_u32_e32 vcc_lo, 2, v0
	s_delay_alu instid0(VALU_DEP_2) | instskip(SKIP_1) | instid1(VALU_DEP_2)
	v_cndmask_b32_e32 v17, v17, v4, vcc_lo
	v_cmp_eq_u32_e32 vcc_lo, 3, v0
	v_cndmask_b32_e32 v17, v17, v5, vcc_lo
	v_cmp_eq_u32_e32 vcc_lo, 4, v0
	s_delay_alu instid0(VALU_DEP_2) | instskip(SKIP_1) | instid1(VALU_DEP_2)
	v_cndmask_b32_e32 v17, v17, v6, vcc_lo
	v_cmp_eq_u32_e32 vcc_lo, 5, v0
	;; [unrolled: 5-line block ×6, first 2 shown]
	v_cndmask_b32_e32 v17, v17, v15, vcc_lo
	v_cmp_eq_u32_e32 vcc_lo, 14, v0
	s_delay_alu instid0(VALU_DEP_2) | instskip(SKIP_1) | instid1(VALU_DEP_1)
	v_cndmask_b32_e32 v17, v17, v16, vcc_lo
	s_wait_dscnt 0x0
	v_mul_f32_e32 v17, v17, v18
	s_cbranch_execz .LBB14_346
	s_branch .LBB14_347
.LBB14_345:
                                        ; implicit-def: $vgpr17
.LBB14_346:
	ds_load_b32 v17, v68
.LBB14_347:
	s_and_saveexec_b32 s2, s0
	s_cbranch_execz .LBB14_351
; %bb.348:
	v_lshl_add_u32 v18, v0, 2, 0x44
	s_mov_b32 s0, 0
.LBB14_349:                             ; =>This Inner Loop Header: Depth=1
	v_add_nc_u64_e32 v[0:1], 1, v[0:1]
	ds_load_b32 v20, v18
	v_add_nc_u32_e32 v18, 4, v18
	v_cmp_eq_u32_e32 vcc_lo, 1, v0
	v_cndmask_b32_e32 v19, v2, v3, vcc_lo
	v_cmp_eq_u32_e32 vcc_lo, 2, v0
	s_delay_alu instid0(VALU_DEP_2) | instskip(SKIP_1) | instid1(VALU_DEP_2)
	v_cndmask_b32_e32 v19, v19, v4, vcc_lo
	v_cmp_eq_u32_e32 vcc_lo, 3, v0
	v_cndmask_b32_e32 v19, v19, v5, vcc_lo
	v_cmp_eq_u32_e32 vcc_lo, 4, v0
	s_delay_alu instid0(VALU_DEP_2) | instskip(SKIP_1) | instid1(VALU_DEP_2)
	v_cndmask_b32_e32 v19, v19, v6, vcc_lo
	;; [unrolled: 5-line block ×6, first 2 shown]
	v_cmp_eq_u32_e32 vcc_lo, 13, v0
	v_cndmask_b32_e32 v19, v19, v15, vcc_lo
	v_cmp_eq_u32_e32 vcc_lo, 14, v0
	s_delay_alu instid0(VALU_DEP_2) | instskip(SKIP_2) | instid1(VALU_DEP_2)
	v_cndmask_b32_e32 v19, v19, v16, vcc_lo
	v_cmp_lt_u32_e32 vcc_lo, 12, v0
	s_wait_dscnt 0x0
	v_fmac_f32_e32 v17, v19, v20
	s_or_b32 s0, vcc_lo, s0
	s_delay_alu instid0(SALU_CYCLE_1)
	s_and_not1_b32 exec_lo, exec_lo, s0
	s_cbranch_execnz .LBB14_349
; %bb.350:
	s_or_b32 exec_lo, exec_lo, s0
.LBB14_351:
	s_delay_alu instid0(SALU_CYCLE_1)
	s_or_b32 exec_lo, exec_lo, s2
	v_mov_b32_e32 v0, 0
	ds_load_b32 v0, v0 offset:56
	s_wait_dscnt 0x0
	v_mul_f32_e32 v16, v17, v0
.LBB14_352:
	s_or_b32 exec_lo, exec_lo, s1
	s_delay_alu instid0(VALU_DEP_1)
	v_mov_b64_e32 v[32:33], v[16:17]
	v_mov_b64_e32 v[30:31], v[14:15]
	v_mov_b64_e32 v[28:29], v[12:13]
	v_mov_b64_e32 v[26:27], v[10:11]
	v_mov_b64_e32 v[24:25], v[8:9]
	v_mov_b64_e32 v[22:23], v[6:7]
	v_mov_b64_e32 v[20:21], v[4:5]
	v_mov_b64_e32 v[18:19], v[2:3]
.LBB14_353:
	s_wait_xcnt 0x6
	v_lshl_add_u64 v[0:1], v[34:35], 2, s[18:19]
	s_wait_loadcnt 0x6
	v_lshl_add_u64 v[2:3], v[36:37], 2, s[18:19]
	v_lshl_add_u64 v[4:5], v[38:39], 2, s[18:19]
	;; [unrolled: 1-line block ×4, first 2 shown]
	s_wait_loadcnt 0x5
	v_lshl_add_u64 v[10:11], v[44:45], 2, s[18:19]
	s_wait_loadcnt 0x3
	v_lshl_add_u64 v[12:13], v[46:47], 2, s[18:19]
	;; [unrolled: 2-line block ×4, first 2 shown]
	v_lshl_add_u64 v[34:35], v[56:57], 2, s[18:19]
	v_lshl_add_u64 v[36:37], v[58:59], 2, s[18:19]
	;; [unrolled: 1-line block ×4, first 2 shown]
	s_clause 0xe
	global_store_b32 v[48:49], v18, off
	global_store_b32 v[54:55], v19, off
	;; [unrolled: 1-line block ×15, first 2 shown]
.LBB14_354:
	s_sendmsg sendmsg(MSG_DEALLOC_VGPRS)
	s_endpgm
	.section	.rodata,"a",@progbits
	.p2align	6, 0x0
	.amdhsa_kernel _ZN9rocsolver6v33100L18trti2_kernel_smallILi15EfPfEEv13rocblas_fill_17rocblas_diagonal_T1_iil
		.amdhsa_group_segment_fixed_size 124
		.amdhsa_private_segment_fixed_size 0
		.amdhsa_kernarg_size 32
		.amdhsa_user_sgpr_count 2
		.amdhsa_user_sgpr_dispatch_ptr 0
		.amdhsa_user_sgpr_queue_ptr 0
		.amdhsa_user_sgpr_kernarg_segment_ptr 1
		.amdhsa_user_sgpr_dispatch_id 0
		.amdhsa_user_sgpr_kernarg_preload_length 0
		.amdhsa_user_sgpr_kernarg_preload_offset 0
		.amdhsa_user_sgpr_private_segment_size 0
		.amdhsa_wavefront_size32 1
		.amdhsa_uses_dynamic_stack 0
		.amdhsa_enable_private_segment 0
		.amdhsa_system_sgpr_workgroup_id_x 1
		.amdhsa_system_sgpr_workgroup_id_y 0
		.amdhsa_system_sgpr_workgroup_id_z 0
		.amdhsa_system_sgpr_workgroup_info 0
		.amdhsa_system_vgpr_workitem_id 0
		.amdhsa_next_free_vgpr 79
		.amdhsa_next_free_sgpr 24
		.amdhsa_named_barrier_count 0
		.amdhsa_reserve_vcc 1
		.amdhsa_float_round_mode_32 0
		.amdhsa_float_round_mode_16_64 0
		.amdhsa_float_denorm_mode_32 3
		.amdhsa_float_denorm_mode_16_64 3
		.amdhsa_fp16_overflow 0
		.amdhsa_memory_ordered 1
		.amdhsa_forward_progress 1
		.amdhsa_inst_pref_size 143
		.amdhsa_round_robin_scheduling 0
		.amdhsa_exception_fp_ieee_invalid_op 0
		.amdhsa_exception_fp_denorm_src 0
		.amdhsa_exception_fp_ieee_div_zero 0
		.amdhsa_exception_fp_ieee_overflow 0
		.amdhsa_exception_fp_ieee_underflow 0
		.amdhsa_exception_fp_ieee_inexact 0
		.amdhsa_exception_int_div_zero 0
	.end_amdhsa_kernel
	.section	.text._ZN9rocsolver6v33100L18trti2_kernel_smallILi15EfPfEEv13rocblas_fill_17rocblas_diagonal_T1_iil,"axG",@progbits,_ZN9rocsolver6v33100L18trti2_kernel_smallILi15EfPfEEv13rocblas_fill_17rocblas_diagonal_T1_iil,comdat
.Lfunc_end14:
	.size	_ZN9rocsolver6v33100L18trti2_kernel_smallILi15EfPfEEv13rocblas_fill_17rocblas_diagonal_T1_iil, .Lfunc_end14-_ZN9rocsolver6v33100L18trti2_kernel_smallILi15EfPfEEv13rocblas_fill_17rocblas_diagonal_T1_iil
                                        ; -- End function
	.set _ZN9rocsolver6v33100L18trti2_kernel_smallILi15EfPfEEv13rocblas_fill_17rocblas_diagonal_T1_iil.num_vgpr, 79
	.set _ZN9rocsolver6v33100L18trti2_kernel_smallILi15EfPfEEv13rocblas_fill_17rocblas_diagonal_T1_iil.num_agpr, 0
	.set _ZN9rocsolver6v33100L18trti2_kernel_smallILi15EfPfEEv13rocblas_fill_17rocblas_diagonal_T1_iil.numbered_sgpr, 24
	.set _ZN9rocsolver6v33100L18trti2_kernel_smallILi15EfPfEEv13rocblas_fill_17rocblas_diagonal_T1_iil.num_named_barrier, 0
	.set _ZN9rocsolver6v33100L18trti2_kernel_smallILi15EfPfEEv13rocblas_fill_17rocblas_diagonal_T1_iil.private_seg_size, 0
	.set _ZN9rocsolver6v33100L18trti2_kernel_smallILi15EfPfEEv13rocblas_fill_17rocblas_diagonal_T1_iil.uses_vcc, 1
	.set _ZN9rocsolver6v33100L18trti2_kernel_smallILi15EfPfEEv13rocblas_fill_17rocblas_diagonal_T1_iil.uses_flat_scratch, 0
	.set _ZN9rocsolver6v33100L18trti2_kernel_smallILi15EfPfEEv13rocblas_fill_17rocblas_diagonal_T1_iil.has_dyn_sized_stack, 0
	.set _ZN9rocsolver6v33100L18trti2_kernel_smallILi15EfPfEEv13rocblas_fill_17rocblas_diagonal_T1_iil.has_recursion, 0
	.set _ZN9rocsolver6v33100L18trti2_kernel_smallILi15EfPfEEv13rocblas_fill_17rocblas_diagonal_T1_iil.has_indirect_call, 0
	.section	.AMDGPU.csdata,"",@progbits
; Kernel info:
; codeLenInByte = 18196
; TotalNumSgprs: 26
; NumVgprs: 79
; ScratchSize: 0
; MemoryBound: 0
; FloatMode: 240
; IeeeMode: 1
; LDSByteSize: 124 bytes/workgroup (compile time only)
; SGPRBlocks: 0
; VGPRBlocks: 4
; NumSGPRsForWavesPerEU: 26
; NumVGPRsForWavesPerEU: 79
; NamedBarCnt: 0
; Occupancy: 12
; WaveLimiterHint : 0
; COMPUTE_PGM_RSRC2:SCRATCH_EN: 0
; COMPUTE_PGM_RSRC2:USER_SGPR: 2
; COMPUTE_PGM_RSRC2:TRAP_HANDLER: 0
; COMPUTE_PGM_RSRC2:TGID_X_EN: 1
; COMPUTE_PGM_RSRC2:TGID_Y_EN: 0
; COMPUTE_PGM_RSRC2:TGID_Z_EN: 0
; COMPUTE_PGM_RSRC2:TIDIG_COMP_CNT: 0
	.section	.text._ZN9rocsolver6v33100L18trti2_kernel_smallILi16EfPfEEv13rocblas_fill_17rocblas_diagonal_T1_iil,"axG",@progbits,_ZN9rocsolver6v33100L18trti2_kernel_smallILi16EfPfEEv13rocblas_fill_17rocblas_diagonal_T1_iil,comdat
	.globl	_ZN9rocsolver6v33100L18trti2_kernel_smallILi16EfPfEEv13rocblas_fill_17rocblas_diagonal_T1_iil ; -- Begin function _ZN9rocsolver6v33100L18trti2_kernel_smallILi16EfPfEEv13rocblas_fill_17rocblas_diagonal_T1_iil
	.p2align	8
	.type	_ZN9rocsolver6v33100L18trti2_kernel_smallILi16EfPfEEv13rocblas_fill_17rocblas_diagonal_T1_iil,@function
_ZN9rocsolver6v33100L18trti2_kernel_smallILi16EfPfEEv13rocblas_fill_17rocblas_diagonal_T1_iil: ; @_ZN9rocsolver6v33100L18trti2_kernel_smallILi16EfPfEEv13rocblas_fill_17rocblas_diagonal_T1_iil
; %bb.0:
	s_mov_b32 s2, exec_lo
	v_cmpx_gt_u32_e32 16, v0
	s_cbranch_execz .LBB15_380
; %bb.1:
	s_load_b256 s[16:23], s[0:1], 0x0
	s_wait_xcnt 0x0
	s_bfe_u32 s0, ttmp6, 0x4000c
	s_and_b32 s1, ttmp6, 15
	s_add_co_i32 s0, s0, 1
	s_getreg_b32 s2, hwreg(HW_REG_IB_STS2, 6, 4)
	s_mul_i32 s0, ttmp9, s0
	s_delay_alu instid0(SALU_CYCLE_1)
	s_add_co_i32 s0, s1, s0
	s_wait_kmcnt 0x0
	v_add3_u32 v34, s21, s21, v0
	s_ashr_i32 s1, s20, 31
	s_cmp_eq_u32 s2, 0
	s_cselect_b32 s2, ttmp9, s0
	s_delay_alu instid0(VALU_DEP_1)
	v_add_nc_u32_e32 v36, s21, v34
	s_ashr_i32 s3, s2, 31
	s_mov_b32 s0, s20
	s_mul_u64 s[2:3], s[22:23], s[2:3]
	s_lshl_b64 s[0:1], s[0:1], 2
	v_add_nc_u32_e32 v38, s21, v36
	s_lshl_b64 s[2:3], s[2:3], 2
	s_delay_alu instid0(SALU_CYCLE_1) | instskip(NEXT) | instid1(SALU_CYCLE_1)
	s_add_nc_u64 s[2:3], s[18:19], s[2:3]
	s_add_nc_u64 s[18:19], s[2:3], s[0:1]
	s_delay_alu instid0(VALU_DEP_1) | instskip(SKIP_3) | instid1(VALU_DEP_1)
	v_add_nc_u32_e32 v40, s21, v38
	s_mov_b32 s0, s21
	s_ashr_i32 s1, s21, 31
	s_cmp_lg_u32 s17, 0x84
	v_add_nc_u32_e32 v42, s21, v40
	s_cselect_b32 s20, -1, 0
	s_cmp_eq_u32 s17, 0x84
	s_delay_alu instid0(VALU_DEP_1) | instskip(NEXT) | instid1(VALU_DEP_1)
	v_add_nc_u32_e32 v44, s21, v42
	v_dual_mov_b32 v1, 0 :: v_dual_add_nc_u32 v46, s21, v44
	s_delay_alu instid0(VALU_DEP_1) | instskip(NEXT) | instid1(VALU_DEP_1)
	v_dual_add_nc_u32 v48, s21, v46 :: v_dual_lshlrev_b32 v18, 2, v0
	v_dual_mov_b32 v19, v1 :: v_dual_add_nc_u32 v52, s21, v48
	s_delay_alu instid0(VALU_DEP_1) | instskip(NEXT) | instid1(VALU_DEP_2)
	v_add_nc_u64_e32 v[50:51], s[18:19], v[18:19]
	v_dual_mov_b32 v19, -1.0 :: v_dual_add_nc_u32 v54, s21, v52
	s_delay_alu instid0(VALU_DEP_2) | instskip(NEXT) | instid1(VALU_DEP_2)
	v_lshl_add_u64 v[56:57], s[0:1], 2, v[50:51]
	v_add_nc_u32_e32 v58, s21, v54
	s_clause 0x7
	global_load_b32 v3, v[56:57], off
	global_load_b32 v4, v34, s[18:19] scale_offset
	global_load_b32 v5, v36, s[18:19] scale_offset
	;; [unrolled: 1-line block ×7, first 2 shown]
	v_add_nc_u32_e32 v60, s21, v58
	v_cmp_eq_u32_e64 s0, 0, v0
	s_delay_alu instid0(VALU_DEP_2) | instskip(NEXT) | instid1(VALU_DEP_1)
	v_add_nc_u32_e32 v62, s21, v60
	v_add_nc_u32_e32 v64, s21, v62
	s_clause 0x7
	global_load_b32 v2, v0, s[18:19] scale_offset
	global_load_b32 v11, v48, s[18:19] scale_offset
	;; [unrolled: 1-line block ×8, first 2 shown]
	s_cbranch_scc1 .LBB15_3
; %bb.2:
	v_cmp_eq_u32_e64 s1, 1, v0
	v_cmp_eq_u32_e64 s2, 2, v0
	;; [unrolled: 1-line block ×5, first 2 shown]
	s_wait_loadcnt 0x7
	v_cndmask_b32_e64 v19, v2, v3, s1
	v_cmp_eq_u32_e64 s6, 6, v0
	v_cmp_eq_u32_e64 s7, 7, v0
	;; [unrolled: 1-line block ×4, first 2 shown]
	v_cndmask_b32_e64 v19, v19, v4, s2
	v_cmp_eq_u32_e64 s10, 10, v0
	v_cmp_eq_u32_e64 s11, 11, v0
	;; [unrolled: 1-line block ×4, first 2 shown]
	v_cndmask_b32_e64 v19, v19, v5, s3
	v_cmp_eq_u32_e64 s14, 14, v0
	v_cmp_eq_u32_e64 s15, 15, v0
	s_delay_alu instid0(VALU_DEP_3) | instskip(NEXT) | instid1(VALU_DEP_1)
	v_cndmask_b32_e64 v19, v19, v6, s4
	v_cndmask_b32_e64 v19, v19, v7, s5
	s_delay_alu instid0(VALU_DEP_1) | instskip(NEXT) | instid1(VALU_DEP_1)
	v_cndmask_b32_e64 v19, v19, v8, s6
	v_cndmask_b32_e64 v19, v19, v9, s7
	s_delay_alu instid0(VALU_DEP_1) | instskip(SKIP_1) | instid1(VALU_DEP_1)
	v_cndmask_b32_e64 v19, v19, v10, s8
	s_wait_loadcnt 0x6
	v_cndmask_b32_e64 v19, v19, v11, s9
	s_wait_loadcnt 0x5
	s_delay_alu instid0(VALU_DEP_1) | instskip(SKIP_1) | instid1(VALU_DEP_1)
	v_cndmask_b32_e64 v19, v19, v12, s10
	s_wait_loadcnt 0x4
	v_cndmask_b32_e64 v19, v19, v13, s11
	s_wait_loadcnt 0x3
	;; [unrolled: 5-line block ×3, first 2 shown]
	s_delay_alu instid0(VALU_DEP_1) | instskip(SKIP_1) | instid1(VALU_DEP_1)
	v_cndmask_b32_e64 v19, v19, v16, s14
	s_wait_loadcnt 0x0
	v_cndmask_b32_e64 v19, v19, v17, s15
	s_delay_alu instid0(VALU_DEP_1) | instskip(SKIP_1) | instid1(VALU_DEP_2)
	v_div_scale_f32 v20, null, v19, v19, 1.0
	v_div_scale_f32 v23, vcc_lo, 1.0, v19, 1.0
	v_rcp_f32_e32 v21, v20
	v_nop
	s_delay_alu instid0(TRANS32_DEP_1) | instskip(NEXT) | instid1(VALU_DEP_1)
	v_fma_f32 v22, -v20, v21, 1.0
	v_fmac_f32_e32 v21, v22, v21
	s_delay_alu instid0(VALU_DEP_1) | instskip(NEXT) | instid1(VALU_DEP_1)
	v_mul_f32_e32 v22, v23, v21
	v_fma_f32 v24, -v20, v22, v23
	s_delay_alu instid0(VALU_DEP_1) | instskip(NEXT) | instid1(VALU_DEP_1)
	v_fmac_f32_e32 v22, v24, v21
	v_fma_f32 v20, -v20, v22, v23
	s_delay_alu instid0(VALU_DEP_1) | instskip(NEXT) | instid1(VALU_DEP_1)
	v_div_fmas_f32 v20, v20, v21, v22
	v_div_fixup_f32 v19, v20, v19, 1.0
	s_delay_alu instid0(VALU_DEP_1)
	v_dual_cndmask_b32 v17, v17, v19, s15 :: v_dual_cndmask_b32 v16, v16, v19, s14
	v_dual_cndmask_b32 v15, v15, v19, s13 :: v_dual_cndmask_b32 v14, v14, v19, s12
	;; [unrolled: 1-line block ×8, first 2 shown]
	v_xor_b32_e32 v19, 0x80000000, v19
.LBB15_3:
	v_dual_ashrrev_i32 v35, 31, v34 :: v_dual_ashrrev_i32 v37, 31, v36
	v_dual_ashrrev_i32 v39, 31, v38 :: v_dual_ashrrev_i32 v41, 31, v40
	;; [unrolled: 1-line block ×7, first 2 shown]
	v_add_nc_u32_e32 v70, 64, v18
	s_cmp_eq_u32 s16, 0x79
	ds_store_b32 v18, v19
	s_cbranch_scc1 .LBB15_7
; %bb.4:
	s_wait_loadcnt 0x0
	v_mov_b64_e32 v[32:33], v[16:17]
	v_mov_b64_e32 v[30:31], v[14:15]
	;; [unrolled: 1-line block ×8, first 2 shown]
	v_cmp_eq_u32_e64 s0, 15, v0
	ds_store_b32 v70, v16
	s_wait_dscnt 0x0
	s_barrier_signal -1
	s_barrier_wait -1
	s_and_saveexec_b32 s1, s0
	s_cbranch_execz .LBB15_11
; %bb.5:
	s_and_b32 vcc_lo, exec_lo, s20
	s_cbranch_vccz .LBB15_8
; %bb.6:
	v_cmp_eq_u32_e32 vcc_lo, 1, v0
	ds_load_b32 v19, v70
	v_cndmask_b32_e32 v18, v2, v3, vcc_lo
	v_cmp_eq_u32_e32 vcc_lo, 2, v0
	s_delay_alu instid0(VALU_DEP_2) | instskip(SKIP_1) | instid1(VALU_DEP_2)
	v_cndmask_b32_e32 v18, v18, v4, vcc_lo
	v_cmp_eq_u32_e32 vcc_lo, 3, v0
	v_cndmask_b32_e32 v18, v18, v5, vcc_lo
	v_cmp_eq_u32_e32 vcc_lo, 4, v0
	s_delay_alu instid0(VALU_DEP_2) | instskip(SKIP_1) | instid1(VALU_DEP_2)
	v_cndmask_b32_e32 v18, v18, v6, vcc_lo
	v_cmp_eq_u32_e32 vcc_lo, 5, v0
	;; [unrolled: 5-line block ×7, first 2 shown]
	v_cndmask_b32_e32 v18, v18, v17, vcc_lo
	s_wait_dscnt 0x0
	s_delay_alu instid0(VALU_DEP_1)
	v_mul_f32_e32 v18, v18, v19
	s_cbranch_execz .LBB15_9
	s_branch .LBB15_10
.LBB15_7:
                                        ; implicit-def: $vgpr18_vgpr19_vgpr20_vgpr21_vgpr22_vgpr23_vgpr24_vgpr25_vgpr26_vgpr27_vgpr28_vgpr29_vgpr30_vgpr31_vgpr32_vgpr33
	s_cbranch_execnz .LBB15_226
	s_branch .LBB15_379
.LBB15_8:
                                        ; implicit-def: $vgpr18
.LBB15_9:
	ds_load_b32 v18, v70
.LBB15_10:
	v_mov_b32_e32 v19, 0
	ds_load_b32 v19, v19 offset:56
	s_wait_dscnt 0x0
	v_mul_f32_e32 v66, v18, v19
	v_mov_b64_e32 v[32:33], v[16:17]
	v_mov_b64_e32 v[30:31], v[14:15]
	;; [unrolled: 1-line block ×8, first 2 shown]
	v_mov_b32_e32 v32, v66
.LBB15_11:
	s_or_b32 exec_lo, exec_lo, s1
	v_cmp_lt_u32_e64 s1, 13, v0
	ds_store_b32 v70, v31
	s_wait_dscnt 0x0
	s_barrier_signal -1
	s_barrier_wait -1
	s_and_saveexec_b32 s2, s1
	s_cbranch_execz .LBB15_17
; %bb.12:
	s_and_not1_b32 vcc_lo, exec_lo, s20
	s_cbranch_vccnz .LBB15_14
; %bb.13:
	v_cmp_eq_u32_e32 vcc_lo, 1, v0
	ds_load_b32 v67, v70
	v_cndmask_b32_e32 v66, v18, v19, vcc_lo
	v_cmp_eq_u32_e32 vcc_lo, 2, v0
	s_delay_alu instid0(VALU_DEP_2) | instskip(SKIP_1) | instid1(VALU_DEP_2)
	v_cndmask_b32_e32 v66, v66, v20, vcc_lo
	v_cmp_eq_u32_e32 vcc_lo, 3, v0
	v_cndmask_b32_e32 v66, v66, v21, vcc_lo
	v_cmp_eq_u32_e32 vcc_lo, 4, v0
	s_delay_alu instid0(VALU_DEP_2) | instskip(SKIP_1) | instid1(VALU_DEP_2)
	v_cndmask_b32_e32 v66, v66, v22, vcc_lo
	v_cmp_eq_u32_e32 vcc_lo, 5, v0
	;; [unrolled: 5-line block ×7, first 2 shown]
	v_cndmask_b32_e32 v31, v31, v33, vcc_lo
	s_wait_dscnt 0x0
	s_delay_alu instid0(VALU_DEP_1)
	v_mul_f32_e32 v31, v31, v67
	s_cbranch_execz .LBB15_15
	s_branch .LBB15_16
.LBB15_14:
                                        ; implicit-def: $vgpr31
.LBB15_15:
	ds_load_b32 v31, v70
.LBB15_16:
	v_mov_b32_e32 v66, 0
	ds_load_2addr_b32 v[66:67], v66 offset0:13 offset1:30
	s_wait_dscnt 0x0
	v_fma_f32 v67, v32, v67, v31
	s_delay_alu instid0(VALU_DEP_1) | instskip(NEXT) | instid1(VALU_DEP_1)
	v_cndmask_b32_e64 v31, v31, v67, s0
	v_mul_f32_e32 v31, v31, v66
.LBB15_17:
	s_or_b32 exec_lo, exec_lo, s2
	v_cmp_lt_u32_e64 s0, 12, v0
	ds_store_b32 v70, v30
	s_wait_dscnt 0x0
	s_barrier_signal -1
	s_barrier_wait -1
	s_and_saveexec_b32 s4, s0
	s_cbranch_execz .LBB15_33
; %bb.18:
	s_and_not1_b32 vcc_lo, exec_lo, s20
	s_cbranch_vccnz .LBB15_20
; %bb.19:
	v_cmp_eq_u32_e32 vcc_lo, 1, v0
	ds_load_b32 v67, v70
	v_cndmask_b32_e32 v66, v18, v19, vcc_lo
	v_cmp_eq_u32_e32 vcc_lo, 2, v0
	s_delay_alu instid0(VALU_DEP_2) | instskip(SKIP_1) | instid1(VALU_DEP_2)
	v_cndmask_b32_e32 v66, v66, v20, vcc_lo
	v_cmp_eq_u32_e32 vcc_lo, 3, v0
	v_cndmask_b32_e32 v66, v66, v21, vcc_lo
	v_cmp_eq_u32_e32 vcc_lo, 4, v0
	s_delay_alu instid0(VALU_DEP_2) | instskip(SKIP_1) | instid1(VALU_DEP_2)
	v_cndmask_b32_e32 v66, v66, v22, vcc_lo
	v_cmp_eq_u32_e32 vcc_lo, 5, v0
	;; [unrolled: 5-line block ×7, first 2 shown]
	v_cndmask_b32_e32 v66, v66, v33, vcc_lo
	s_wait_dscnt 0x0
	s_delay_alu instid0(VALU_DEP_1)
	v_mul_f32_e32 v69, v66, v67
	s_cbranch_execz .LBB15_21
	s_branch .LBB15_22
.LBB15_20:
                                        ; implicit-def: $vgpr69
.LBB15_21:
	ds_load_b32 v69, v70
.LBB15_22:
	s_and_saveexec_b32 s5, s1
	s_cbranch_execz .LBB15_32
; %bb.23:
	v_dual_add_nc_u32 v66, -14, v0 :: v_dual_add_nc_u32 v67, -13, v0
	s_delay_alu instid0(VALU_DEP_1)
	v_cmp_lt_u32_e32 vcc_lo, 6, v66
	v_mov_b32_e32 v66, 13
	s_and_saveexec_b32 s1, vcc_lo
	s_cbranch_execz .LBB15_27
; %bb.24:
	v_and_b32_e32 v66, -8, v67
	s_mov_b32 s6, 0
	s_mov_b64 s[2:3], 20
	s_movk_i32 s7, 0x74
	s_delay_alu instid0(VALU_DEP_1)
	v_sub_nc_u32_e32 v68, 0, v66
.LBB15_25:                              ; =>This Inner Loop Header: Depth=1
	s_add_co_i32 m0, s2, -7
	v_movrels_b32_e32 v66, v18
	v_mov_b32_e32 v71, s7
	s_add_co_i32 m0, s2, -6
	s_add_co_i32 s7, s7, 32
	ds_load_2addr_b32 v[72:73], v71 offset1:1
	s_wait_dscnt 0x0
	v_fmac_f32_e32 v69, v66, v72
	v_movrels_b32_e32 v66, v18
	s_add_co_i32 m0, s2, -5
	s_delay_alu instid0(VALU_DEP_1) | instskip(SKIP_4) | instid1(VALU_DEP_1)
	v_fmac_f32_e32 v69, v66, v73
	ds_load_2addr_b32 v[72:73], v71 offset0:2 offset1:3
	v_movrels_b32_e32 v66, v18
	s_add_co_i32 m0, s2, -4
	s_wait_dscnt 0x0
	v_fmac_f32_e32 v69, v66, v72
	v_movrels_b32_e32 v66, v18
	s_add_co_i32 m0, s2, -3
	s_delay_alu instid0(VALU_DEP_1) | instskip(SKIP_4) | instid1(VALU_DEP_1)
	v_fmac_f32_e32 v69, v66, v73
	ds_load_2addr_b32 v[72:73], v71 offset0:4 offset1:5
	v_movrels_b32_e32 v66, v18
	s_add_co_i32 m0, s2, -2
	s_wait_dscnt 0x0
	v_fmac_f32_e32 v69, v66, v72
	v_movrels_b32_e32 v66, v18
	s_add_co_i32 m0, s2, -1
	s_delay_alu instid0(VALU_DEP_1) | instskip(SKIP_4) | instid1(SALU_CYCLE_1)
	v_fmac_f32_e32 v69, v66, v73
	ds_load_2addr_b32 v[72:73], v71 offset0:6 offset1:7
	v_movrels_b32_e32 v66, v18
	s_mov_b32 m0, s2
	s_add_nc_u64 s[2:3], s[2:3], 8
	s_add_co_i32 s8, s2, -7
	s_wait_dscnt 0x0
	v_fmac_f32_e32 v69, v66, v72
	v_movrels_b32_e32 v66, v18
	s_delay_alu instid0(VALU_DEP_1) | instskip(NEXT) | instid1(VALU_DEP_1)
	v_dual_fmac_f32 v69, v66, v73 :: v_dual_add_nc_u32 v66, s2, v68
	v_cmp_eq_u32_e32 vcc_lo, 20, v66
	v_mov_b32_e32 v66, s8
	s_or_b32 s6, vcc_lo, s6
	s_delay_alu instid0(SALU_CYCLE_1)
	s_and_not1_b32 exec_lo, exec_lo, s6
	s_cbranch_execnz .LBB15_25
; %bb.26:
	s_or_b32 exec_lo, exec_lo, s6
.LBB15_27:
	s_delay_alu instid0(SALU_CYCLE_1) | instskip(SKIP_3) | instid1(VALU_DEP_1)
	s_or_b32 exec_lo, exec_lo, s1
	v_and_b32_e32 v68, 7, v67
	s_mov_b32 s2, 0
	s_mov_b32 s1, exec_lo
	v_cmpx_ne_u32_e32 0, v68
	s_cbranch_execz .LBB15_31
; %bb.28:
	v_lshl_add_u32 v71, v66, 2, 64
	v_mov_b32_e32 v67, 0
.LBB15_29:                              ; =>This Inner Loop Header: Depth=1
	v_cmp_eq_u32_e32 vcc_lo, 1, v66
	ds_load_b32 v73, v71
	v_dual_add_nc_u32 v68, -1, v68 :: v_dual_add_nc_u32 v71, 4, v71
	v_cndmask_b32_e32 v72, v18, v19, vcc_lo
	v_cmp_eq_u32_e32 vcc_lo, 2, v66
	s_delay_alu instid0(VALU_DEP_2) | instskip(SKIP_1) | instid1(VALU_DEP_2)
	v_cndmask_b32_e32 v72, v72, v20, vcc_lo
	v_cmp_eq_u32_e32 vcc_lo, 3, v66
	v_cndmask_b32_e32 v72, v72, v21, vcc_lo
	v_cmp_eq_u32_e32 vcc_lo, 4, v66
	s_delay_alu instid0(VALU_DEP_2) | instskip(SKIP_1) | instid1(VALU_DEP_2)
	v_cndmask_b32_e32 v72, v72, v22, vcc_lo
	v_cmp_eq_u32_e32 vcc_lo, 5, v66
	;; [unrolled: 5-line block ×6, first 2 shown]
	v_cndmask_b32_e32 v72, v72, v31, vcc_lo
	v_cmp_eq_u32_e32 vcc_lo, 14, v66
	s_delay_alu instid0(VALU_DEP_2) | instskip(SKIP_2) | instid1(VALU_DEP_3)
	v_cndmask_b32_e32 v72, v72, v32, vcc_lo
	v_cmp_eq_u32_e32 vcc_lo, 15, v66
	v_add_nc_u64_e32 v[66:67], 1, v[66:67]
	v_cndmask_b32_e32 v72, v72, v33, vcc_lo
	v_cmp_eq_u32_e32 vcc_lo, 0, v68
	s_wait_dscnt 0x0
	s_delay_alu instid0(VALU_DEP_2) | instskip(SKIP_1) | instid1(SALU_CYCLE_1)
	v_fmac_f32_e32 v69, v72, v73
	s_or_b32 s2, vcc_lo, s2
	s_and_not1_b32 exec_lo, exec_lo, s2
	s_cbranch_execnz .LBB15_29
; %bb.30:
	s_or_b32 exec_lo, exec_lo, s2
.LBB15_31:
	s_delay_alu instid0(SALU_CYCLE_1)
	s_or_b32 exec_lo, exec_lo, s1
.LBB15_32:
	s_delay_alu instid0(SALU_CYCLE_1)
	s_or_b32 exec_lo, exec_lo, s5
	v_mov_b32_e32 v30, 0
	ds_load_b32 v30, v30 offset:48
	s_wait_dscnt 0x0
	v_mul_f32_e32 v30, v69, v30
.LBB15_33:
	s_or_b32 exec_lo, exec_lo, s4
	v_cmp_lt_u32_e64 s1, 11, v0
	ds_store_b32 v70, v29
	s_wait_dscnt 0x0
	s_barrier_signal -1
	s_barrier_wait -1
	s_and_saveexec_b32 s4, s1
	s_cbranch_execz .LBB15_49
; %bb.34:
	s_and_not1_b32 vcc_lo, exec_lo, s20
	s_cbranch_vccnz .LBB15_36
; %bb.35:
	v_cmp_eq_u32_e32 vcc_lo, 1, v0
	ds_load_b32 v67, v70
	v_cndmask_b32_e32 v66, v18, v19, vcc_lo
	v_cmp_eq_u32_e32 vcc_lo, 2, v0
	s_delay_alu instid0(VALU_DEP_2) | instskip(SKIP_1) | instid1(VALU_DEP_2)
	v_cndmask_b32_e32 v66, v66, v20, vcc_lo
	v_cmp_eq_u32_e32 vcc_lo, 3, v0
	v_cndmask_b32_e32 v66, v66, v21, vcc_lo
	v_cmp_eq_u32_e32 vcc_lo, 4, v0
	s_delay_alu instid0(VALU_DEP_2) | instskip(SKIP_1) | instid1(VALU_DEP_2)
	v_cndmask_b32_e32 v66, v66, v22, vcc_lo
	v_cmp_eq_u32_e32 vcc_lo, 5, v0
	;; [unrolled: 5-line block ×7, first 2 shown]
	v_cndmask_b32_e32 v66, v66, v33, vcc_lo
	s_wait_dscnt 0x0
	s_delay_alu instid0(VALU_DEP_1)
	v_mul_f32_e32 v69, v66, v67
	s_cbranch_execz .LBB15_37
	s_branch .LBB15_38
.LBB15_36:
                                        ; implicit-def: $vgpr69
.LBB15_37:
	ds_load_b32 v69, v70
.LBB15_38:
	s_and_saveexec_b32 s5, s0
	s_cbranch_execz .LBB15_48
; %bb.39:
	v_dual_add_nc_u32 v66, -13, v0 :: v_dual_add_nc_u32 v67, -12, v0
	s_delay_alu instid0(VALU_DEP_1)
	v_cmp_lt_u32_e32 vcc_lo, 6, v66
	v_mov_b32_e32 v66, 12
	s_and_saveexec_b32 s0, vcc_lo
	s_cbranch_execz .LBB15_43
; %bb.40:
	v_and_b32_e32 v66, -8, v67
	s_mov_b32 s6, 0
	s_mov_b64 s[2:3], 19
	s_movk_i32 s7, 0x70
	s_delay_alu instid0(VALU_DEP_1)
	v_sub_nc_u32_e32 v68, 0, v66
.LBB15_41:                              ; =>This Inner Loop Header: Depth=1
	s_add_co_i32 m0, s2, -7
	v_movrels_b32_e32 v66, v18
	v_mov_b32_e32 v71, s7
	s_add_co_i32 m0, s2, -6
	s_add_co_i32 s7, s7, 32
	ds_load_b128 v[72:75], v71
	ds_load_b128 v[76:79], v71 offset:16
	s_wait_dscnt 0x1
	v_fmac_f32_e32 v69, v66, v72
	v_movrels_b32_e32 v66, v18
	s_add_co_i32 m0, s2, -5
	s_delay_alu instid0(VALU_DEP_1) | instskip(SKIP_2) | instid1(VALU_DEP_1)
	v_fmac_f32_e32 v69, v66, v73
	v_movrels_b32_e32 v66, v18
	s_add_co_i32 m0, s2, -4
	v_fmac_f32_e32 v69, v66, v74
	v_movrels_b32_e32 v66, v18
	s_add_co_i32 m0, s2, -3
	s_delay_alu instid0(VALU_DEP_1) | instskip(SKIP_3) | instid1(VALU_DEP_1)
	v_fmac_f32_e32 v69, v66, v75
	v_movrels_b32_e32 v66, v18
	s_add_co_i32 m0, s2, -2
	s_wait_dscnt 0x0
	v_fmac_f32_e32 v69, v66, v76
	v_movrels_b32_e32 v66, v18
	s_add_co_i32 m0, s2, -1
	s_delay_alu instid0(VALU_DEP_1) | instskip(SKIP_3) | instid1(SALU_CYCLE_1)
	v_fmac_f32_e32 v69, v66, v77
	v_movrels_b32_e32 v66, v18
	s_mov_b32 m0, s2
	s_add_nc_u64 s[2:3], s[2:3], 8
	s_add_co_i32 s8, s2, -7
	s_delay_alu instid0(VALU_DEP_1) | instskip(SKIP_1) | instid1(VALU_DEP_1)
	v_fmac_f32_e32 v69, v66, v78
	v_movrels_b32_e32 v66, v18
	v_dual_fmac_f32 v69, v66, v79 :: v_dual_add_nc_u32 v66, s2, v68
	s_delay_alu instid0(VALU_DEP_1) | instskip(SKIP_2) | instid1(SALU_CYCLE_1)
	v_cmp_eq_u32_e32 vcc_lo, 19, v66
	v_mov_b32_e32 v66, s8
	s_or_b32 s6, vcc_lo, s6
	s_and_not1_b32 exec_lo, exec_lo, s6
	s_cbranch_execnz .LBB15_41
; %bb.42:
	s_or_b32 exec_lo, exec_lo, s6
.LBB15_43:
	s_delay_alu instid0(SALU_CYCLE_1) | instskip(SKIP_3) | instid1(VALU_DEP_1)
	s_or_b32 exec_lo, exec_lo, s0
	v_and_b32_e32 v68, 7, v67
	s_mov_b32 s2, 0
	s_mov_b32 s0, exec_lo
	v_cmpx_ne_u32_e32 0, v68
	s_cbranch_execz .LBB15_47
; %bb.44:
	v_lshl_add_u32 v71, v66, 2, 64
	v_mov_b32_e32 v67, 0
.LBB15_45:                              ; =>This Inner Loop Header: Depth=1
	v_cmp_eq_u32_e32 vcc_lo, 1, v66
	ds_load_b32 v73, v71
	v_dual_add_nc_u32 v68, -1, v68 :: v_dual_add_nc_u32 v71, 4, v71
	v_cndmask_b32_e32 v72, v18, v19, vcc_lo
	v_cmp_eq_u32_e32 vcc_lo, 2, v66
	s_delay_alu instid0(VALU_DEP_2) | instskip(SKIP_1) | instid1(VALU_DEP_2)
	v_cndmask_b32_e32 v72, v72, v20, vcc_lo
	v_cmp_eq_u32_e32 vcc_lo, 3, v66
	v_cndmask_b32_e32 v72, v72, v21, vcc_lo
	v_cmp_eq_u32_e32 vcc_lo, 4, v66
	s_delay_alu instid0(VALU_DEP_2) | instskip(SKIP_1) | instid1(VALU_DEP_2)
	v_cndmask_b32_e32 v72, v72, v22, vcc_lo
	v_cmp_eq_u32_e32 vcc_lo, 5, v66
	;; [unrolled: 5-line block ×6, first 2 shown]
	v_cndmask_b32_e32 v72, v72, v31, vcc_lo
	v_cmp_eq_u32_e32 vcc_lo, 14, v66
	s_delay_alu instid0(VALU_DEP_2) | instskip(SKIP_2) | instid1(VALU_DEP_3)
	v_cndmask_b32_e32 v72, v72, v32, vcc_lo
	v_cmp_eq_u32_e32 vcc_lo, 15, v66
	v_add_nc_u64_e32 v[66:67], 1, v[66:67]
	v_cndmask_b32_e32 v72, v72, v33, vcc_lo
	v_cmp_eq_u32_e32 vcc_lo, 0, v68
	s_wait_dscnt 0x0
	s_delay_alu instid0(VALU_DEP_2) | instskip(SKIP_1) | instid1(SALU_CYCLE_1)
	v_fmac_f32_e32 v69, v72, v73
	s_or_b32 s2, vcc_lo, s2
	s_and_not1_b32 exec_lo, exec_lo, s2
	s_cbranch_execnz .LBB15_45
; %bb.46:
	s_or_b32 exec_lo, exec_lo, s2
.LBB15_47:
	s_delay_alu instid0(SALU_CYCLE_1)
	s_or_b32 exec_lo, exec_lo, s0
.LBB15_48:
	s_delay_alu instid0(SALU_CYCLE_1)
	s_or_b32 exec_lo, exec_lo, s5
	v_mov_b32_e32 v29, 0
	ds_load_b32 v29, v29 offset:44
	s_wait_dscnt 0x0
	v_mul_f32_e32 v29, v69, v29
.LBB15_49:
	s_or_b32 exec_lo, exec_lo, s4
	v_cmp_lt_u32_e64 s0, 10, v0
	ds_store_b32 v70, v28
	s_wait_dscnt 0x0
	s_barrier_signal -1
	s_barrier_wait -1
	s_and_saveexec_b32 s4, s0
	s_cbranch_execz .LBB15_65
; %bb.50:
	s_and_not1_b32 vcc_lo, exec_lo, s20
	s_cbranch_vccnz .LBB15_52
; %bb.51:
	v_cmp_eq_u32_e32 vcc_lo, 1, v0
	ds_load_b32 v67, v70
	v_cndmask_b32_e32 v66, v18, v19, vcc_lo
	v_cmp_eq_u32_e32 vcc_lo, 2, v0
	s_delay_alu instid0(VALU_DEP_2) | instskip(SKIP_1) | instid1(VALU_DEP_2)
	v_cndmask_b32_e32 v66, v66, v20, vcc_lo
	v_cmp_eq_u32_e32 vcc_lo, 3, v0
	v_cndmask_b32_e32 v66, v66, v21, vcc_lo
	v_cmp_eq_u32_e32 vcc_lo, 4, v0
	s_delay_alu instid0(VALU_DEP_2) | instskip(SKIP_1) | instid1(VALU_DEP_2)
	v_cndmask_b32_e32 v66, v66, v22, vcc_lo
	v_cmp_eq_u32_e32 vcc_lo, 5, v0
	;; [unrolled: 5-line block ×7, first 2 shown]
	v_cndmask_b32_e32 v66, v66, v33, vcc_lo
	s_wait_dscnt 0x0
	s_delay_alu instid0(VALU_DEP_1)
	v_mul_f32_e32 v69, v66, v67
	s_cbranch_execz .LBB15_53
	s_branch .LBB15_54
.LBB15_52:
                                        ; implicit-def: $vgpr69
.LBB15_53:
	ds_load_b32 v69, v70
.LBB15_54:
	s_and_saveexec_b32 s5, s1
	s_cbranch_execz .LBB15_64
; %bb.55:
	v_dual_add_nc_u32 v66, -12, v0 :: v_dual_add_nc_u32 v67, -11, v0
	s_delay_alu instid0(VALU_DEP_1)
	v_cmp_lt_u32_e32 vcc_lo, 6, v66
	v_mov_b32_e32 v66, 11
	s_and_saveexec_b32 s1, vcc_lo
	s_cbranch_execz .LBB15_59
; %bb.56:
	v_and_b32_e32 v66, -8, v67
	s_mov_b32 s6, 0
	s_mov_b64 s[2:3], 18
	s_movk_i32 s7, 0x6c
	s_delay_alu instid0(VALU_DEP_1)
	v_sub_nc_u32_e32 v68, 0, v66
.LBB15_57:                              ; =>This Inner Loop Header: Depth=1
	s_add_co_i32 m0, s2, -7
	v_movrels_b32_e32 v66, v18
	v_mov_b32_e32 v71, s7
	s_add_co_i32 m0, s2, -6
	s_add_co_i32 s7, s7, 32
	ds_load_2addr_b32 v[72:73], v71 offset1:1
	s_wait_dscnt 0x0
	v_fmac_f32_e32 v69, v66, v72
	v_movrels_b32_e32 v66, v18
	s_add_co_i32 m0, s2, -5
	s_delay_alu instid0(VALU_DEP_1) | instskip(SKIP_4) | instid1(VALU_DEP_1)
	v_fmac_f32_e32 v69, v66, v73
	ds_load_2addr_b32 v[72:73], v71 offset0:2 offset1:3
	v_movrels_b32_e32 v66, v18
	s_add_co_i32 m0, s2, -4
	s_wait_dscnt 0x0
	v_fmac_f32_e32 v69, v66, v72
	v_movrels_b32_e32 v66, v18
	s_add_co_i32 m0, s2, -3
	s_delay_alu instid0(VALU_DEP_1) | instskip(SKIP_4) | instid1(VALU_DEP_1)
	v_fmac_f32_e32 v69, v66, v73
	ds_load_2addr_b32 v[72:73], v71 offset0:4 offset1:5
	v_movrels_b32_e32 v66, v18
	s_add_co_i32 m0, s2, -2
	s_wait_dscnt 0x0
	v_fmac_f32_e32 v69, v66, v72
	v_movrels_b32_e32 v66, v18
	s_add_co_i32 m0, s2, -1
	s_delay_alu instid0(VALU_DEP_1) | instskip(SKIP_4) | instid1(SALU_CYCLE_1)
	v_fmac_f32_e32 v69, v66, v73
	ds_load_2addr_b32 v[72:73], v71 offset0:6 offset1:7
	v_movrels_b32_e32 v66, v18
	s_mov_b32 m0, s2
	s_add_nc_u64 s[2:3], s[2:3], 8
	s_add_co_i32 s8, s2, -7
	s_wait_dscnt 0x0
	v_fmac_f32_e32 v69, v66, v72
	v_movrels_b32_e32 v66, v18
	s_delay_alu instid0(VALU_DEP_1) | instskip(NEXT) | instid1(VALU_DEP_1)
	v_dual_fmac_f32 v69, v66, v73 :: v_dual_add_nc_u32 v66, s2, v68
	v_cmp_eq_u32_e32 vcc_lo, 18, v66
	v_mov_b32_e32 v66, s8
	s_or_b32 s6, vcc_lo, s6
	s_delay_alu instid0(SALU_CYCLE_1)
	s_and_not1_b32 exec_lo, exec_lo, s6
	s_cbranch_execnz .LBB15_57
; %bb.58:
	s_or_b32 exec_lo, exec_lo, s6
.LBB15_59:
	s_delay_alu instid0(SALU_CYCLE_1) | instskip(SKIP_3) | instid1(VALU_DEP_1)
	s_or_b32 exec_lo, exec_lo, s1
	v_and_b32_e32 v68, 7, v67
	s_mov_b32 s2, 0
	s_mov_b32 s1, exec_lo
	v_cmpx_ne_u32_e32 0, v68
	s_cbranch_execz .LBB15_63
; %bb.60:
	v_lshl_add_u32 v71, v66, 2, 64
	v_mov_b32_e32 v67, 0
.LBB15_61:                              ; =>This Inner Loop Header: Depth=1
	v_cmp_eq_u32_e32 vcc_lo, 1, v66
	ds_load_b32 v73, v71
	v_dual_add_nc_u32 v68, -1, v68 :: v_dual_add_nc_u32 v71, 4, v71
	v_cndmask_b32_e32 v72, v18, v19, vcc_lo
	v_cmp_eq_u32_e32 vcc_lo, 2, v66
	s_delay_alu instid0(VALU_DEP_2) | instskip(SKIP_1) | instid1(VALU_DEP_2)
	v_cndmask_b32_e32 v72, v72, v20, vcc_lo
	v_cmp_eq_u32_e32 vcc_lo, 3, v66
	v_cndmask_b32_e32 v72, v72, v21, vcc_lo
	v_cmp_eq_u32_e32 vcc_lo, 4, v66
	s_delay_alu instid0(VALU_DEP_2) | instskip(SKIP_1) | instid1(VALU_DEP_2)
	v_cndmask_b32_e32 v72, v72, v22, vcc_lo
	v_cmp_eq_u32_e32 vcc_lo, 5, v66
	;; [unrolled: 5-line block ×6, first 2 shown]
	v_cndmask_b32_e32 v72, v72, v31, vcc_lo
	v_cmp_eq_u32_e32 vcc_lo, 14, v66
	s_delay_alu instid0(VALU_DEP_2) | instskip(SKIP_2) | instid1(VALU_DEP_3)
	v_cndmask_b32_e32 v72, v72, v32, vcc_lo
	v_cmp_eq_u32_e32 vcc_lo, 15, v66
	v_add_nc_u64_e32 v[66:67], 1, v[66:67]
	v_cndmask_b32_e32 v72, v72, v33, vcc_lo
	v_cmp_eq_u32_e32 vcc_lo, 0, v68
	s_wait_dscnt 0x0
	s_delay_alu instid0(VALU_DEP_2) | instskip(SKIP_1) | instid1(SALU_CYCLE_1)
	v_fmac_f32_e32 v69, v72, v73
	s_or_b32 s2, vcc_lo, s2
	s_and_not1_b32 exec_lo, exec_lo, s2
	s_cbranch_execnz .LBB15_61
; %bb.62:
	s_or_b32 exec_lo, exec_lo, s2
.LBB15_63:
	s_delay_alu instid0(SALU_CYCLE_1)
	s_or_b32 exec_lo, exec_lo, s1
.LBB15_64:
	s_delay_alu instid0(SALU_CYCLE_1)
	s_or_b32 exec_lo, exec_lo, s5
	v_mov_b32_e32 v28, 0
	ds_load_b32 v28, v28 offset:40
	s_wait_dscnt 0x0
	v_mul_f32_e32 v28, v69, v28
.LBB15_65:
	s_or_b32 exec_lo, exec_lo, s4
	v_cmp_lt_u32_e64 s1, 9, v0
	ds_store_b32 v70, v27
	s_wait_dscnt 0x0
	s_barrier_signal -1
	s_barrier_wait -1
	s_and_saveexec_b32 s4, s1
	s_cbranch_execz .LBB15_81
; %bb.66:
	s_and_not1_b32 vcc_lo, exec_lo, s20
	s_cbranch_vccnz .LBB15_68
; %bb.67:
	v_cmp_eq_u32_e32 vcc_lo, 1, v0
	ds_load_b32 v67, v70
	v_cndmask_b32_e32 v66, v18, v19, vcc_lo
	v_cmp_eq_u32_e32 vcc_lo, 2, v0
	s_delay_alu instid0(VALU_DEP_2) | instskip(SKIP_1) | instid1(VALU_DEP_2)
	v_cndmask_b32_e32 v66, v66, v20, vcc_lo
	v_cmp_eq_u32_e32 vcc_lo, 3, v0
	v_cndmask_b32_e32 v66, v66, v21, vcc_lo
	v_cmp_eq_u32_e32 vcc_lo, 4, v0
	s_delay_alu instid0(VALU_DEP_2) | instskip(SKIP_1) | instid1(VALU_DEP_2)
	v_cndmask_b32_e32 v66, v66, v22, vcc_lo
	v_cmp_eq_u32_e32 vcc_lo, 5, v0
	;; [unrolled: 5-line block ×7, first 2 shown]
	v_cndmask_b32_e32 v66, v66, v33, vcc_lo
	s_wait_dscnt 0x0
	s_delay_alu instid0(VALU_DEP_1)
	v_mul_f32_e32 v69, v66, v67
	s_cbranch_execz .LBB15_69
	s_branch .LBB15_70
.LBB15_68:
                                        ; implicit-def: $vgpr69
.LBB15_69:
	ds_load_b32 v69, v70
.LBB15_70:
	s_and_saveexec_b32 s5, s0
	s_cbranch_execz .LBB15_80
; %bb.71:
	v_dual_add_nc_u32 v66, -11, v0 :: v_dual_add_nc_u32 v67, -10, v0
	s_delay_alu instid0(VALU_DEP_1)
	v_cmp_lt_u32_e32 vcc_lo, 6, v66
	v_mov_b32_e32 v66, 10
	s_and_saveexec_b32 s0, vcc_lo
	s_cbranch_execz .LBB15_75
; %bb.72:
	v_and_b32_e32 v66, -8, v67
	s_mov_b32 s6, 0
	s_mov_b64 s[2:3], 17
	s_movk_i32 s7, 0x68
	s_delay_alu instid0(VALU_DEP_1)
	v_sub_nc_u32_e32 v68, 0, v66
.LBB15_73:                              ; =>This Inner Loop Header: Depth=1
	s_add_co_i32 m0, s2, -7
	v_movrels_b32_e32 v66, v18
	v_mov_b32_e32 v71, s7
	s_add_co_i32 m0, s2, -6
	s_add_co_i32 s7, s7, 32
	ds_load_2addr_b64 v[72:75], v71 offset1:1
	s_wait_dscnt 0x0
	v_fmac_f32_e32 v69, v66, v72
	v_movrels_b32_e32 v66, v18
	s_add_co_i32 m0, s2, -5
	s_delay_alu instid0(VALU_DEP_1) | instskip(SKIP_2) | instid1(VALU_DEP_1)
	v_fmac_f32_e32 v69, v66, v73
	v_movrels_b32_e32 v66, v18
	s_add_co_i32 m0, s2, -4
	v_fmac_f32_e32 v69, v66, v74
	v_movrels_b32_e32 v66, v18
	s_add_co_i32 m0, s2, -3
	s_delay_alu instid0(VALU_DEP_1) | instskip(SKIP_4) | instid1(VALU_DEP_1)
	v_fmac_f32_e32 v69, v66, v75
	ds_load_2addr_b64 v[72:75], v71 offset0:2 offset1:3
	v_movrels_b32_e32 v66, v18
	s_add_co_i32 m0, s2, -2
	s_wait_dscnt 0x0
	v_fmac_f32_e32 v69, v66, v72
	v_movrels_b32_e32 v66, v18
	s_add_co_i32 m0, s2, -1
	s_delay_alu instid0(VALU_DEP_1) | instskip(SKIP_3) | instid1(SALU_CYCLE_1)
	v_fmac_f32_e32 v69, v66, v73
	v_movrels_b32_e32 v66, v18
	s_mov_b32 m0, s2
	s_add_nc_u64 s[2:3], s[2:3], 8
	s_add_co_i32 s8, s2, -7
	s_delay_alu instid0(VALU_DEP_1) | instskip(SKIP_1) | instid1(VALU_DEP_1)
	v_fmac_f32_e32 v69, v66, v74
	v_movrels_b32_e32 v66, v18
	v_dual_fmac_f32 v69, v66, v75 :: v_dual_add_nc_u32 v66, s2, v68
	s_delay_alu instid0(VALU_DEP_1) | instskip(SKIP_2) | instid1(SALU_CYCLE_1)
	v_cmp_eq_u32_e32 vcc_lo, 17, v66
	v_mov_b32_e32 v66, s8
	s_or_b32 s6, vcc_lo, s6
	s_and_not1_b32 exec_lo, exec_lo, s6
	s_cbranch_execnz .LBB15_73
; %bb.74:
	s_or_b32 exec_lo, exec_lo, s6
.LBB15_75:
	s_delay_alu instid0(SALU_CYCLE_1) | instskip(SKIP_3) | instid1(VALU_DEP_1)
	s_or_b32 exec_lo, exec_lo, s0
	v_and_b32_e32 v68, 7, v67
	s_mov_b32 s2, 0
	s_mov_b32 s0, exec_lo
	v_cmpx_ne_u32_e32 0, v68
	s_cbranch_execz .LBB15_79
; %bb.76:
	v_lshl_add_u32 v71, v66, 2, 64
	v_mov_b32_e32 v67, 0
.LBB15_77:                              ; =>This Inner Loop Header: Depth=1
	v_cmp_eq_u32_e32 vcc_lo, 1, v66
	ds_load_b32 v73, v71
	v_dual_add_nc_u32 v68, -1, v68 :: v_dual_add_nc_u32 v71, 4, v71
	v_cndmask_b32_e32 v72, v18, v19, vcc_lo
	v_cmp_eq_u32_e32 vcc_lo, 2, v66
	s_delay_alu instid0(VALU_DEP_2) | instskip(SKIP_1) | instid1(VALU_DEP_2)
	v_cndmask_b32_e32 v72, v72, v20, vcc_lo
	v_cmp_eq_u32_e32 vcc_lo, 3, v66
	v_cndmask_b32_e32 v72, v72, v21, vcc_lo
	v_cmp_eq_u32_e32 vcc_lo, 4, v66
	s_delay_alu instid0(VALU_DEP_2) | instskip(SKIP_1) | instid1(VALU_DEP_2)
	v_cndmask_b32_e32 v72, v72, v22, vcc_lo
	v_cmp_eq_u32_e32 vcc_lo, 5, v66
	;; [unrolled: 5-line block ×6, first 2 shown]
	v_cndmask_b32_e32 v72, v72, v31, vcc_lo
	v_cmp_eq_u32_e32 vcc_lo, 14, v66
	s_delay_alu instid0(VALU_DEP_2) | instskip(SKIP_2) | instid1(VALU_DEP_3)
	v_cndmask_b32_e32 v72, v72, v32, vcc_lo
	v_cmp_eq_u32_e32 vcc_lo, 15, v66
	v_add_nc_u64_e32 v[66:67], 1, v[66:67]
	v_cndmask_b32_e32 v72, v72, v33, vcc_lo
	v_cmp_eq_u32_e32 vcc_lo, 0, v68
	s_wait_dscnt 0x0
	s_delay_alu instid0(VALU_DEP_2) | instskip(SKIP_1) | instid1(SALU_CYCLE_1)
	v_fmac_f32_e32 v69, v72, v73
	s_or_b32 s2, vcc_lo, s2
	s_and_not1_b32 exec_lo, exec_lo, s2
	s_cbranch_execnz .LBB15_77
; %bb.78:
	s_or_b32 exec_lo, exec_lo, s2
.LBB15_79:
	s_delay_alu instid0(SALU_CYCLE_1)
	s_or_b32 exec_lo, exec_lo, s0
.LBB15_80:
	s_delay_alu instid0(SALU_CYCLE_1)
	s_or_b32 exec_lo, exec_lo, s5
	v_mov_b32_e32 v27, 0
	ds_load_b32 v27, v27 offset:36
	s_wait_dscnt 0x0
	v_mul_f32_e32 v27, v69, v27
.LBB15_81:
	s_or_b32 exec_lo, exec_lo, s4
	v_cmp_lt_u32_e64 s0, 8, v0
	ds_store_b32 v70, v26
	s_wait_dscnt 0x0
	s_barrier_signal -1
	s_barrier_wait -1
	s_and_saveexec_b32 s4, s0
	s_cbranch_execz .LBB15_97
; %bb.82:
	s_and_not1_b32 vcc_lo, exec_lo, s20
	s_cbranch_vccnz .LBB15_84
; %bb.83:
	v_cmp_eq_u32_e32 vcc_lo, 1, v0
	ds_load_b32 v67, v70
	v_cndmask_b32_e32 v66, v18, v19, vcc_lo
	v_cmp_eq_u32_e32 vcc_lo, 2, v0
	s_delay_alu instid0(VALU_DEP_2) | instskip(SKIP_1) | instid1(VALU_DEP_2)
	v_cndmask_b32_e32 v66, v66, v20, vcc_lo
	v_cmp_eq_u32_e32 vcc_lo, 3, v0
	v_cndmask_b32_e32 v66, v66, v21, vcc_lo
	v_cmp_eq_u32_e32 vcc_lo, 4, v0
	s_delay_alu instid0(VALU_DEP_2) | instskip(SKIP_1) | instid1(VALU_DEP_2)
	v_cndmask_b32_e32 v66, v66, v22, vcc_lo
	v_cmp_eq_u32_e32 vcc_lo, 5, v0
	;; [unrolled: 5-line block ×7, first 2 shown]
	v_cndmask_b32_e32 v66, v66, v33, vcc_lo
	s_wait_dscnt 0x0
	s_delay_alu instid0(VALU_DEP_1)
	v_mul_f32_e32 v69, v66, v67
	s_cbranch_execz .LBB15_85
	s_branch .LBB15_86
.LBB15_84:
                                        ; implicit-def: $vgpr69
.LBB15_85:
	ds_load_b32 v69, v70
.LBB15_86:
	s_and_saveexec_b32 s5, s1
	s_cbranch_execz .LBB15_96
; %bb.87:
	v_dual_add_nc_u32 v66, -10, v0 :: v_dual_add_nc_u32 v67, -9, v0
	s_delay_alu instid0(VALU_DEP_1)
	v_cmp_lt_u32_e32 vcc_lo, 6, v66
	v_mov_b32_e32 v66, 9
	s_and_saveexec_b32 s1, vcc_lo
	s_cbranch_execz .LBB15_91
; %bb.88:
	v_and_b32_e32 v66, -8, v67
	s_mov_b32 s6, 0
	s_mov_b64 s[2:3], 16
	s_movk_i32 s7, 0x64
	s_delay_alu instid0(VALU_DEP_1)
	v_sub_nc_u32_e32 v68, 0, v66
.LBB15_89:                              ; =>This Inner Loop Header: Depth=1
	s_add_co_i32 m0, s2, -7
	v_movrels_b32_e32 v66, v18
	v_mov_b32_e32 v71, s7
	s_add_co_i32 m0, s2, -6
	s_add_co_i32 s7, s7, 32
	ds_load_2addr_b32 v[72:73], v71 offset1:1
	s_wait_dscnt 0x0
	v_fmac_f32_e32 v69, v66, v72
	v_movrels_b32_e32 v66, v18
	s_add_co_i32 m0, s2, -5
	s_delay_alu instid0(VALU_DEP_1) | instskip(SKIP_4) | instid1(VALU_DEP_1)
	v_fmac_f32_e32 v69, v66, v73
	ds_load_2addr_b32 v[72:73], v71 offset0:2 offset1:3
	v_movrels_b32_e32 v66, v18
	s_add_co_i32 m0, s2, -4
	s_wait_dscnt 0x0
	v_fmac_f32_e32 v69, v66, v72
	v_movrels_b32_e32 v66, v18
	s_add_co_i32 m0, s2, -3
	s_delay_alu instid0(VALU_DEP_1) | instskip(SKIP_4) | instid1(VALU_DEP_1)
	v_fmac_f32_e32 v69, v66, v73
	ds_load_2addr_b32 v[72:73], v71 offset0:4 offset1:5
	v_movrels_b32_e32 v66, v18
	s_add_co_i32 m0, s2, -2
	s_wait_dscnt 0x0
	v_fmac_f32_e32 v69, v66, v72
	v_movrels_b32_e32 v66, v18
	s_add_co_i32 m0, s2, -1
	s_delay_alu instid0(VALU_DEP_1) | instskip(SKIP_4) | instid1(SALU_CYCLE_1)
	v_fmac_f32_e32 v69, v66, v73
	ds_load_2addr_b32 v[72:73], v71 offset0:6 offset1:7
	v_movrels_b32_e32 v66, v18
	s_mov_b32 m0, s2
	s_add_nc_u64 s[2:3], s[2:3], 8
	s_add_co_i32 s8, s2, -7
	s_wait_dscnt 0x0
	v_fmac_f32_e32 v69, v66, v72
	v_movrels_b32_e32 v66, v18
	s_delay_alu instid0(VALU_DEP_1) | instskip(NEXT) | instid1(VALU_DEP_1)
	v_dual_fmac_f32 v69, v66, v73 :: v_dual_add_nc_u32 v66, s2, v68
	v_cmp_eq_u32_e32 vcc_lo, 16, v66
	v_mov_b32_e32 v66, s8
	s_or_b32 s6, vcc_lo, s6
	s_delay_alu instid0(SALU_CYCLE_1)
	s_and_not1_b32 exec_lo, exec_lo, s6
	s_cbranch_execnz .LBB15_89
; %bb.90:
	s_or_b32 exec_lo, exec_lo, s6
.LBB15_91:
	s_delay_alu instid0(SALU_CYCLE_1) | instskip(SKIP_3) | instid1(VALU_DEP_1)
	s_or_b32 exec_lo, exec_lo, s1
	v_and_b32_e32 v68, 7, v67
	s_mov_b32 s2, 0
	s_mov_b32 s1, exec_lo
	v_cmpx_ne_u32_e32 0, v68
	s_cbranch_execz .LBB15_95
; %bb.92:
	v_lshl_add_u32 v71, v66, 2, 64
	v_mov_b32_e32 v67, 0
.LBB15_93:                              ; =>This Inner Loop Header: Depth=1
	v_cmp_eq_u32_e32 vcc_lo, 1, v66
	ds_load_b32 v73, v71
	v_dual_add_nc_u32 v68, -1, v68 :: v_dual_add_nc_u32 v71, 4, v71
	v_cndmask_b32_e32 v72, v18, v19, vcc_lo
	v_cmp_eq_u32_e32 vcc_lo, 2, v66
	s_delay_alu instid0(VALU_DEP_2) | instskip(SKIP_1) | instid1(VALU_DEP_2)
	v_cndmask_b32_e32 v72, v72, v20, vcc_lo
	v_cmp_eq_u32_e32 vcc_lo, 3, v66
	v_cndmask_b32_e32 v72, v72, v21, vcc_lo
	v_cmp_eq_u32_e32 vcc_lo, 4, v66
	s_delay_alu instid0(VALU_DEP_2) | instskip(SKIP_1) | instid1(VALU_DEP_2)
	v_cndmask_b32_e32 v72, v72, v22, vcc_lo
	v_cmp_eq_u32_e32 vcc_lo, 5, v66
	;; [unrolled: 5-line block ×6, first 2 shown]
	v_cndmask_b32_e32 v72, v72, v31, vcc_lo
	v_cmp_eq_u32_e32 vcc_lo, 14, v66
	s_delay_alu instid0(VALU_DEP_2) | instskip(SKIP_2) | instid1(VALU_DEP_3)
	v_cndmask_b32_e32 v72, v72, v32, vcc_lo
	v_cmp_eq_u32_e32 vcc_lo, 15, v66
	v_add_nc_u64_e32 v[66:67], 1, v[66:67]
	v_cndmask_b32_e32 v72, v72, v33, vcc_lo
	v_cmp_eq_u32_e32 vcc_lo, 0, v68
	s_wait_dscnt 0x0
	s_delay_alu instid0(VALU_DEP_2) | instskip(SKIP_1) | instid1(SALU_CYCLE_1)
	v_fmac_f32_e32 v69, v72, v73
	s_or_b32 s2, vcc_lo, s2
	s_and_not1_b32 exec_lo, exec_lo, s2
	s_cbranch_execnz .LBB15_93
; %bb.94:
	s_or_b32 exec_lo, exec_lo, s2
.LBB15_95:
	s_delay_alu instid0(SALU_CYCLE_1)
	s_or_b32 exec_lo, exec_lo, s1
.LBB15_96:
	s_delay_alu instid0(SALU_CYCLE_1)
	s_or_b32 exec_lo, exec_lo, s5
	v_mov_b32_e32 v26, 0
	ds_load_b32 v26, v26 offset:32
	s_wait_dscnt 0x0
	v_mul_f32_e32 v26, v69, v26
.LBB15_97:
	s_or_b32 exec_lo, exec_lo, s4
	v_cmp_lt_u32_e64 s1, 7, v0
	ds_store_b32 v70, v25
	s_wait_dscnt 0x0
	s_barrier_signal -1
	s_barrier_wait -1
	s_and_saveexec_b32 s4, s1
	s_cbranch_execz .LBB15_113
; %bb.98:
	s_and_not1_b32 vcc_lo, exec_lo, s20
	s_cbranch_vccnz .LBB15_100
; %bb.99:
	v_cmp_eq_u32_e32 vcc_lo, 1, v0
	ds_load_b32 v67, v70
	v_cndmask_b32_e32 v66, v18, v19, vcc_lo
	v_cmp_eq_u32_e32 vcc_lo, 2, v0
	s_delay_alu instid0(VALU_DEP_2) | instskip(SKIP_1) | instid1(VALU_DEP_2)
	v_cndmask_b32_e32 v66, v66, v20, vcc_lo
	v_cmp_eq_u32_e32 vcc_lo, 3, v0
	v_cndmask_b32_e32 v66, v66, v21, vcc_lo
	v_cmp_eq_u32_e32 vcc_lo, 4, v0
	s_delay_alu instid0(VALU_DEP_2) | instskip(SKIP_1) | instid1(VALU_DEP_2)
	v_cndmask_b32_e32 v66, v66, v22, vcc_lo
	v_cmp_eq_u32_e32 vcc_lo, 5, v0
	v_cndmask_b32_e32 v66, v66, v23, vcc_lo
	v_cmp_eq_u32_e32 vcc_lo, 6, v0
	s_delay_alu instid0(VALU_DEP_2) | instskip(SKIP_1) | instid1(VALU_DEP_2)
	v_cndmask_b32_e32 v66, v66, v24, vcc_lo
	v_cmp_eq_u32_e32 vcc_lo, 7, v0
	v_cndmask_b32_e32 v66, v66, v25, vcc_lo
	v_cmp_eq_u32_e32 vcc_lo, 8, v0
	s_delay_alu instid0(VALU_DEP_2) | instskip(SKIP_1) | instid1(VALU_DEP_2)
	v_cndmask_b32_e32 v66, v66, v26, vcc_lo
	v_cmp_eq_u32_e32 vcc_lo, 9, v0
	v_cndmask_b32_e32 v66, v66, v27, vcc_lo
	v_cmp_eq_u32_e32 vcc_lo, 10, v0
	s_delay_alu instid0(VALU_DEP_2) | instskip(SKIP_1) | instid1(VALU_DEP_2)
	v_cndmask_b32_e32 v66, v66, v28, vcc_lo
	v_cmp_eq_u32_e32 vcc_lo, 11, v0
	v_cndmask_b32_e32 v66, v66, v29, vcc_lo
	v_cmp_eq_u32_e32 vcc_lo, 12, v0
	s_delay_alu instid0(VALU_DEP_2) | instskip(SKIP_1) | instid1(VALU_DEP_2)
	v_cndmask_b32_e32 v66, v66, v30, vcc_lo
	v_cmp_eq_u32_e32 vcc_lo, 13, v0
	v_cndmask_b32_e32 v66, v66, v31, vcc_lo
	v_cmp_eq_u32_e32 vcc_lo, 14, v0
	s_delay_alu instid0(VALU_DEP_2) | instskip(SKIP_1) | instid1(VALU_DEP_2)
	v_cndmask_b32_e32 v66, v66, v32, vcc_lo
	v_cmp_eq_u32_e32 vcc_lo, 15, v0
	v_cndmask_b32_e32 v66, v66, v33, vcc_lo
	s_wait_dscnt 0x0
	s_delay_alu instid0(VALU_DEP_1)
	v_mul_f32_e32 v71, v66, v67
	s_cbranch_execz .LBB15_101
	s_branch .LBB15_102
.LBB15_100:
                                        ; implicit-def: $vgpr71
.LBB15_101:
	ds_load_b32 v71, v70
.LBB15_102:
	s_and_saveexec_b32 s5, s0
	s_cbranch_execz .LBB15_112
; %bb.103:
	v_add_nc_u32_e32 v66, -9, v0
	s_delay_alu instid0(VALU_DEP_1)
	v_cmp_lt_u32_e32 vcc_lo, 6, v66
	v_mov_b32_e32 v66, 8
	s_and_saveexec_b32 s0, vcc_lo
	s_cbranch_execz .LBB15_107
; %bb.104:
	v_bfe_u32 v66, v0, 3, 1
	v_mov_b32_e32 v67, 0
	s_mov_b64 s[2:3], 0xfffffff8
	s_movk_i32 s7, 0x60
	s_mov_b32 s6, 0
	s_delay_alu instid0(VALU_DEP_1)
	v_mul_u64_e32 v[68:69], s[2:3], v[66:67]
	s_mov_b64 s[2:3], 15
.LBB15_105:                             ; =>This Inner Loop Header: Depth=1
	s_delay_alu instid0(SALU_CYCLE_1)
	s_add_co_i32 m0, s2, -7
	v_movrels_b32_e32 v67, v18
	v_mov_b32_e32 v66, s7
	s_add_co_i32 m0, s2, -6
	s_add_co_i32 s7, s7, 32
	v_movrels_b32_e32 v69, v18
	s_add_co_i32 m0, s2, -5
	ds_load_b128 v[72:75], v66
	ds_load_b128 v[76:79], v66 offset:16
	v_movrels_b32_e32 v66, v18
	s_add_co_i32 m0, s2, -4
	s_wait_dscnt 0x1
	v_fmac_f32_e32 v71, v67, v72
	v_movrels_b32_e32 v67, v18
	s_add_co_i32 m0, s2, -3
	s_delay_alu instid0(VALU_DEP_2) | instskip(NEXT) | instid1(VALU_DEP_1)
	v_fmac_f32_e32 v71, v69, v73
	v_fmac_f32_e32 v71, v66, v74
	v_movrels_b32_e32 v66, v18
	s_add_co_i32 m0, s2, -2
	s_delay_alu instid0(VALU_DEP_2) | instskip(SKIP_3) | instid1(VALU_DEP_2)
	v_fmac_f32_e32 v71, v67, v75
	v_movrels_b32_e32 v67, v18
	s_add_co_i32 m0, s2, -1
	s_wait_dscnt 0x0
	v_fmac_f32_e32 v71, v66, v76
	v_movrels_b32_e32 v66, v18
	s_mov_b32 m0, s2
	s_add_nc_u64 s[2:3], s[2:3], 8
	v_movrels_b32_e32 v69, v18
	v_dual_fmac_f32 v71, v67, v77 :: v_dual_add_nc_u32 v67, s2, v68
	s_add_co_i32 s8, s2, -7
	s_delay_alu instid0(VALU_DEP_1) | instskip(NEXT) | instid1(VALU_DEP_2)
	v_fmac_f32_e32 v71, v66, v78
	v_cmp_eq_u32_e32 vcc_lo, 7, v67
	s_delay_alu instid0(VALU_DEP_2) | instskip(SKIP_1) | instid1(SALU_CYCLE_1)
	v_dual_mov_b32 v66, s8 :: v_dual_fmac_f32 v71, v69, v79
	s_or_b32 s6, vcc_lo, s6
	s_and_not1_b32 exec_lo, exec_lo, s6
	s_cbranch_execnz .LBB15_105
; %bb.106:
	s_or_b32 exec_lo, exec_lo, s6
.LBB15_107:
	s_delay_alu instid0(SALU_CYCLE_1) | instskip(SKIP_3) | instid1(VALU_DEP_1)
	s_or_b32 exec_lo, exec_lo, s0
	v_and_b32_e32 v68, 7, v0
	s_mov_b32 s2, 0
	s_mov_b32 s0, exec_lo
	v_cmpx_ne_u32_e32 0, v68
	s_cbranch_execz .LBB15_111
; %bb.108:
	v_lshl_add_u32 v69, v66, 2, 64
	v_mov_b32_e32 v67, 0
.LBB15_109:                             ; =>This Inner Loop Header: Depth=1
	v_cmp_eq_u32_e32 vcc_lo, 1, v66
	ds_load_b32 v73, v69
	v_dual_add_nc_u32 v68, -1, v68 :: v_dual_add_nc_u32 v69, 4, v69
	v_cndmask_b32_e32 v72, v18, v19, vcc_lo
	v_cmp_eq_u32_e32 vcc_lo, 2, v66
	s_delay_alu instid0(VALU_DEP_2) | instskip(SKIP_1) | instid1(VALU_DEP_2)
	v_cndmask_b32_e32 v72, v72, v20, vcc_lo
	v_cmp_eq_u32_e32 vcc_lo, 3, v66
	v_cndmask_b32_e32 v72, v72, v21, vcc_lo
	v_cmp_eq_u32_e32 vcc_lo, 4, v66
	s_delay_alu instid0(VALU_DEP_2) | instskip(SKIP_1) | instid1(VALU_DEP_2)
	v_cndmask_b32_e32 v72, v72, v22, vcc_lo
	v_cmp_eq_u32_e32 vcc_lo, 5, v66
	;; [unrolled: 5-line block ×6, first 2 shown]
	v_cndmask_b32_e32 v72, v72, v31, vcc_lo
	v_cmp_eq_u32_e32 vcc_lo, 14, v66
	s_delay_alu instid0(VALU_DEP_2) | instskip(SKIP_2) | instid1(VALU_DEP_3)
	v_cndmask_b32_e32 v72, v72, v32, vcc_lo
	v_cmp_eq_u32_e32 vcc_lo, 15, v66
	v_add_nc_u64_e32 v[66:67], 1, v[66:67]
	v_cndmask_b32_e32 v72, v72, v33, vcc_lo
	v_cmp_eq_u32_e32 vcc_lo, 0, v68
	s_wait_dscnt 0x0
	s_delay_alu instid0(VALU_DEP_2) | instskip(SKIP_1) | instid1(SALU_CYCLE_1)
	v_fmac_f32_e32 v71, v72, v73
	s_or_b32 s2, vcc_lo, s2
	s_and_not1_b32 exec_lo, exec_lo, s2
	s_cbranch_execnz .LBB15_109
; %bb.110:
	s_or_b32 exec_lo, exec_lo, s2
.LBB15_111:
	s_delay_alu instid0(SALU_CYCLE_1)
	s_or_b32 exec_lo, exec_lo, s0
.LBB15_112:
	s_delay_alu instid0(SALU_CYCLE_1)
	s_or_b32 exec_lo, exec_lo, s5
	v_mov_b32_e32 v25, 0
	ds_load_b32 v25, v25 offset:28
	s_wait_dscnt 0x0
	v_mul_f32_e32 v25, v71, v25
.LBB15_113:
	s_or_b32 exec_lo, exec_lo, s4
	v_cmp_lt_u32_e64 s0, 6, v0
	ds_store_b32 v70, v24
	s_wait_dscnt 0x0
	s_barrier_signal -1
	s_barrier_wait -1
	s_and_saveexec_b32 s4, s0
	s_cbranch_execz .LBB15_129
; %bb.114:
	s_and_not1_b32 vcc_lo, exec_lo, s20
	s_cbranch_vccnz .LBB15_116
; %bb.115:
	v_cmp_eq_u32_e32 vcc_lo, 1, v0
	ds_load_b32 v67, v70
	v_cndmask_b32_e32 v66, v18, v19, vcc_lo
	v_cmp_eq_u32_e32 vcc_lo, 2, v0
	s_delay_alu instid0(VALU_DEP_2) | instskip(SKIP_1) | instid1(VALU_DEP_2)
	v_cndmask_b32_e32 v66, v66, v20, vcc_lo
	v_cmp_eq_u32_e32 vcc_lo, 3, v0
	v_cndmask_b32_e32 v66, v66, v21, vcc_lo
	v_cmp_eq_u32_e32 vcc_lo, 4, v0
	s_delay_alu instid0(VALU_DEP_2) | instskip(SKIP_1) | instid1(VALU_DEP_2)
	v_cndmask_b32_e32 v66, v66, v22, vcc_lo
	v_cmp_eq_u32_e32 vcc_lo, 5, v0
	;; [unrolled: 5-line block ×7, first 2 shown]
	v_cndmask_b32_e32 v66, v66, v33, vcc_lo
	s_wait_dscnt 0x0
	s_delay_alu instid0(VALU_DEP_1)
	v_mul_f32_e32 v69, v66, v67
	s_cbranch_execz .LBB15_117
	s_branch .LBB15_118
.LBB15_116:
                                        ; implicit-def: $vgpr69
.LBB15_117:
	ds_load_b32 v69, v70
.LBB15_118:
	s_and_saveexec_b32 s5, s1
	s_cbranch_execz .LBB15_128
; %bb.119:
	v_dual_add_nc_u32 v66, -8, v0 :: v_dual_add_nc_u32 v67, -7, v0
	s_delay_alu instid0(VALU_DEP_1)
	v_cmp_lt_u32_e32 vcc_lo, 6, v66
	v_mov_b32_e32 v66, 7
	s_and_saveexec_b32 s1, vcc_lo
	s_cbranch_execz .LBB15_123
; %bb.120:
	v_and_b32_e32 v66, -8, v67
	s_mov_b32 s6, 0
	s_mov_b64 s[2:3], 14
	s_movk_i32 s7, 0x5c
	s_delay_alu instid0(VALU_DEP_1)
	v_sub_nc_u32_e32 v68, 0, v66
.LBB15_121:                             ; =>This Inner Loop Header: Depth=1
	s_add_co_i32 m0, s2, -7
	v_movrels_b32_e32 v66, v18
	v_mov_b32_e32 v71, s7
	s_add_co_i32 m0, s2, -6
	s_add_co_i32 s7, s7, 32
	ds_load_2addr_b32 v[72:73], v71 offset1:1
	s_wait_dscnt 0x0
	v_fmac_f32_e32 v69, v66, v72
	v_movrels_b32_e32 v66, v18
	s_add_co_i32 m0, s2, -5
	s_delay_alu instid0(VALU_DEP_1) | instskip(SKIP_4) | instid1(VALU_DEP_1)
	v_fmac_f32_e32 v69, v66, v73
	ds_load_2addr_b32 v[72:73], v71 offset0:2 offset1:3
	v_movrels_b32_e32 v66, v18
	s_add_co_i32 m0, s2, -4
	s_wait_dscnt 0x0
	v_fmac_f32_e32 v69, v66, v72
	v_movrels_b32_e32 v66, v18
	s_add_co_i32 m0, s2, -3
	s_delay_alu instid0(VALU_DEP_1) | instskip(SKIP_4) | instid1(VALU_DEP_1)
	v_fmac_f32_e32 v69, v66, v73
	ds_load_2addr_b32 v[72:73], v71 offset0:4 offset1:5
	v_movrels_b32_e32 v66, v18
	s_add_co_i32 m0, s2, -2
	s_wait_dscnt 0x0
	v_fmac_f32_e32 v69, v66, v72
	v_movrels_b32_e32 v66, v18
	s_add_co_i32 m0, s2, -1
	s_delay_alu instid0(VALU_DEP_1) | instskip(SKIP_4) | instid1(SALU_CYCLE_1)
	v_fmac_f32_e32 v69, v66, v73
	ds_load_2addr_b32 v[72:73], v71 offset0:6 offset1:7
	v_movrels_b32_e32 v66, v18
	s_mov_b32 m0, s2
	s_add_nc_u64 s[2:3], s[2:3], 8
	s_add_co_i32 s8, s2, -7
	s_wait_dscnt 0x0
	v_fmac_f32_e32 v69, v66, v72
	v_movrels_b32_e32 v66, v18
	s_delay_alu instid0(VALU_DEP_1) | instskip(NEXT) | instid1(VALU_DEP_1)
	v_dual_fmac_f32 v69, v66, v73 :: v_dual_add_nc_u32 v66, s2, v68
	v_cmp_eq_u32_e32 vcc_lo, 14, v66
	v_mov_b32_e32 v66, s8
	s_or_b32 s6, vcc_lo, s6
	s_delay_alu instid0(SALU_CYCLE_1)
	s_and_not1_b32 exec_lo, exec_lo, s6
	s_cbranch_execnz .LBB15_121
; %bb.122:
	s_or_b32 exec_lo, exec_lo, s6
.LBB15_123:
	s_delay_alu instid0(SALU_CYCLE_1) | instskip(SKIP_3) | instid1(VALU_DEP_1)
	s_or_b32 exec_lo, exec_lo, s1
	v_and_b32_e32 v68, 7, v67
	s_mov_b32 s2, 0
	s_mov_b32 s1, exec_lo
	v_cmpx_ne_u32_e32 0, v68
	s_cbranch_execz .LBB15_127
; %bb.124:
	v_lshl_add_u32 v71, v66, 2, 64
	v_mov_b32_e32 v67, 0
.LBB15_125:                             ; =>This Inner Loop Header: Depth=1
	v_cmp_eq_u32_e32 vcc_lo, 1, v66
	ds_load_b32 v73, v71
	v_dual_add_nc_u32 v68, -1, v68 :: v_dual_add_nc_u32 v71, 4, v71
	v_cndmask_b32_e32 v72, v18, v19, vcc_lo
	v_cmp_eq_u32_e32 vcc_lo, 2, v66
	s_delay_alu instid0(VALU_DEP_2) | instskip(SKIP_1) | instid1(VALU_DEP_2)
	v_cndmask_b32_e32 v72, v72, v20, vcc_lo
	v_cmp_eq_u32_e32 vcc_lo, 3, v66
	v_cndmask_b32_e32 v72, v72, v21, vcc_lo
	v_cmp_eq_u32_e32 vcc_lo, 4, v66
	s_delay_alu instid0(VALU_DEP_2) | instskip(SKIP_1) | instid1(VALU_DEP_2)
	v_cndmask_b32_e32 v72, v72, v22, vcc_lo
	v_cmp_eq_u32_e32 vcc_lo, 5, v66
	;; [unrolled: 5-line block ×6, first 2 shown]
	v_cndmask_b32_e32 v72, v72, v31, vcc_lo
	v_cmp_eq_u32_e32 vcc_lo, 14, v66
	s_delay_alu instid0(VALU_DEP_2) | instskip(SKIP_2) | instid1(VALU_DEP_3)
	v_cndmask_b32_e32 v72, v72, v32, vcc_lo
	v_cmp_eq_u32_e32 vcc_lo, 15, v66
	v_add_nc_u64_e32 v[66:67], 1, v[66:67]
	v_cndmask_b32_e32 v72, v72, v33, vcc_lo
	v_cmp_eq_u32_e32 vcc_lo, 0, v68
	s_wait_dscnt 0x0
	s_delay_alu instid0(VALU_DEP_2) | instskip(SKIP_1) | instid1(SALU_CYCLE_1)
	v_fmac_f32_e32 v69, v72, v73
	s_or_b32 s2, vcc_lo, s2
	s_and_not1_b32 exec_lo, exec_lo, s2
	s_cbranch_execnz .LBB15_125
; %bb.126:
	s_or_b32 exec_lo, exec_lo, s2
.LBB15_127:
	s_delay_alu instid0(SALU_CYCLE_1)
	s_or_b32 exec_lo, exec_lo, s1
.LBB15_128:
	s_delay_alu instid0(SALU_CYCLE_1)
	s_or_b32 exec_lo, exec_lo, s5
	v_mov_b32_e32 v24, 0
	ds_load_b32 v24, v24 offset:24
	s_wait_dscnt 0x0
	v_mul_f32_e32 v24, v69, v24
.LBB15_129:
	s_or_b32 exec_lo, exec_lo, s4
	v_cmp_lt_u32_e64 s1, 5, v0
	ds_store_b32 v70, v23
	s_wait_dscnt 0x0
	s_barrier_signal -1
	s_barrier_wait -1
	s_and_saveexec_b32 s4, s1
	s_cbranch_execz .LBB15_145
; %bb.130:
	s_and_not1_b32 vcc_lo, exec_lo, s20
	s_cbranch_vccnz .LBB15_132
; %bb.131:
	v_cmp_eq_u32_e32 vcc_lo, 1, v0
	ds_load_b32 v67, v70
	v_cndmask_b32_e32 v66, v18, v19, vcc_lo
	v_cmp_eq_u32_e32 vcc_lo, 2, v0
	s_delay_alu instid0(VALU_DEP_2) | instskip(SKIP_1) | instid1(VALU_DEP_2)
	v_cndmask_b32_e32 v66, v66, v20, vcc_lo
	v_cmp_eq_u32_e32 vcc_lo, 3, v0
	v_cndmask_b32_e32 v66, v66, v21, vcc_lo
	v_cmp_eq_u32_e32 vcc_lo, 4, v0
	s_delay_alu instid0(VALU_DEP_2) | instskip(SKIP_1) | instid1(VALU_DEP_2)
	v_cndmask_b32_e32 v66, v66, v22, vcc_lo
	v_cmp_eq_u32_e32 vcc_lo, 5, v0
	;; [unrolled: 5-line block ×7, first 2 shown]
	v_cndmask_b32_e32 v66, v66, v33, vcc_lo
	s_wait_dscnt 0x0
	s_delay_alu instid0(VALU_DEP_1)
	v_mul_f32_e32 v69, v66, v67
	s_cbranch_execz .LBB15_133
	s_branch .LBB15_134
.LBB15_132:
                                        ; implicit-def: $vgpr69
.LBB15_133:
	ds_load_b32 v69, v70
.LBB15_134:
	s_and_saveexec_b32 s5, s0
	s_cbranch_execz .LBB15_144
; %bb.135:
	v_dual_add_nc_u32 v68, -7, v0 :: v_dual_add_nc_u32 v67, -6, v0
	v_mov_b32_e32 v66, 6
	s_mov_b32 s0, exec_lo
	s_delay_alu instid0(VALU_DEP_2)
	v_cmpx_lt_u32_e32 6, v68
	s_cbranch_execz .LBB15_139
; %bb.136:
	v_and_b32_e32 v66, -8, v67
	s_mov_b32 s6, 0
	s_mov_b64 s[2:3], 13
	s_movk_i32 s7, 0x58
	s_delay_alu instid0(VALU_DEP_1)
	v_sub_nc_u32_e32 v68, 0, v66
.LBB15_137:                             ; =>This Inner Loop Header: Depth=1
	s_add_co_i32 m0, s2, -7
	v_movrels_b32_e32 v66, v18
	v_mov_b32_e32 v71, s7
	s_add_co_i32 m0, s2, -6
	s_add_co_i32 s7, s7, 32
	ds_load_2addr_b64 v[72:75], v71 offset1:1
	s_wait_dscnt 0x0
	v_fmac_f32_e32 v69, v66, v72
	v_movrels_b32_e32 v66, v18
	s_add_co_i32 m0, s2, -5
	s_delay_alu instid0(VALU_DEP_1) | instskip(SKIP_2) | instid1(VALU_DEP_1)
	v_fmac_f32_e32 v69, v66, v73
	v_movrels_b32_e32 v66, v18
	s_add_co_i32 m0, s2, -4
	v_fmac_f32_e32 v69, v66, v74
	v_movrels_b32_e32 v66, v18
	s_add_co_i32 m0, s2, -3
	s_delay_alu instid0(VALU_DEP_1) | instskip(SKIP_4) | instid1(VALU_DEP_1)
	v_fmac_f32_e32 v69, v66, v75
	ds_load_2addr_b64 v[72:75], v71 offset0:2 offset1:3
	v_movrels_b32_e32 v66, v18
	s_add_co_i32 m0, s2, -2
	s_wait_dscnt 0x0
	v_fmac_f32_e32 v69, v66, v72
	v_movrels_b32_e32 v66, v18
	s_add_co_i32 m0, s2, -1
	s_delay_alu instid0(VALU_DEP_1) | instskip(SKIP_3) | instid1(SALU_CYCLE_1)
	v_fmac_f32_e32 v69, v66, v73
	v_movrels_b32_e32 v66, v18
	s_mov_b32 m0, s2
	s_add_nc_u64 s[2:3], s[2:3], 8
	s_add_co_i32 s8, s2, -7
	s_delay_alu instid0(VALU_DEP_1) | instskip(SKIP_1) | instid1(VALU_DEP_1)
	v_fmac_f32_e32 v69, v66, v74
	v_movrels_b32_e32 v66, v18
	v_dual_fmac_f32 v69, v66, v75 :: v_dual_add_nc_u32 v66, s2, v68
	s_delay_alu instid0(VALU_DEP_1) | instskip(SKIP_2) | instid1(SALU_CYCLE_1)
	v_cmp_eq_u32_e32 vcc_lo, 13, v66
	v_mov_b32_e32 v66, s8
	s_or_b32 s6, vcc_lo, s6
	s_and_not1_b32 exec_lo, exec_lo, s6
	s_cbranch_execnz .LBB15_137
; %bb.138:
	s_or_b32 exec_lo, exec_lo, s6
.LBB15_139:
	s_delay_alu instid0(SALU_CYCLE_1) | instskip(SKIP_3) | instid1(VALU_DEP_1)
	s_or_b32 exec_lo, exec_lo, s0
	v_and_b32_e32 v68, 7, v67
	s_mov_b32 s2, 0
	s_mov_b32 s0, exec_lo
	v_cmpx_ne_u32_e32 0, v68
	s_cbranch_execz .LBB15_143
; %bb.140:
	v_lshl_add_u32 v71, v66, 2, 64
	v_mov_b32_e32 v67, 0
.LBB15_141:                             ; =>This Inner Loop Header: Depth=1
	v_cmp_eq_u32_e32 vcc_lo, 1, v66
	ds_load_b32 v73, v71
	v_dual_add_nc_u32 v68, -1, v68 :: v_dual_add_nc_u32 v71, 4, v71
	v_cndmask_b32_e32 v72, v18, v19, vcc_lo
	v_cmp_eq_u32_e32 vcc_lo, 2, v66
	s_delay_alu instid0(VALU_DEP_2) | instskip(SKIP_1) | instid1(VALU_DEP_2)
	v_cndmask_b32_e32 v72, v72, v20, vcc_lo
	v_cmp_eq_u32_e32 vcc_lo, 3, v66
	v_cndmask_b32_e32 v72, v72, v21, vcc_lo
	v_cmp_eq_u32_e32 vcc_lo, 4, v66
	s_delay_alu instid0(VALU_DEP_2) | instskip(SKIP_1) | instid1(VALU_DEP_2)
	v_cndmask_b32_e32 v72, v72, v22, vcc_lo
	v_cmp_eq_u32_e32 vcc_lo, 5, v66
	;; [unrolled: 5-line block ×6, first 2 shown]
	v_cndmask_b32_e32 v72, v72, v31, vcc_lo
	v_cmp_eq_u32_e32 vcc_lo, 14, v66
	s_delay_alu instid0(VALU_DEP_2) | instskip(SKIP_2) | instid1(VALU_DEP_3)
	v_cndmask_b32_e32 v72, v72, v32, vcc_lo
	v_cmp_eq_u32_e32 vcc_lo, 15, v66
	v_add_nc_u64_e32 v[66:67], 1, v[66:67]
	v_cndmask_b32_e32 v72, v72, v33, vcc_lo
	v_cmp_eq_u32_e32 vcc_lo, 0, v68
	s_wait_dscnt 0x0
	s_delay_alu instid0(VALU_DEP_2) | instskip(SKIP_1) | instid1(SALU_CYCLE_1)
	v_fmac_f32_e32 v69, v72, v73
	s_or_b32 s2, vcc_lo, s2
	s_and_not1_b32 exec_lo, exec_lo, s2
	s_cbranch_execnz .LBB15_141
; %bb.142:
	s_or_b32 exec_lo, exec_lo, s2
.LBB15_143:
	s_delay_alu instid0(SALU_CYCLE_1)
	s_or_b32 exec_lo, exec_lo, s0
.LBB15_144:
	s_delay_alu instid0(SALU_CYCLE_1)
	s_or_b32 exec_lo, exec_lo, s5
	v_mov_b32_e32 v23, 0
	ds_load_b32 v23, v23 offset:20
	s_wait_dscnt 0x0
	v_mul_f32_e32 v23, v69, v23
.LBB15_145:
	s_or_b32 exec_lo, exec_lo, s4
	v_cmp_lt_u32_e64 s0, 4, v0
	ds_store_b32 v70, v22
	s_wait_dscnt 0x0
	s_barrier_signal -1
	s_barrier_wait -1
	s_and_saveexec_b32 s4, s0
	s_cbranch_execz .LBB15_161
; %bb.146:
	s_and_not1_b32 vcc_lo, exec_lo, s20
	s_cbranch_vccnz .LBB15_148
; %bb.147:
	v_cmp_eq_u32_e32 vcc_lo, 1, v0
	ds_load_b32 v67, v70
	v_cndmask_b32_e32 v66, v18, v19, vcc_lo
	v_cmp_eq_u32_e32 vcc_lo, 2, v0
	s_delay_alu instid0(VALU_DEP_2) | instskip(SKIP_1) | instid1(VALU_DEP_2)
	v_cndmask_b32_e32 v66, v66, v20, vcc_lo
	v_cmp_eq_u32_e32 vcc_lo, 3, v0
	v_cndmask_b32_e32 v66, v66, v21, vcc_lo
	v_cmp_eq_u32_e32 vcc_lo, 4, v0
	s_delay_alu instid0(VALU_DEP_2) | instskip(SKIP_1) | instid1(VALU_DEP_2)
	v_cndmask_b32_e32 v66, v66, v22, vcc_lo
	v_cmp_eq_u32_e32 vcc_lo, 5, v0
	v_cndmask_b32_e32 v66, v66, v23, vcc_lo
	v_cmp_eq_u32_e32 vcc_lo, 6, v0
	s_delay_alu instid0(VALU_DEP_2) | instskip(SKIP_1) | instid1(VALU_DEP_2)
	v_cndmask_b32_e32 v66, v66, v24, vcc_lo
	v_cmp_eq_u32_e32 vcc_lo, 7, v0
	v_cndmask_b32_e32 v66, v66, v25, vcc_lo
	v_cmp_eq_u32_e32 vcc_lo, 8, v0
	s_delay_alu instid0(VALU_DEP_2) | instskip(SKIP_1) | instid1(VALU_DEP_2)
	v_cndmask_b32_e32 v66, v66, v26, vcc_lo
	v_cmp_eq_u32_e32 vcc_lo, 9, v0
	v_cndmask_b32_e32 v66, v66, v27, vcc_lo
	v_cmp_eq_u32_e32 vcc_lo, 10, v0
	s_delay_alu instid0(VALU_DEP_2) | instskip(SKIP_1) | instid1(VALU_DEP_2)
	v_cndmask_b32_e32 v66, v66, v28, vcc_lo
	v_cmp_eq_u32_e32 vcc_lo, 11, v0
	v_cndmask_b32_e32 v66, v66, v29, vcc_lo
	v_cmp_eq_u32_e32 vcc_lo, 12, v0
	s_delay_alu instid0(VALU_DEP_2) | instskip(SKIP_1) | instid1(VALU_DEP_2)
	v_cndmask_b32_e32 v66, v66, v30, vcc_lo
	v_cmp_eq_u32_e32 vcc_lo, 13, v0
	v_cndmask_b32_e32 v66, v66, v31, vcc_lo
	v_cmp_eq_u32_e32 vcc_lo, 14, v0
	s_delay_alu instid0(VALU_DEP_2) | instskip(SKIP_1) | instid1(VALU_DEP_2)
	v_cndmask_b32_e32 v66, v66, v32, vcc_lo
	v_cmp_eq_u32_e32 vcc_lo, 15, v0
	v_cndmask_b32_e32 v66, v66, v33, vcc_lo
	s_wait_dscnt 0x0
	s_delay_alu instid0(VALU_DEP_1)
	v_mul_f32_e32 v69, v66, v67
	s_cbranch_execz .LBB15_149
	s_branch .LBB15_150
.LBB15_148:
                                        ; implicit-def: $vgpr69
.LBB15_149:
	ds_load_b32 v69, v70
.LBB15_150:
	s_and_saveexec_b32 s5, s1
	s_cbranch_execz .LBB15_160
; %bb.151:
	v_dual_add_nc_u32 v66, -6, v0 :: v_dual_add_nc_u32 v67, -5, v0
	s_delay_alu instid0(VALU_DEP_1)
	v_cmp_lt_u32_e32 vcc_lo, 6, v66
	v_mov_b32_e32 v66, 5
	s_and_saveexec_b32 s1, vcc_lo
	s_cbranch_execz .LBB15_155
; %bb.152:
	v_and_b32_e32 v66, -8, v67
	s_mov_b32 s6, 0
	s_mov_b64 s[2:3], 12
	s_movk_i32 s7, 0x54
	s_delay_alu instid0(VALU_DEP_1)
	v_sub_nc_u32_e32 v68, 0, v66
.LBB15_153:                             ; =>This Inner Loop Header: Depth=1
	s_add_co_i32 m0, s2, -7
	v_movrels_b32_e32 v66, v18
	v_mov_b32_e32 v71, s7
	s_add_co_i32 m0, s2, -6
	s_add_co_i32 s7, s7, 32
	ds_load_2addr_b32 v[72:73], v71 offset1:1
	s_wait_dscnt 0x0
	v_fmac_f32_e32 v69, v66, v72
	v_movrels_b32_e32 v66, v18
	s_add_co_i32 m0, s2, -5
	s_delay_alu instid0(VALU_DEP_1) | instskip(SKIP_4) | instid1(VALU_DEP_1)
	v_fmac_f32_e32 v69, v66, v73
	ds_load_2addr_b32 v[72:73], v71 offset0:2 offset1:3
	v_movrels_b32_e32 v66, v18
	s_add_co_i32 m0, s2, -4
	s_wait_dscnt 0x0
	v_fmac_f32_e32 v69, v66, v72
	v_movrels_b32_e32 v66, v18
	s_add_co_i32 m0, s2, -3
	s_delay_alu instid0(VALU_DEP_1) | instskip(SKIP_4) | instid1(VALU_DEP_1)
	v_fmac_f32_e32 v69, v66, v73
	ds_load_2addr_b32 v[72:73], v71 offset0:4 offset1:5
	v_movrels_b32_e32 v66, v18
	s_add_co_i32 m0, s2, -2
	s_wait_dscnt 0x0
	v_fmac_f32_e32 v69, v66, v72
	v_movrels_b32_e32 v66, v18
	s_add_co_i32 m0, s2, -1
	s_delay_alu instid0(VALU_DEP_1) | instskip(SKIP_4) | instid1(SALU_CYCLE_1)
	v_fmac_f32_e32 v69, v66, v73
	ds_load_2addr_b32 v[72:73], v71 offset0:6 offset1:7
	v_movrels_b32_e32 v66, v18
	s_mov_b32 m0, s2
	s_add_nc_u64 s[2:3], s[2:3], 8
	s_add_co_i32 s8, s2, -7
	s_wait_dscnt 0x0
	v_fmac_f32_e32 v69, v66, v72
	v_movrels_b32_e32 v66, v18
	s_delay_alu instid0(VALU_DEP_1) | instskip(NEXT) | instid1(VALU_DEP_1)
	v_dual_fmac_f32 v69, v66, v73 :: v_dual_add_nc_u32 v66, s2, v68
	v_cmp_eq_u32_e32 vcc_lo, 12, v66
	v_mov_b32_e32 v66, s8
	s_or_b32 s6, vcc_lo, s6
	s_delay_alu instid0(SALU_CYCLE_1)
	s_and_not1_b32 exec_lo, exec_lo, s6
	s_cbranch_execnz .LBB15_153
; %bb.154:
	s_or_b32 exec_lo, exec_lo, s6
.LBB15_155:
	s_delay_alu instid0(SALU_CYCLE_1) | instskip(SKIP_3) | instid1(VALU_DEP_1)
	s_or_b32 exec_lo, exec_lo, s1
	v_and_b32_e32 v68, 7, v67
	s_mov_b32 s2, 0
	s_mov_b32 s1, exec_lo
	v_cmpx_ne_u32_e32 0, v68
	s_cbranch_execz .LBB15_159
; %bb.156:
	v_lshl_add_u32 v71, v66, 2, 64
	v_mov_b32_e32 v67, 0
.LBB15_157:                             ; =>This Inner Loop Header: Depth=1
	v_cmp_eq_u32_e32 vcc_lo, 1, v66
	ds_load_b32 v73, v71
	v_dual_add_nc_u32 v68, -1, v68 :: v_dual_add_nc_u32 v71, 4, v71
	v_cndmask_b32_e32 v72, v18, v19, vcc_lo
	v_cmp_eq_u32_e32 vcc_lo, 2, v66
	s_delay_alu instid0(VALU_DEP_2) | instskip(SKIP_1) | instid1(VALU_DEP_2)
	v_cndmask_b32_e32 v72, v72, v20, vcc_lo
	v_cmp_eq_u32_e32 vcc_lo, 3, v66
	v_cndmask_b32_e32 v72, v72, v21, vcc_lo
	v_cmp_eq_u32_e32 vcc_lo, 4, v66
	s_delay_alu instid0(VALU_DEP_2) | instskip(SKIP_1) | instid1(VALU_DEP_2)
	v_cndmask_b32_e32 v72, v72, v22, vcc_lo
	v_cmp_eq_u32_e32 vcc_lo, 5, v66
	;; [unrolled: 5-line block ×6, first 2 shown]
	v_cndmask_b32_e32 v72, v72, v31, vcc_lo
	v_cmp_eq_u32_e32 vcc_lo, 14, v66
	s_delay_alu instid0(VALU_DEP_2) | instskip(SKIP_2) | instid1(VALU_DEP_3)
	v_cndmask_b32_e32 v72, v72, v32, vcc_lo
	v_cmp_eq_u32_e32 vcc_lo, 15, v66
	v_add_nc_u64_e32 v[66:67], 1, v[66:67]
	v_cndmask_b32_e32 v72, v72, v33, vcc_lo
	v_cmp_eq_u32_e32 vcc_lo, 0, v68
	s_wait_dscnt 0x0
	s_delay_alu instid0(VALU_DEP_2) | instskip(SKIP_1) | instid1(SALU_CYCLE_1)
	v_fmac_f32_e32 v69, v72, v73
	s_or_b32 s2, vcc_lo, s2
	s_and_not1_b32 exec_lo, exec_lo, s2
	s_cbranch_execnz .LBB15_157
; %bb.158:
	s_or_b32 exec_lo, exec_lo, s2
.LBB15_159:
	s_delay_alu instid0(SALU_CYCLE_1)
	s_or_b32 exec_lo, exec_lo, s1
.LBB15_160:
	s_delay_alu instid0(SALU_CYCLE_1)
	s_or_b32 exec_lo, exec_lo, s5
	v_mov_b32_e32 v22, 0
	ds_load_b32 v22, v22 offset:16
	s_wait_dscnt 0x0
	v_mul_f32_e32 v22, v69, v22
.LBB15_161:
	s_or_b32 exec_lo, exec_lo, s4
	v_cmp_lt_u32_e64 s1, 3, v0
	ds_store_b32 v70, v21
	s_wait_dscnt 0x0
	s_barrier_signal -1
	s_barrier_wait -1
	s_and_saveexec_b32 s4, s1
	s_cbranch_execz .LBB15_177
; %bb.162:
	s_and_not1_b32 vcc_lo, exec_lo, s20
	s_cbranch_vccnz .LBB15_164
; %bb.163:
	v_cmp_eq_u32_e32 vcc_lo, 1, v0
	ds_load_b32 v67, v70
	v_cndmask_b32_e32 v66, v18, v19, vcc_lo
	v_cmp_eq_u32_e32 vcc_lo, 2, v0
	s_delay_alu instid0(VALU_DEP_2) | instskip(SKIP_1) | instid1(VALU_DEP_2)
	v_cndmask_b32_e32 v66, v66, v20, vcc_lo
	v_cmp_eq_u32_e32 vcc_lo, 3, v0
	v_cndmask_b32_e32 v66, v66, v21, vcc_lo
	v_cmp_eq_u32_e32 vcc_lo, 4, v0
	s_delay_alu instid0(VALU_DEP_2) | instskip(SKIP_1) | instid1(VALU_DEP_2)
	v_cndmask_b32_e32 v66, v66, v22, vcc_lo
	v_cmp_eq_u32_e32 vcc_lo, 5, v0
	;; [unrolled: 5-line block ×7, first 2 shown]
	v_cndmask_b32_e32 v66, v66, v33, vcc_lo
	s_wait_dscnt 0x0
	s_delay_alu instid0(VALU_DEP_1)
	v_mul_f32_e32 v69, v66, v67
	s_cbranch_execz .LBB15_165
	s_branch .LBB15_166
.LBB15_164:
                                        ; implicit-def: $vgpr69
.LBB15_165:
	ds_load_b32 v69, v70
.LBB15_166:
	s_and_saveexec_b32 s5, s0
	s_cbranch_execz .LBB15_176
; %bb.167:
	v_dual_add_nc_u32 v66, -5, v0 :: v_dual_add_nc_u32 v67, -4, v0
	s_delay_alu instid0(VALU_DEP_1)
	v_cmp_lt_u32_e32 vcc_lo, 6, v66
	v_mov_b32_e32 v66, 4
	s_and_saveexec_b32 s0, vcc_lo
	s_cbranch_execz .LBB15_171
; %bb.168:
	v_and_b32_e32 v66, -8, v67
	s_mov_b32 s6, 0
	s_mov_b64 s[2:3], 5
	s_movk_i32 s7, 0x50
	s_delay_alu instid0(VALU_DEP_1)
	v_sub_nc_u32_e32 v68, 0, v66
.LBB15_169:                             ; =>This Inner Loop Header: Depth=1
	s_add_co_i32 m0, s2, -1
	v_movrels_b32_e32 v66, v18
	v_mov_b32_e32 v71, s7
	s_mov_b32 m0, s2
	s_add_co_i32 s7, s7, 32
	ds_load_b128 v[72:75], v71
	ds_load_b128 v[76:79], v71 offset:16
	s_wait_dscnt 0x1
	v_fmac_f32_e32 v69, v66, v72
	v_movrels_b32_e32 v66, v18
	s_add_co_i32 m0, s2, 1
	s_delay_alu instid0(VALU_DEP_1) | instskip(SKIP_2) | instid1(VALU_DEP_1)
	v_fmac_f32_e32 v69, v66, v73
	v_movrels_b32_e32 v66, v18
	s_add_co_i32 m0, s2, 2
	v_fmac_f32_e32 v69, v66, v74
	v_movrels_b32_e32 v66, v18
	s_add_co_i32 m0, s2, 3
	s_delay_alu instid0(VALU_DEP_1) | instskip(SKIP_3) | instid1(VALU_DEP_1)
	v_fmac_f32_e32 v69, v66, v75
	v_movrels_b32_e32 v66, v18
	s_add_co_i32 m0, s2, 4
	s_wait_dscnt 0x0
	v_fmac_f32_e32 v69, v66, v76
	v_movrels_b32_e32 v66, v18
	s_add_co_i32 m0, s2, 5
	s_delay_alu instid0(VALU_DEP_1) | instskip(SKIP_3) | instid1(SALU_CYCLE_1)
	v_fmac_f32_e32 v69, v66, v77
	v_movrels_b32_e32 v66, v18
	s_add_co_i32 m0, s2, 6
	s_add_nc_u64 s[2:3], s[2:3], 8
	s_add_co_i32 s8, s2, -1
	s_delay_alu instid0(VALU_DEP_1) | instskip(SKIP_1) | instid1(VALU_DEP_1)
	v_fmac_f32_e32 v69, v66, v78
	v_movrels_b32_e32 v66, v18
	v_dual_fmac_f32 v69, v66, v79 :: v_dual_add_nc_u32 v66, s2, v68
	s_delay_alu instid0(VALU_DEP_1) | instskip(SKIP_2) | instid1(SALU_CYCLE_1)
	v_cmp_eq_u32_e32 vcc_lo, 5, v66
	v_mov_b32_e32 v66, s8
	s_or_b32 s6, vcc_lo, s6
	s_and_not1_b32 exec_lo, exec_lo, s6
	s_cbranch_execnz .LBB15_169
; %bb.170:
	s_or_b32 exec_lo, exec_lo, s6
.LBB15_171:
	s_delay_alu instid0(SALU_CYCLE_1) | instskip(SKIP_3) | instid1(VALU_DEP_1)
	s_or_b32 exec_lo, exec_lo, s0
	v_and_b32_e32 v68, 7, v67
	s_mov_b32 s2, 0
	s_mov_b32 s0, exec_lo
	v_cmpx_ne_u32_e32 0, v68
	s_cbranch_execz .LBB15_175
; %bb.172:
	v_lshl_add_u32 v71, v66, 2, 64
	v_mov_b32_e32 v67, 0
.LBB15_173:                             ; =>This Inner Loop Header: Depth=1
	v_cmp_eq_u32_e32 vcc_lo, 1, v66
	ds_load_b32 v73, v71
	v_dual_add_nc_u32 v68, -1, v68 :: v_dual_add_nc_u32 v71, 4, v71
	v_cndmask_b32_e32 v72, v18, v19, vcc_lo
	v_cmp_eq_u32_e32 vcc_lo, 2, v66
	s_delay_alu instid0(VALU_DEP_2) | instskip(SKIP_1) | instid1(VALU_DEP_2)
	v_cndmask_b32_e32 v72, v72, v20, vcc_lo
	v_cmp_eq_u32_e32 vcc_lo, 3, v66
	v_cndmask_b32_e32 v72, v72, v21, vcc_lo
	v_cmp_eq_u32_e32 vcc_lo, 4, v66
	s_delay_alu instid0(VALU_DEP_2) | instskip(SKIP_1) | instid1(VALU_DEP_2)
	v_cndmask_b32_e32 v72, v72, v22, vcc_lo
	v_cmp_eq_u32_e32 vcc_lo, 5, v66
	;; [unrolled: 5-line block ×6, first 2 shown]
	v_cndmask_b32_e32 v72, v72, v31, vcc_lo
	v_cmp_eq_u32_e32 vcc_lo, 14, v66
	s_delay_alu instid0(VALU_DEP_2) | instskip(SKIP_2) | instid1(VALU_DEP_3)
	v_cndmask_b32_e32 v72, v72, v32, vcc_lo
	v_cmp_eq_u32_e32 vcc_lo, 15, v66
	v_add_nc_u64_e32 v[66:67], 1, v[66:67]
	v_cndmask_b32_e32 v72, v72, v33, vcc_lo
	v_cmp_eq_u32_e32 vcc_lo, 0, v68
	s_wait_dscnt 0x0
	s_delay_alu instid0(VALU_DEP_2) | instskip(SKIP_1) | instid1(SALU_CYCLE_1)
	v_fmac_f32_e32 v69, v72, v73
	s_or_b32 s2, vcc_lo, s2
	s_and_not1_b32 exec_lo, exec_lo, s2
	s_cbranch_execnz .LBB15_173
; %bb.174:
	s_or_b32 exec_lo, exec_lo, s2
.LBB15_175:
	s_delay_alu instid0(SALU_CYCLE_1)
	s_or_b32 exec_lo, exec_lo, s0
.LBB15_176:
	s_delay_alu instid0(SALU_CYCLE_1)
	s_or_b32 exec_lo, exec_lo, s5
	v_mov_b32_e32 v21, 0
	ds_load_b32 v21, v21 offset:12
	s_wait_dscnt 0x0
	v_mul_f32_e32 v21, v69, v21
.LBB15_177:
	s_or_b32 exec_lo, exec_lo, s4
	v_cmp_lt_u32_e64 s0, 2, v0
	ds_store_b32 v70, v20
	s_wait_dscnt 0x0
	s_barrier_signal -1
	s_barrier_wait -1
	s_and_saveexec_b32 s4, s0
	s_cbranch_execz .LBB15_193
; %bb.178:
	s_and_not1_b32 vcc_lo, exec_lo, s20
	s_cbranch_vccnz .LBB15_180
; %bb.179:
	v_cmp_eq_u32_e32 vcc_lo, 1, v0
	ds_load_b32 v67, v70
	v_cndmask_b32_e32 v66, v18, v19, vcc_lo
	v_cmp_eq_u32_e32 vcc_lo, 2, v0
	s_delay_alu instid0(VALU_DEP_2) | instskip(SKIP_1) | instid1(VALU_DEP_2)
	v_cndmask_b32_e32 v66, v66, v20, vcc_lo
	v_cmp_eq_u32_e32 vcc_lo, 3, v0
	v_cndmask_b32_e32 v66, v66, v21, vcc_lo
	v_cmp_eq_u32_e32 vcc_lo, 4, v0
	s_delay_alu instid0(VALU_DEP_2) | instskip(SKIP_1) | instid1(VALU_DEP_2)
	v_cndmask_b32_e32 v66, v66, v22, vcc_lo
	v_cmp_eq_u32_e32 vcc_lo, 5, v0
	;; [unrolled: 5-line block ×7, first 2 shown]
	v_cndmask_b32_e32 v66, v66, v33, vcc_lo
	s_wait_dscnt 0x0
	s_delay_alu instid0(VALU_DEP_1)
	v_mul_f32_e32 v69, v66, v67
	s_cbranch_execz .LBB15_181
	s_branch .LBB15_182
.LBB15_180:
                                        ; implicit-def: $vgpr69
.LBB15_181:
	ds_load_b32 v69, v70
.LBB15_182:
	s_and_saveexec_b32 s5, s1
	s_cbranch_execz .LBB15_192
; %bb.183:
	v_dual_add_nc_u32 v66, -4, v0 :: v_dual_add_nc_u32 v67, -3, v0
	s_delay_alu instid0(VALU_DEP_1)
	v_cmp_lt_u32_e32 vcc_lo, 6, v66
	v_mov_b32_e32 v66, 3
	s_and_saveexec_b32 s1, vcc_lo
	s_cbranch_execz .LBB15_187
; %bb.184:
	v_and_b32_e32 v66, -8, v67
	s_mov_b32 s6, 0
	s_mov_b64 s[2:3], 10
	s_movk_i32 s7, 0x4c
	s_delay_alu instid0(VALU_DEP_1)
	v_sub_nc_u32_e32 v68, 0, v66
.LBB15_185:                             ; =>This Inner Loop Header: Depth=1
	s_add_co_i32 m0, s2, -7
	v_movrels_b32_e32 v66, v18
	v_mov_b32_e32 v71, s7
	s_add_co_i32 m0, s2, -6
	s_add_co_i32 s7, s7, 32
	ds_load_2addr_b32 v[72:73], v71 offset1:1
	s_wait_dscnt 0x0
	v_fmac_f32_e32 v69, v66, v72
	v_movrels_b32_e32 v66, v18
	s_add_co_i32 m0, s2, -5
	s_delay_alu instid0(VALU_DEP_1) | instskip(SKIP_4) | instid1(VALU_DEP_1)
	v_fmac_f32_e32 v69, v66, v73
	ds_load_2addr_b32 v[72:73], v71 offset0:2 offset1:3
	v_movrels_b32_e32 v66, v18
	s_add_co_i32 m0, s2, -4
	s_wait_dscnt 0x0
	v_fmac_f32_e32 v69, v66, v72
	v_movrels_b32_e32 v66, v18
	s_add_co_i32 m0, s2, -3
	s_delay_alu instid0(VALU_DEP_1) | instskip(SKIP_4) | instid1(VALU_DEP_1)
	v_fmac_f32_e32 v69, v66, v73
	ds_load_2addr_b32 v[72:73], v71 offset0:4 offset1:5
	v_movrels_b32_e32 v66, v18
	s_add_co_i32 m0, s2, -2
	s_wait_dscnt 0x0
	v_fmac_f32_e32 v69, v66, v72
	v_movrels_b32_e32 v66, v18
	s_add_co_i32 m0, s2, -1
	s_delay_alu instid0(VALU_DEP_1) | instskip(SKIP_4) | instid1(SALU_CYCLE_1)
	v_fmac_f32_e32 v69, v66, v73
	ds_load_2addr_b32 v[72:73], v71 offset0:6 offset1:7
	v_movrels_b32_e32 v66, v18
	s_mov_b32 m0, s2
	s_add_nc_u64 s[2:3], s[2:3], 8
	s_add_co_i32 s8, s2, -7
	s_wait_dscnt 0x0
	v_fmac_f32_e32 v69, v66, v72
	v_movrels_b32_e32 v66, v18
	s_delay_alu instid0(VALU_DEP_1) | instskip(NEXT) | instid1(VALU_DEP_1)
	v_dual_fmac_f32 v69, v66, v73 :: v_dual_add_nc_u32 v66, s2, v68
	v_cmp_eq_u32_e32 vcc_lo, 10, v66
	v_mov_b32_e32 v66, s8
	s_or_b32 s6, vcc_lo, s6
	s_delay_alu instid0(SALU_CYCLE_1)
	s_and_not1_b32 exec_lo, exec_lo, s6
	s_cbranch_execnz .LBB15_185
; %bb.186:
	s_or_b32 exec_lo, exec_lo, s6
.LBB15_187:
	s_delay_alu instid0(SALU_CYCLE_1) | instskip(SKIP_3) | instid1(VALU_DEP_1)
	s_or_b32 exec_lo, exec_lo, s1
	v_and_b32_e32 v68, 7, v67
	s_mov_b32 s2, 0
	s_mov_b32 s1, exec_lo
	v_cmpx_ne_u32_e32 0, v68
	s_cbranch_execz .LBB15_191
; %bb.188:
	v_lshl_add_u32 v71, v66, 2, 64
	v_mov_b32_e32 v67, 0
.LBB15_189:                             ; =>This Inner Loop Header: Depth=1
	v_cmp_eq_u32_e32 vcc_lo, 1, v66
	ds_load_b32 v73, v71
	v_dual_add_nc_u32 v68, -1, v68 :: v_dual_add_nc_u32 v71, 4, v71
	v_cndmask_b32_e32 v72, v18, v19, vcc_lo
	v_cmp_eq_u32_e32 vcc_lo, 2, v66
	s_delay_alu instid0(VALU_DEP_2) | instskip(SKIP_1) | instid1(VALU_DEP_2)
	v_cndmask_b32_e32 v72, v72, v20, vcc_lo
	v_cmp_eq_u32_e32 vcc_lo, 3, v66
	v_cndmask_b32_e32 v72, v72, v21, vcc_lo
	v_cmp_eq_u32_e32 vcc_lo, 4, v66
	s_delay_alu instid0(VALU_DEP_2) | instskip(SKIP_1) | instid1(VALU_DEP_2)
	v_cndmask_b32_e32 v72, v72, v22, vcc_lo
	v_cmp_eq_u32_e32 vcc_lo, 5, v66
	;; [unrolled: 5-line block ×6, first 2 shown]
	v_cndmask_b32_e32 v72, v72, v31, vcc_lo
	v_cmp_eq_u32_e32 vcc_lo, 14, v66
	s_delay_alu instid0(VALU_DEP_2) | instskip(SKIP_2) | instid1(VALU_DEP_3)
	v_cndmask_b32_e32 v72, v72, v32, vcc_lo
	v_cmp_eq_u32_e32 vcc_lo, 15, v66
	v_add_nc_u64_e32 v[66:67], 1, v[66:67]
	v_cndmask_b32_e32 v72, v72, v33, vcc_lo
	v_cmp_eq_u32_e32 vcc_lo, 0, v68
	s_wait_dscnt 0x0
	s_delay_alu instid0(VALU_DEP_2) | instskip(SKIP_1) | instid1(SALU_CYCLE_1)
	v_fmac_f32_e32 v69, v72, v73
	s_or_b32 s2, vcc_lo, s2
	s_and_not1_b32 exec_lo, exec_lo, s2
	s_cbranch_execnz .LBB15_189
; %bb.190:
	s_or_b32 exec_lo, exec_lo, s2
.LBB15_191:
	s_delay_alu instid0(SALU_CYCLE_1)
	s_or_b32 exec_lo, exec_lo, s1
.LBB15_192:
	s_delay_alu instid0(SALU_CYCLE_1)
	s_or_b32 exec_lo, exec_lo, s5
	v_mov_b32_e32 v20, 0
	ds_load_b32 v20, v20 offset:8
	s_wait_dscnt 0x0
	v_mul_f32_e32 v20, v69, v20
.LBB15_193:
	s_or_b32 exec_lo, exec_lo, s4
	v_cmp_lt_u32_e64 s1, 1, v0
	ds_store_b32 v70, v19
	s_wait_dscnt 0x0
	s_barrier_signal -1
	s_barrier_wait -1
	s_and_saveexec_b32 s4, s1
	s_cbranch_execz .LBB15_209
; %bb.194:
	s_and_not1_b32 vcc_lo, exec_lo, s20
	s_cbranch_vccnz .LBB15_196
; %bb.195:
	v_cmp_eq_u32_e32 vcc_lo, 1, v0
	ds_load_b32 v67, v70
	v_cndmask_b32_e32 v66, v18, v19, vcc_lo
	v_cmp_eq_u32_e32 vcc_lo, 2, v0
	s_delay_alu instid0(VALU_DEP_2) | instskip(SKIP_1) | instid1(VALU_DEP_2)
	v_cndmask_b32_e32 v66, v66, v20, vcc_lo
	v_cmp_eq_u32_e32 vcc_lo, 3, v0
	v_cndmask_b32_e32 v66, v66, v21, vcc_lo
	v_cmp_eq_u32_e32 vcc_lo, 4, v0
	s_delay_alu instid0(VALU_DEP_2) | instskip(SKIP_1) | instid1(VALU_DEP_2)
	v_cndmask_b32_e32 v66, v66, v22, vcc_lo
	v_cmp_eq_u32_e32 vcc_lo, 5, v0
	;; [unrolled: 5-line block ×7, first 2 shown]
	v_cndmask_b32_e32 v66, v66, v33, vcc_lo
	s_wait_dscnt 0x0
	s_delay_alu instid0(VALU_DEP_1)
	v_mul_f32_e32 v69, v66, v67
	s_cbranch_execz .LBB15_197
	s_branch .LBB15_198
.LBB15_196:
                                        ; implicit-def: $vgpr69
.LBB15_197:
	ds_load_b32 v69, v70
.LBB15_198:
	s_and_saveexec_b32 s5, s0
	s_cbranch_execz .LBB15_208
; %bb.199:
	v_dual_add_nc_u32 v66, -3, v0 :: v_dual_add_nc_u32 v67, -2, v0
	s_delay_alu instid0(VALU_DEP_1)
	v_cmp_lt_u32_e32 vcc_lo, 6, v66
	v_mov_b32_e32 v66, 2
	s_and_saveexec_b32 s0, vcc_lo
	s_cbranch_execz .LBB15_203
; %bb.200:
	v_and_b32_e32 v66, -8, v67
	s_mov_b32 s6, 0
	s_mov_b64 s[2:3], 9
	s_movk_i32 s7, 0x48
	s_delay_alu instid0(VALU_DEP_1)
	v_sub_nc_u32_e32 v68, 0, v66
.LBB15_201:                             ; =>This Inner Loop Header: Depth=1
	s_add_co_i32 m0, s2, -7
	v_movrels_b32_e32 v66, v18
	v_mov_b32_e32 v71, s7
	s_add_co_i32 m0, s2, -6
	s_add_co_i32 s7, s7, 32
	ds_load_2addr_b64 v[72:75], v71 offset1:1
	s_wait_dscnt 0x0
	v_fmac_f32_e32 v69, v66, v72
	v_movrels_b32_e32 v66, v18
	s_add_co_i32 m0, s2, -5
	s_delay_alu instid0(VALU_DEP_1) | instskip(SKIP_2) | instid1(VALU_DEP_1)
	v_fmac_f32_e32 v69, v66, v73
	v_movrels_b32_e32 v66, v18
	s_add_co_i32 m0, s2, -4
	v_fmac_f32_e32 v69, v66, v74
	v_movrels_b32_e32 v66, v18
	s_add_co_i32 m0, s2, -3
	s_delay_alu instid0(VALU_DEP_1) | instskip(SKIP_4) | instid1(VALU_DEP_1)
	v_fmac_f32_e32 v69, v66, v75
	ds_load_2addr_b64 v[72:75], v71 offset0:2 offset1:3
	v_movrels_b32_e32 v66, v18
	s_add_co_i32 m0, s2, -2
	s_wait_dscnt 0x0
	v_fmac_f32_e32 v69, v66, v72
	v_movrels_b32_e32 v66, v18
	s_add_co_i32 m0, s2, -1
	s_delay_alu instid0(VALU_DEP_1) | instskip(SKIP_3) | instid1(SALU_CYCLE_1)
	v_fmac_f32_e32 v69, v66, v73
	v_movrels_b32_e32 v66, v18
	s_mov_b32 m0, s2
	s_add_nc_u64 s[2:3], s[2:3], 8
	s_add_co_i32 s8, s2, -7
	s_delay_alu instid0(VALU_DEP_1) | instskip(SKIP_1) | instid1(VALU_DEP_1)
	v_fmac_f32_e32 v69, v66, v74
	v_movrels_b32_e32 v66, v18
	v_dual_fmac_f32 v69, v66, v75 :: v_dual_add_nc_u32 v66, s2, v68
	s_delay_alu instid0(VALU_DEP_1) | instskip(SKIP_2) | instid1(SALU_CYCLE_1)
	v_cmp_eq_u32_e32 vcc_lo, 9, v66
	v_mov_b32_e32 v66, s8
	s_or_b32 s6, vcc_lo, s6
	s_and_not1_b32 exec_lo, exec_lo, s6
	s_cbranch_execnz .LBB15_201
; %bb.202:
	s_or_b32 exec_lo, exec_lo, s6
.LBB15_203:
	s_delay_alu instid0(SALU_CYCLE_1) | instskip(SKIP_3) | instid1(VALU_DEP_1)
	s_or_b32 exec_lo, exec_lo, s0
	v_and_b32_e32 v68, 7, v67
	s_mov_b32 s2, 0
	s_mov_b32 s0, exec_lo
	v_cmpx_ne_u32_e32 0, v68
	s_cbranch_execz .LBB15_207
; %bb.204:
	v_lshl_add_u32 v71, v66, 2, 64
	v_mov_b32_e32 v67, 0
.LBB15_205:                             ; =>This Inner Loop Header: Depth=1
	v_cmp_eq_u32_e32 vcc_lo, 1, v66
	ds_load_b32 v73, v71
	v_dual_add_nc_u32 v68, -1, v68 :: v_dual_add_nc_u32 v71, 4, v71
	v_cndmask_b32_e32 v72, v18, v19, vcc_lo
	v_cmp_eq_u32_e32 vcc_lo, 2, v66
	s_delay_alu instid0(VALU_DEP_2) | instskip(SKIP_1) | instid1(VALU_DEP_2)
	v_cndmask_b32_e32 v72, v72, v20, vcc_lo
	v_cmp_eq_u32_e32 vcc_lo, 3, v66
	v_cndmask_b32_e32 v72, v72, v21, vcc_lo
	v_cmp_eq_u32_e32 vcc_lo, 4, v66
	s_delay_alu instid0(VALU_DEP_2) | instskip(SKIP_1) | instid1(VALU_DEP_2)
	v_cndmask_b32_e32 v72, v72, v22, vcc_lo
	v_cmp_eq_u32_e32 vcc_lo, 5, v66
	;; [unrolled: 5-line block ×6, first 2 shown]
	v_cndmask_b32_e32 v72, v72, v31, vcc_lo
	v_cmp_eq_u32_e32 vcc_lo, 14, v66
	s_delay_alu instid0(VALU_DEP_2) | instskip(SKIP_2) | instid1(VALU_DEP_3)
	v_cndmask_b32_e32 v72, v72, v32, vcc_lo
	v_cmp_eq_u32_e32 vcc_lo, 15, v66
	v_add_nc_u64_e32 v[66:67], 1, v[66:67]
	v_cndmask_b32_e32 v72, v72, v33, vcc_lo
	v_cmp_eq_u32_e32 vcc_lo, 0, v68
	s_wait_dscnt 0x0
	s_delay_alu instid0(VALU_DEP_2) | instskip(SKIP_1) | instid1(SALU_CYCLE_1)
	v_fmac_f32_e32 v69, v72, v73
	s_or_b32 s2, vcc_lo, s2
	s_and_not1_b32 exec_lo, exec_lo, s2
	s_cbranch_execnz .LBB15_205
; %bb.206:
	s_or_b32 exec_lo, exec_lo, s2
.LBB15_207:
	s_delay_alu instid0(SALU_CYCLE_1)
	s_or_b32 exec_lo, exec_lo, s0
.LBB15_208:
	s_delay_alu instid0(SALU_CYCLE_1)
	s_or_b32 exec_lo, exec_lo, s5
	v_mov_b32_e32 v19, 0
	ds_load_b32 v19, v19 offset:4
	s_wait_dscnt 0x0
	v_mul_f32_e32 v19, v69, v19
.LBB15_209:
	s_or_b32 exec_lo, exec_lo, s4
	s_mov_b32 s2, 0
	s_mov_b32 s3, exec_lo
	ds_store_b32 v70, v18
	s_wait_dscnt 0x0
	s_barrier_signal -1
	s_barrier_wait -1
	v_cmpx_ne_u32_e32 0, v0
	s_cbranch_execz .LBB15_225
; %bb.210:
	s_and_not1_b32 vcc_lo, exec_lo, s20
	s_cbranch_vccnz .LBB15_212
; %bb.211:
	v_cmp_eq_u32_e32 vcc_lo, 1, v0
	ds_load_b32 v67, v70
	v_cndmask_b32_e32 v66, v18, v19, vcc_lo
	v_cmp_eq_u32_e32 vcc_lo, 2, v0
	s_delay_alu instid0(VALU_DEP_2) | instskip(SKIP_1) | instid1(VALU_DEP_2)
	v_cndmask_b32_e32 v66, v66, v20, vcc_lo
	v_cmp_eq_u32_e32 vcc_lo, 3, v0
	v_cndmask_b32_e32 v66, v66, v21, vcc_lo
	v_cmp_eq_u32_e32 vcc_lo, 4, v0
	s_delay_alu instid0(VALU_DEP_2) | instskip(SKIP_1) | instid1(VALU_DEP_2)
	v_cndmask_b32_e32 v66, v66, v22, vcc_lo
	v_cmp_eq_u32_e32 vcc_lo, 5, v0
	;; [unrolled: 5-line block ×7, first 2 shown]
	v_cndmask_b32_e32 v66, v66, v33, vcc_lo
	s_wait_dscnt 0x0
	s_delay_alu instid0(VALU_DEP_1)
	v_mul_f32_e32 v69, v66, v67
	s_cbranch_execz .LBB15_213
	s_branch .LBB15_214
.LBB15_212:
                                        ; implicit-def: $vgpr69
.LBB15_213:
	ds_load_b32 v69, v70
.LBB15_214:
	s_and_saveexec_b32 s4, s1
	s_cbranch_execz .LBB15_224
; %bb.215:
	v_dual_add_nc_u32 v66, -2, v0 :: v_dual_add_nc_u32 v67, -1, v0
	s_delay_alu instid0(VALU_DEP_1)
	v_cmp_lt_u32_e32 vcc_lo, 6, v66
	v_mov_b32_e32 v66, 1
	s_and_saveexec_b32 s5, vcc_lo
	s_cbranch_execz .LBB15_219
; %bb.216:
	v_and_b32_e32 v66, -8, v67
	s_mov_b32 s6, 0
	s_mov_b64 s[0:1], 8
	s_movk_i32 s7, 0x44
	s_delay_alu instid0(VALU_DEP_1)
	v_sub_nc_u32_e32 v68, 0, v66
.LBB15_217:                             ; =>This Inner Loop Header: Depth=1
	s_add_co_i32 m0, s0, -7
	v_movrels_b32_e32 v66, v18
	v_mov_b32_e32 v71, s7
	s_add_co_i32 m0, s0, -6
	s_add_co_i32 s7, s7, 32
	ds_load_2addr_b32 v[72:73], v71 offset1:1
	s_wait_dscnt 0x0
	v_fmac_f32_e32 v69, v66, v72
	v_movrels_b32_e32 v66, v18
	s_add_co_i32 m0, s0, -5
	s_delay_alu instid0(VALU_DEP_1) | instskip(SKIP_4) | instid1(VALU_DEP_1)
	v_fmac_f32_e32 v69, v66, v73
	ds_load_2addr_b32 v[72:73], v71 offset0:2 offset1:3
	v_movrels_b32_e32 v66, v18
	s_add_co_i32 m0, s0, -4
	s_wait_dscnt 0x0
	v_fmac_f32_e32 v69, v66, v72
	v_movrels_b32_e32 v66, v18
	s_add_co_i32 m0, s0, -3
	s_delay_alu instid0(VALU_DEP_1) | instskip(SKIP_4) | instid1(VALU_DEP_1)
	v_fmac_f32_e32 v69, v66, v73
	ds_load_2addr_b32 v[72:73], v71 offset0:4 offset1:5
	v_movrels_b32_e32 v66, v18
	s_add_co_i32 m0, s0, -2
	s_wait_dscnt 0x0
	v_fmac_f32_e32 v69, v66, v72
	v_movrels_b32_e32 v66, v18
	s_add_co_i32 m0, s0, -1
	s_delay_alu instid0(VALU_DEP_1) | instskip(SKIP_4) | instid1(SALU_CYCLE_1)
	v_fmac_f32_e32 v69, v66, v73
	ds_load_2addr_b32 v[72:73], v71 offset0:6 offset1:7
	v_movrels_b32_e32 v66, v18
	s_mov_b32 m0, s0
	s_add_nc_u64 s[0:1], s[0:1], 8
	s_add_co_i32 s8, s0, -7
	s_wait_dscnt 0x0
	v_fmac_f32_e32 v69, v66, v72
	v_movrels_b32_e32 v66, v18
	s_delay_alu instid0(VALU_DEP_1) | instskip(NEXT) | instid1(VALU_DEP_1)
	v_dual_fmac_f32 v69, v66, v73 :: v_dual_add_nc_u32 v66, s0, v68
	v_cmp_eq_u32_e32 vcc_lo, 8, v66
	v_mov_b32_e32 v66, s8
	s_or_b32 s6, vcc_lo, s6
	s_delay_alu instid0(SALU_CYCLE_1)
	s_and_not1_b32 exec_lo, exec_lo, s6
	s_cbranch_execnz .LBB15_217
; %bb.218:
	s_or_b32 exec_lo, exec_lo, s6
.LBB15_219:
	s_delay_alu instid0(SALU_CYCLE_1) | instskip(SKIP_3) | instid1(VALU_DEP_1)
	s_or_b32 exec_lo, exec_lo, s5
	v_and_b32_e32 v68, 7, v67
	s_mov_b32 s1, 0
	s_mov_b32 s0, exec_lo
	v_cmpx_ne_u32_e32 0, v68
	s_cbranch_execz .LBB15_223
; %bb.220:
	v_lshl_add_u32 v71, v66, 2, 64
	v_mov_b32_e32 v67, 0
.LBB15_221:                             ; =>This Inner Loop Header: Depth=1
	v_cmp_eq_u32_e32 vcc_lo, 1, v66
	ds_load_b32 v73, v71
	v_dual_add_nc_u32 v68, -1, v68 :: v_dual_add_nc_u32 v71, 4, v71
	v_cndmask_b32_e32 v72, v18, v19, vcc_lo
	v_cmp_eq_u32_e32 vcc_lo, 2, v66
	s_delay_alu instid0(VALU_DEP_2) | instskip(SKIP_1) | instid1(VALU_DEP_2)
	v_cndmask_b32_e32 v72, v72, v20, vcc_lo
	v_cmp_eq_u32_e32 vcc_lo, 3, v66
	v_cndmask_b32_e32 v72, v72, v21, vcc_lo
	v_cmp_eq_u32_e32 vcc_lo, 4, v66
	s_delay_alu instid0(VALU_DEP_2) | instskip(SKIP_1) | instid1(VALU_DEP_2)
	v_cndmask_b32_e32 v72, v72, v22, vcc_lo
	v_cmp_eq_u32_e32 vcc_lo, 5, v66
	v_cndmask_b32_e32 v72, v72, v23, vcc_lo
	v_cmp_eq_u32_e32 vcc_lo, 6, v66
	s_delay_alu instid0(VALU_DEP_2) | instskip(SKIP_1) | instid1(VALU_DEP_2)
	v_cndmask_b32_e32 v72, v72, v24, vcc_lo
	v_cmp_eq_u32_e32 vcc_lo, 7, v66
	v_cndmask_b32_e32 v72, v72, v25, vcc_lo
	v_cmp_eq_u32_e32 vcc_lo, 8, v66
	s_delay_alu instid0(VALU_DEP_2) | instskip(SKIP_1) | instid1(VALU_DEP_2)
	v_cndmask_b32_e32 v72, v72, v26, vcc_lo
	v_cmp_eq_u32_e32 vcc_lo, 9, v66
	v_cndmask_b32_e32 v72, v72, v27, vcc_lo
	v_cmp_eq_u32_e32 vcc_lo, 10, v66
	s_delay_alu instid0(VALU_DEP_2) | instskip(SKIP_1) | instid1(VALU_DEP_2)
	v_cndmask_b32_e32 v72, v72, v28, vcc_lo
	v_cmp_eq_u32_e32 vcc_lo, 11, v66
	v_cndmask_b32_e32 v72, v72, v29, vcc_lo
	v_cmp_eq_u32_e32 vcc_lo, 12, v66
	s_delay_alu instid0(VALU_DEP_2) | instskip(SKIP_1) | instid1(VALU_DEP_2)
	v_cndmask_b32_e32 v72, v72, v30, vcc_lo
	v_cmp_eq_u32_e32 vcc_lo, 13, v66
	v_cndmask_b32_e32 v72, v72, v31, vcc_lo
	v_cmp_eq_u32_e32 vcc_lo, 14, v66
	s_delay_alu instid0(VALU_DEP_2) | instskip(SKIP_2) | instid1(VALU_DEP_3)
	v_cndmask_b32_e32 v72, v72, v32, vcc_lo
	v_cmp_eq_u32_e32 vcc_lo, 15, v66
	v_add_nc_u64_e32 v[66:67], 1, v[66:67]
	v_cndmask_b32_e32 v72, v72, v33, vcc_lo
	v_cmp_eq_u32_e32 vcc_lo, 0, v68
	s_wait_dscnt 0x0
	s_delay_alu instid0(VALU_DEP_2) | instskip(SKIP_1) | instid1(SALU_CYCLE_1)
	v_fmac_f32_e32 v69, v72, v73
	s_or_b32 s1, vcc_lo, s1
	s_and_not1_b32 exec_lo, exec_lo, s1
	s_cbranch_execnz .LBB15_221
; %bb.222:
	s_or_b32 exec_lo, exec_lo, s1
.LBB15_223:
	s_delay_alu instid0(SALU_CYCLE_1)
	s_or_b32 exec_lo, exec_lo, s0
.LBB15_224:
	s_delay_alu instid0(SALU_CYCLE_1)
	s_or_b32 exec_lo, exec_lo, s4
	v_mov_b32_e32 v18, 0
	ds_load_b32 v18, v18
	s_wait_dscnt 0x0
	v_mul_f32_e32 v18, v69, v18
.LBB15_225:
	s_or_b32 exec_lo, exec_lo, s3
	s_delay_alu instid0(SALU_CYCLE_1)
	s_and_b32 vcc_lo, exec_lo, s2
	s_cbranch_vccz .LBB15_379
.LBB15_226:
	v_cmp_eq_u32_e64 s0, 0, v0
	s_wait_loadcnt 0xf
	ds_store_b32 v70, v3
	s_wait_loadcnt_dscnt 0x0
	s_barrier_signal -1
	s_barrier_wait -1
	s_and_saveexec_b32 s1, s0
	s_cbranch_execz .LBB15_232
; %bb.227:
	s_and_b32 vcc_lo, exec_lo, s20
	s_cbranch_vccz .LBB15_229
; %bb.228:
	v_cmp_eq_u32_e32 vcc_lo, 1, v0
	ds_load_b32 v18, v70
	v_cndmask_b32_e32 v3, v2, v3, vcc_lo
	v_cmp_eq_u32_e32 vcc_lo, 2, v0
	s_delay_alu instid0(VALU_DEP_2) | instskip(SKIP_1) | instid1(VALU_DEP_2)
	v_cndmask_b32_e32 v3, v3, v4, vcc_lo
	v_cmp_eq_u32_e32 vcc_lo, 3, v0
	v_cndmask_b32_e32 v3, v3, v5, vcc_lo
	v_cmp_eq_u32_e32 vcc_lo, 4, v0
	s_delay_alu instid0(VALU_DEP_2) | instskip(SKIP_1) | instid1(VALU_DEP_2)
	v_cndmask_b32_e32 v3, v3, v6, vcc_lo
	v_cmp_eq_u32_e32 vcc_lo, 5, v0
	;; [unrolled: 5-line block ×7, first 2 shown]
	v_cndmask_b32_e32 v3, v3, v17, vcc_lo
	s_wait_dscnt 0x0
	s_delay_alu instid0(VALU_DEP_1)
	v_mul_f32_e32 v3, v3, v18
	s_cbranch_execz .LBB15_230
	s_branch .LBB15_231
.LBB15_229:
                                        ; implicit-def: $vgpr3
.LBB15_230:
	ds_load_b32 v3, v70
.LBB15_231:
	v_mov_b32_e32 v18, 0
	ds_load_b32 v18, v18 offset:4
	s_wait_dscnt 0x0
	v_mul_f32_e32 v3, v3, v18
.LBB15_232:
	s_or_b32 exec_lo, exec_lo, s1
	v_cndmask_b32_e64 v20, 0, 1, s20
	s_mov_b32 s1, exec_lo
	ds_store_b32 v70, v4
	s_wait_dscnt 0x0
	s_barrier_signal -1
	s_barrier_wait -1
	v_cmpx_gt_u32_e32 2, v0
	s_cbranch_execz .LBB15_238
; %bb.233:
	s_and_not1_b32 vcc_lo, exec_lo, s20
	s_cbranch_vccnz .LBB15_235
; %bb.234:
	v_cmp_eq_u32_e32 vcc_lo, 1, v0
	v_cndmask_b32_e32 v18, v2, v3, vcc_lo
	v_cmp_eq_u32_e32 vcc_lo, 2, v0
	s_delay_alu instid0(VALU_DEP_2) | instskip(SKIP_4) | instid1(VALU_DEP_2)
	v_cndmask_b32_e32 v4, v18, v4, vcc_lo
	v_cmp_eq_u32_e32 vcc_lo, 3, v0
	ds_load_b32 v18, v70
	v_cndmask_b32_e32 v4, v4, v5, vcc_lo
	v_cmp_eq_u32_e32 vcc_lo, 4, v0
	v_cndmask_b32_e32 v4, v4, v6, vcc_lo
	v_cmp_eq_u32_e32 vcc_lo, 5, v0
	s_delay_alu instid0(VALU_DEP_2) | instskip(SKIP_1) | instid1(VALU_DEP_2)
	v_cndmask_b32_e32 v4, v4, v7, vcc_lo
	v_cmp_eq_u32_e32 vcc_lo, 6, v0
	v_cndmask_b32_e32 v4, v4, v8, vcc_lo
	v_cmp_eq_u32_e32 vcc_lo, 7, v0
	s_delay_alu instid0(VALU_DEP_2) | instskip(SKIP_1) | instid1(VALU_DEP_2)
	;; [unrolled: 5-line block ×5, first 2 shown]
	v_cndmask_b32_e32 v4, v4, v15, vcc_lo
	v_cmp_eq_u32_e32 vcc_lo, 14, v0
	v_cndmask_b32_e32 v4, v4, v16, vcc_lo
	v_cmp_eq_u32_e32 vcc_lo, 15, v0
	s_delay_alu instid0(VALU_DEP_2) | instskip(SKIP_1) | instid1(VALU_DEP_1)
	v_cndmask_b32_e32 v4, v4, v17, vcc_lo
	s_wait_dscnt 0x0
	v_mul_f32_e32 v4, v4, v18
	s_cbranch_execz .LBB15_236
	s_branch .LBB15_237
.LBB15_235:
                                        ; implicit-def: $vgpr4
.LBB15_236:
	ds_load_b32 v4, v70
.LBB15_237:
	v_mov_b32_e32 v18, 0
	ds_load_2addr_b32 v[18:19], v18 offset0:2 offset1:17
	s_wait_dscnt 0x0
	v_fma_f32 v19, v3, v19, v4
	s_delay_alu instid0(VALU_DEP_1) | instskip(NEXT) | instid1(VALU_DEP_1)
	v_cndmask_b32_e64 v4, v4, v19, s0
	v_mul_f32_e32 v4, v4, v18
.LBB15_238:
	s_or_b32 exec_lo, exec_lo, s1
	v_add_nc_u32_e32 v21, 1, v0
	v_cmp_gt_u32_e64 s1, 3, v0
	ds_store_b32 v70, v5
	s_wait_dscnt 0x0
	s_barrier_signal -1
	s_barrier_wait -1
	s_and_saveexec_b32 s2, s1
	s_cbranch_execz .LBB15_246
; %bb.239:
	v_cmp_ne_u32_e32 vcc_lo, 1, v20
	s_cbranch_vccnz .LBB15_241
; %bb.240:
	v_cmp_eq_u32_e32 vcc_lo, 1, v0
	ds_load_b32 v19, v70
	v_cndmask_b32_e32 v18, v2, v3, vcc_lo
	v_cmp_eq_u32_e32 vcc_lo, 2, v0
	s_delay_alu instid0(VALU_DEP_2) | instskip(SKIP_1) | instid1(VALU_DEP_2)
	v_cndmask_b32_e32 v18, v18, v4, vcc_lo
	v_cmp_eq_u32_e32 vcc_lo, 3, v0
	v_cndmask_b32_e32 v18, v18, v5, vcc_lo
	v_cmp_eq_u32_e32 vcc_lo, 4, v0
	s_delay_alu instid0(VALU_DEP_2) | instskip(SKIP_1) | instid1(VALU_DEP_2)
	v_cndmask_b32_e32 v18, v18, v6, vcc_lo
	v_cmp_eq_u32_e32 vcc_lo, 5, v0
	;; [unrolled: 5-line block ×7, first 2 shown]
	v_cndmask_b32_e32 v18, v18, v17, vcc_lo
	s_wait_dscnt 0x0
	s_delay_alu instid0(VALU_DEP_1)
	v_mul_f32_e32 v18, v18, v19
	s_cbranch_execz .LBB15_242
	s_branch .LBB15_243
.LBB15_241:
                                        ; implicit-def: $vgpr18
.LBB15_242:
	ds_load_b32 v18, v70
.LBB15_243:
	s_mov_b32 s3, exec_lo
	v_cmpx_ne_u32_e32 2, v0
	s_cbranch_execz .LBB15_245
; %bb.244:
	v_cmp_eq_u32_e32 vcc_lo, 1, v21
	v_dual_mov_b32 v22, 0 :: v_dual_cndmask_b32 v19, v2, v3
	v_cmp_eq_u32_e32 vcc_lo, 2, v21
	ds_load_b32 v22, v22 offset:72
	v_cndmask_b32_e32 v19, v19, v4, vcc_lo
	v_cmp_eq_u32_e32 vcc_lo, 3, v21
	s_delay_alu instid0(VALU_DEP_2) | instskip(SKIP_4) | instid1(VALU_DEP_2)
	v_cndmask_b32_e32 v5, v19, v5, vcc_lo
	v_cmp_eq_u32_e32 vcc_lo, 4, v21
	ds_load_b32 v19, v70 offset:4
	v_cndmask_b32_e32 v5, v5, v6, vcc_lo
	v_cmp_eq_u32_e32 vcc_lo, 5, v21
	v_cndmask_b32_e32 v5, v5, v7, vcc_lo
	v_cmp_eq_u32_e32 vcc_lo, 6, v21
	s_delay_alu instid0(VALU_DEP_2) | instskip(SKIP_1) | instid1(VALU_DEP_2)
	v_cndmask_b32_e32 v5, v5, v8, vcc_lo
	v_cmp_eq_u32_e32 vcc_lo, 7, v21
	v_cndmask_b32_e32 v5, v5, v9, vcc_lo
	v_cmp_eq_u32_e32 vcc_lo, 8, v21
	s_delay_alu instid0(VALU_DEP_2) | instskip(SKIP_1) | instid1(VALU_DEP_2)
	;; [unrolled: 5-line block ×5, first 2 shown]
	v_cndmask_b32_e32 v5, v5, v16, vcc_lo
	v_cmp_eq_u32_e32 vcc_lo, 15, v21
	v_cndmask_b32_e32 v5, v5, v17, vcc_lo
	s_wait_dscnt 0x0
	s_delay_alu instid0(VALU_DEP_1) | instskip(NEXT) | instid1(VALU_DEP_1)
	v_fmac_f32_e32 v18, v5, v19
	v_fma_f32 v5, v4, v22, v18
	s_delay_alu instid0(VALU_DEP_1)
	v_cndmask_b32_e64 v18, v18, v5, s0
.LBB15_245:
	s_or_b32 exec_lo, exec_lo, s3
	v_mov_b32_e32 v5, 0
	ds_load_b32 v5, v5 offset:12
	s_wait_dscnt 0x0
	v_mul_f32_e32 v5, v18, v5
.LBB15_246:
	s_or_b32 exec_lo, exec_lo, s2
	s_delay_alu instid0(SALU_CYCLE_1)
	s_mov_b32 s2, exec_lo
	ds_store_b32 v70, v6
	s_wait_dscnt 0x0
	s_barrier_signal -1
	s_barrier_wait -1
	v_cmpx_gt_u32_e32 4, v0
	s_cbranch_execz .LBB15_256
; %bb.247:
	v_cmp_ne_u32_e32 vcc_lo, 1, v20
	s_cbranch_vccnz .LBB15_249
; %bb.248:
	v_cmp_eq_u32_e32 vcc_lo, 1, v0
	ds_load_b32 v19, v70
	v_cndmask_b32_e32 v18, v2, v3, vcc_lo
	v_cmp_eq_u32_e32 vcc_lo, 2, v0
	s_delay_alu instid0(VALU_DEP_2) | instskip(SKIP_1) | instid1(VALU_DEP_2)
	v_cndmask_b32_e32 v18, v18, v4, vcc_lo
	v_cmp_eq_u32_e32 vcc_lo, 3, v0
	v_cndmask_b32_e32 v18, v18, v5, vcc_lo
	v_cmp_eq_u32_e32 vcc_lo, 4, v0
	s_delay_alu instid0(VALU_DEP_2) | instskip(SKIP_1) | instid1(VALU_DEP_2)
	v_cndmask_b32_e32 v18, v18, v6, vcc_lo
	v_cmp_eq_u32_e32 vcc_lo, 5, v0
	;; [unrolled: 5-line block ×7, first 2 shown]
	v_cndmask_b32_e32 v18, v18, v17, vcc_lo
	s_wait_dscnt 0x0
	s_delay_alu instid0(VALU_DEP_1)
	v_mul_f32_e32 v22, v18, v19
	s_cbranch_execz .LBB15_250
	s_branch .LBB15_251
.LBB15_249:
                                        ; implicit-def: $vgpr22
.LBB15_250:
	ds_load_b32 v22, v70
.LBB15_251:
	s_mov_b32 s3, exec_lo
	v_cmpx_ne_u32_e32 3, v0
	s_cbranch_execz .LBB15_255
; %bb.252:
	v_mov_b64_e32 v[18:19], v[0:1]
	v_lshl_add_u32 v23, v0, 2, 0x44
	s_mov_b32 s4, 0
.LBB15_253:                             ; =>This Inner Loop Header: Depth=1
	s_delay_alu instid0(VALU_DEP_2)
	v_add_nc_u64_e32 v[18:19], 1, v[18:19]
	ds_load_b32 v25, v23
	v_add_nc_u32_e32 v23, 4, v23
	v_cmp_eq_u32_e32 vcc_lo, 1, v18
	v_cndmask_b32_e32 v24, v2, v3, vcc_lo
	v_cmp_eq_u32_e32 vcc_lo, 2, v18
	s_delay_alu instid0(VALU_DEP_2) | instskip(SKIP_1) | instid1(VALU_DEP_2)
	v_cndmask_b32_e32 v24, v24, v4, vcc_lo
	v_cmp_eq_u32_e32 vcc_lo, 3, v18
	v_cndmask_b32_e32 v24, v24, v5, vcc_lo
	v_cmp_eq_u32_e32 vcc_lo, 4, v18
	s_delay_alu instid0(VALU_DEP_2) | instskip(SKIP_1) | instid1(VALU_DEP_2)
	v_cndmask_b32_e32 v24, v24, v6, vcc_lo
	;; [unrolled: 5-line block ×7, first 2 shown]
	v_cmp_eq_u32_e32 vcc_lo, 15, v18
	v_cndmask_b32_e32 v24, v24, v17, vcc_lo
	v_cmp_lt_u32_e32 vcc_lo, 2, v18
	s_wait_dscnt 0x0
	s_delay_alu instid0(VALU_DEP_2) | instskip(SKIP_1) | instid1(SALU_CYCLE_1)
	v_fmac_f32_e32 v22, v24, v25
	s_or_b32 s4, vcc_lo, s4
	s_and_not1_b32 exec_lo, exec_lo, s4
	s_cbranch_execnz .LBB15_253
; %bb.254:
	s_or_b32 exec_lo, exec_lo, s4
.LBB15_255:
	s_delay_alu instid0(SALU_CYCLE_1)
	s_or_b32 exec_lo, exec_lo, s3
	v_mov_b32_e32 v6, 0
	ds_load_b32 v6, v6 offset:16
	s_wait_dscnt 0x0
	v_mul_f32_e32 v6, v22, v6
.LBB15_256:
	s_or_b32 exec_lo, exec_lo, s2
	v_cmp_gt_u32_e64 s2, 5, v0
	ds_store_b32 v70, v7
	s_wait_dscnt 0x0
	s_barrier_signal -1
	s_barrier_wait -1
	s_and_saveexec_b32 s3, s2
	s_cbranch_execz .LBB15_266
; %bb.257:
	v_cmp_ne_u32_e32 vcc_lo, 1, v20
	s_cbranch_vccnz .LBB15_259
; %bb.258:
	v_cmp_eq_u32_e32 vcc_lo, 1, v0
	ds_load_b32 v19, v70
	v_cndmask_b32_e32 v18, v2, v3, vcc_lo
	v_cmp_eq_u32_e32 vcc_lo, 2, v0
	s_delay_alu instid0(VALU_DEP_2) | instskip(SKIP_1) | instid1(VALU_DEP_2)
	v_cndmask_b32_e32 v18, v18, v4, vcc_lo
	v_cmp_eq_u32_e32 vcc_lo, 3, v0
	v_cndmask_b32_e32 v18, v18, v5, vcc_lo
	v_cmp_eq_u32_e32 vcc_lo, 4, v0
	s_delay_alu instid0(VALU_DEP_2) | instskip(SKIP_1) | instid1(VALU_DEP_2)
	v_cndmask_b32_e32 v18, v18, v6, vcc_lo
	v_cmp_eq_u32_e32 vcc_lo, 5, v0
	;; [unrolled: 5-line block ×7, first 2 shown]
	v_cndmask_b32_e32 v18, v18, v17, vcc_lo
	s_wait_dscnt 0x0
	s_delay_alu instid0(VALU_DEP_1)
	v_mul_f32_e32 v22, v18, v19
	s_cbranch_execz .LBB15_260
	s_branch .LBB15_261
.LBB15_259:
                                        ; implicit-def: $vgpr22
.LBB15_260:
	ds_load_b32 v22, v70
.LBB15_261:
	s_mov_b32 s4, exec_lo
	v_cmpx_ne_u32_e32 4, v0
	s_cbranch_execz .LBB15_265
; %bb.262:
	v_mov_b64_e32 v[18:19], v[0:1]
	v_lshl_add_u32 v23, v0, 2, 0x44
	s_mov_b32 s5, 0
.LBB15_263:                             ; =>This Inner Loop Header: Depth=1
	s_delay_alu instid0(VALU_DEP_2)
	v_add_nc_u64_e32 v[18:19], 1, v[18:19]
	ds_load_b32 v25, v23
	v_add_nc_u32_e32 v23, 4, v23
	v_cmp_eq_u32_e32 vcc_lo, 1, v18
	v_cndmask_b32_e32 v24, v2, v3, vcc_lo
	v_cmp_eq_u32_e32 vcc_lo, 2, v18
	s_delay_alu instid0(VALU_DEP_2) | instskip(SKIP_1) | instid1(VALU_DEP_2)
	v_cndmask_b32_e32 v24, v24, v4, vcc_lo
	v_cmp_eq_u32_e32 vcc_lo, 3, v18
	v_cndmask_b32_e32 v24, v24, v5, vcc_lo
	v_cmp_eq_u32_e32 vcc_lo, 4, v18
	s_delay_alu instid0(VALU_DEP_2) | instskip(SKIP_1) | instid1(VALU_DEP_2)
	v_cndmask_b32_e32 v24, v24, v6, vcc_lo
	;; [unrolled: 5-line block ×7, first 2 shown]
	v_cmp_eq_u32_e32 vcc_lo, 15, v18
	v_cndmask_b32_e32 v24, v24, v17, vcc_lo
	v_cmp_lt_u32_e32 vcc_lo, 3, v18
	s_wait_dscnt 0x0
	s_delay_alu instid0(VALU_DEP_2) | instskip(SKIP_1) | instid1(SALU_CYCLE_1)
	v_fmac_f32_e32 v22, v24, v25
	s_or_b32 s5, vcc_lo, s5
	s_and_not1_b32 exec_lo, exec_lo, s5
	s_cbranch_execnz .LBB15_263
; %bb.264:
	s_or_b32 exec_lo, exec_lo, s5
.LBB15_265:
	s_delay_alu instid0(SALU_CYCLE_1)
	s_or_b32 exec_lo, exec_lo, s4
	v_mov_b32_e32 v7, 0
	ds_load_b32 v7, v7 offset:20
	s_wait_dscnt 0x0
	v_mul_f32_e32 v7, v22, v7
.LBB15_266:
	s_or_b32 exec_lo, exec_lo, s3
	s_delay_alu instid0(SALU_CYCLE_1)
	s_mov_b32 s3, exec_lo
	ds_store_b32 v70, v8
	s_wait_dscnt 0x0
	s_barrier_signal -1
	s_barrier_wait -1
	v_cmpx_gt_u32_e32 6, v0
	s_cbranch_execz .LBB15_276
; %bb.267:
	v_cmp_ne_u32_e32 vcc_lo, 1, v20
	s_cbranch_vccnz .LBB15_269
; %bb.268:
	v_cmp_eq_u32_e32 vcc_lo, 1, v0
	ds_load_b32 v19, v70
	v_cndmask_b32_e32 v18, v2, v3, vcc_lo
	v_cmp_eq_u32_e32 vcc_lo, 2, v0
	s_delay_alu instid0(VALU_DEP_2) | instskip(SKIP_1) | instid1(VALU_DEP_2)
	v_cndmask_b32_e32 v18, v18, v4, vcc_lo
	v_cmp_eq_u32_e32 vcc_lo, 3, v0
	v_cndmask_b32_e32 v18, v18, v5, vcc_lo
	v_cmp_eq_u32_e32 vcc_lo, 4, v0
	s_delay_alu instid0(VALU_DEP_2) | instskip(SKIP_1) | instid1(VALU_DEP_2)
	v_cndmask_b32_e32 v18, v18, v6, vcc_lo
	v_cmp_eq_u32_e32 vcc_lo, 5, v0
	;; [unrolled: 5-line block ×7, first 2 shown]
	v_cndmask_b32_e32 v18, v18, v17, vcc_lo
	s_wait_dscnt 0x0
	s_delay_alu instid0(VALU_DEP_1)
	v_mul_f32_e32 v22, v18, v19
	s_cbranch_execz .LBB15_270
	s_branch .LBB15_271
.LBB15_269:
                                        ; implicit-def: $vgpr22
.LBB15_270:
	ds_load_b32 v22, v70
.LBB15_271:
	s_mov_b32 s4, exec_lo
	v_cmpx_ne_u32_e32 5, v0
	s_cbranch_execz .LBB15_275
; %bb.272:
	v_mov_b64_e32 v[18:19], v[0:1]
	v_lshl_add_u32 v23, v0, 2, 0x44
	s_mov_b32 s5, 0
.LBB15_273:                             ; =>This Inner Loop Header: Depth=1
	s_delay_alu instid0(VALU_DEP_2)
	v_add_nc_u64_e32 v[18:19], 1, v[18:19]
	ds_load_b32 v25, v23
	v_add_nc_u32_e32 v23, 4, v23
	v_cmp_eq_u32_e32 vcc_lo, 1, v18
	v_cndmask_b32_e32 v24, v2, v3, vcc_lo
	v_cmp_eq_u32_e32 vcc_lo, 2, v18
	s_delay_alu instid0(VALU_DEP_2) | instskip(SKIP_1) | instid1(VALU_DEP_2)
	v_cndmask_b32_e32 v24, v24, v4, vcc_lo
	v_cmp_eq_u32_e32 vcc_lo, 3, v18
	v_cndmask_b32_e32 v24, v24, v5, vcc_lo
	v_cmp_eq_u32_e32 vcc_lo, 4, v18
	s_delay_alu instid0(VALU_DEP_2) | instskip(SKIP_1) | instid1(VALU_DEP_2)
	v_cndmask_b32_e32 v24, v24, v6, vcc_lo
	;; [unrolled: 5-line block ×7, first 2 shown]
	v_cmp_eq_u32_e32 vcc_lo, 15, v18
	v_cndmask_b32_e32 v24, v24, v17, vcc_lo
	v_cmp_lt_u32_e32 vcc_lo, 4, v18
	s_wait_dscnt 0x0
	s_delay_alu instid0(VALU_DEP_2) | instskip(SKIP_1) | instid1(SALU_CYCLE_1)
	v_fmac_f32_e32 v22, v24, v25
	s_or_b32 s5, vcc_lo, s5
	s_and_not1_b32 exec_lo, exec_lo, s5
	s_cbranch_execnz .LBB15_273
; %bb.274:
	s_or_b32 exec_lo, exec_lo, s5
.LBB15_275:
	s_delay_alu instid0(SALU_CYCLE_1)
	s_or_b32 exec_lo, exec_lo, s4
	v_mov_b32_e32 v8, 0
	ds_load_b32 v8, v8 offset:24
	s_wait_dscnt 0x0
	v_mul_f32_e32 v8, v22, v8
.LBB15_276:
	s_or_b32 exec_lo, exec_lo, s3
	v_cmp_gt_u32_e64 s3, 7, v0
	ds_store_b32 v70, v9
	s_wait_dscnt 0x0
	s_barrier_signal -1
	s_barrier_wait -1
	s_and_saveexec_b32 s4, s3
	s_cbranch_execz .LBB15_286
; %bb.277:
	v_cmp_ne_u32_e32 vcc_lo, 1, v20
	s_cbranch_vccnz .LBB15_279
; %bb.278:
	v_cmp_eq_u32_e32 vcc_lo, 1, v0
	ds_load_b32 v19, v70
	v_cndmask_b32_e32 v18, v2, v3, vcc_lo
	v_cmp_eq_u32_e32 vcc_lo, 2, v0
	s_delay_alu instid0(VALU_DEP_2) | instskip(SKIP_1) | instid1(VALU_DEP_2)
	v_cndmask_b32_e32 v18, v18, v4, vcc_lo
	v_cmp_eq_u32_e32 vcc_lo, 3, v0
	v_cndmask_b32_e32 v18, v18, v5, vcc_lo
	v_cmp_eq_u32_e32 vcc_lo, 4, v0
	s_delay_alu instid0(VALU_DEP_2) | instskip(SKIP_1) | instid1(VALU_DEP_2)
	v_cndmask_b32_e32 v18, v18, v6, vcc_lo
	v_cmp_eq_u32_e32 vcc_lo, 5, v0
	;; [unrolled: 5-line block ×7, first 2 shown]
	v_cndmask_b32_e32 v18, v18, v17, vcc_lo
	s_wait_dscnt 0x0
	s_delay_alu instid0(VALU_DEP_1)
	v_mul_f32_e32 v22, v18, v19
	s_cbranch_execz .LBB15_280
	s_branch .LBB15_281
.LBB15_279:
                                        ; implicit-def: $vgpr22
.LBB15_280:
	ds_load_b32 v22, v70
.LBB15_281:
	s_mov_b32 s5, exec_lo
	v_cmpx_ne_u32_e32 6, v0
	s_cbranch_execz .LBB15_285
; %bb.282:
	v_mov_b64_e32 v[18:19], v[0:1]
	v_lshl_add_u32 v23, v0, 2, 0x44
	s_mov_b32 s6, 0
.LBB15_283:                             ; =>This Inner Loop Header: Depth=1
	s_delay_alu instid0(VALU_DEP_2)
	v_add_nc_u64_e32 v[18:19], 1, v[18:19]
	ds_load_b32 v25, v23
	v_add_nc_u32_e32 v23, 4, v23
	v_cmp_eq_u32_e32 vcc_lo, 1, v18
	v_cndmask_b32_e32 v24, v2, v3, vcc_lo
	v_cmp_eq_u32_e32 vcc_lo, 2, v18
	s_delay_alu instid0(VALU_DEP_2) | instskip(SKIP_1) | instid1(VALU_DEP_2)
	v_cndmask_b32_e32 v24, v24, v4, vcc_lo
	v_cmp_eq_u32_e32 vcc_lo, 3, v18
	v_cndmask_b32_e32 v24, v24, v5, vcc_lo
	v_cmp_eq_u32_e32 vcc_lo, 4, v18
	s_delay_alu instid0(VALU_DEP_2) | instskip(SKIP_1) | instid1(VALU_DEP_2)
	v_cndmask_b32_e32 v24, v24, v6, vcc_lo
	;; [unrolled: 5-line block ×7, first 2 shown]
	v_cmp_eq_u32_e32 vcc_lo, 15, v18
	v_cndmask_b32_e32 v24, v24, v17, vcc_lo
	v_cmp_lt_u32_e32 vcc_lo, 5, v18
	s_wait_dscnt 0x0
	s_delay_alu instid0(VALU_DEP_2) | instskip(SKIP_1) | instid1(SALU_CYCLE_1)
	v_fmac_f32_e32 v22, v24, v25
	s_or_b32 s6, vcc_lo, s6
	s_and_not1_b32 exec_lo, exec_lo, s6
	s_cbranch_execnz .LBB15_283
; %bb.284:
	s_or_b32 exec_lo, exec_lo, s6
.LBB15_285:
	s_delay_alu instid0(SALU_CYCLE_1)
	s_or_b32 exec_lo, exec_lo, s5
	v_mov_b32_e32 v9, 0
	ds_load_b32 v9, v9 offset:28
	s_wait_dscnt 0x0
	v_mul_f32_e32 v9, v22, v9
.LBB15_286:
	s_or_b32 exec_lo, exec_lo, s4
	s_delay_alu instid0(SALU_CYCLE_1)
	s_mov_b32 s4, exec_lo
	ds_store_b32 v70, v10
	s_wait_dscnt 0x0
	s_barrier_signal -1
	s_barrier_wait -1
	v_cmpx_gt_u32_e32 8, v0
	s_cbranch_execz .LBB15_296
; %bb.287:
	v_cmp_ne_u32_e32 vcc_lo, 1, v20
	s_cbranch_vccnz .LBB15_289
; %bb.288:
	v_cmp_eq_u32_e32 vcc_lo, 1, v0
	ds_load_b32 v19, v70
	v_cndmask_b32_e32 v18, v2, v3, vcc_lo
	v_cmp_eq_u32_e32 vcc_lo, 2, v0
	s_delay_alu instid0(VALU_DEP_2) | instskip(SKIP_1) | instid1(VALU_DEP_2)
	v_cndmask_b32_e32 v18, v18, v4, vcc_lo
	v_cmp_eq_u32_e32 vcc_lo, 3, v0
	v_cndmask_b32_e32 v18, v18, v5, vcc_lo
	v_cmp_eq_u32_e32 vcc_lo, 4, v0
	s_delay_alu instid0(VALU_DEP_2) | instskip(SKIP_1) | instid1(VALU_DEP_2)
	v_cndmask_b32_e32 v18, v18, v6, vcc_lo
	v_cmp_eq_u32_e32 vcc_lo, 5, v0
	;; [unrolled: 5-line block ×7, first 2 shown]
	v_cndmask_b32_e32 v18, v18, v17, vcc_lo
	s_wait_dscnt 0x0
	s_delay_alu instid0(VALU_DEP_1)
	v_mul_f32_e32 v22, v18, v19
	s_cbranch_execz .LBB15_290
	s_branch .LBB15_291
.LBB15_289:
                                        ; implicit-def: $vgpr22
.LBB15_290:
	ds_load_b32 v22, v70
.LBB15_291:
	s_mov_b32 s5, exec_lo
	v_cmpx_ne_u32_e32 7, v0
	s_cbranch_execz .LBB15_295
; %bb.292:
	v_mov_b64_e32 v[18:19], v[0:1]
	v_lshl_add_u32 v23, v0, 2, 0x44
	s_mov_b32 s6, 0
.LBB15_293:                             ; =>This Inner Loop Header: Depth=1
	s_delay_alu instid0(VALU_DEP_2)
	v_add_nc_u64_e32 v[18:19], 1, v[18:19]
	ds_load_b32 v25, v23
	v_add_nc_u32_e32 v23, 4, v23
	v_cmp_eq_u32_e32 vcc_lo, 1, v18
	v_cndmask_b32_e32 v24, v2, v3, vcc_lo
	v_cmp_eq_u32_e32 vcc_lo, 2, v18
	s_delay_alu instid0(VALU_DEP_2) | instskip(SKIP_1) | instid1(VALU_DEP_2)
	v_cndmask_b32_e32 v24, v24, v4, vcc_lo
	v_cmp_eq_u32_e32 vcc_lo, 3, v18
	v_cndmask_b32_e32 v24, v24, v5, vcc_lo
	v_cmp_eq_u32_e32 vcc_lo, 4, v18
	s_delay_alu instid0(VALU_DEP_2) | instskip(SKIP_1) | instid1(VALU_DEP_2)
	v_cndmask_b32_e32 v24, v24, v6, vcc_lo
	;; [unrolled: 5-line block ×7, first 2 shown]
	v_cmp_eq_u32_e32 vcc_lo, 15, v18
	v_cndmask_b32_e32 v24, v24, v17, vcc_lo
	v_cmp_lt_u32_e32 vcc_lo, 6, v18
	s_wait_dscnt 0x0
	s_delay_alu instid0(VALU_DEP_2) | instskip(SKIP_1) | instid1(SALU_CYCLE_1)
	v_fmac_f32_e32 v22, v24, v25
	s_or_b32 s6, vcc_lo, s6
	s_and_not1_b32 exec_lo, exec_lo, s6
	s_cbranch_execnz .LBB15_293
; %bb.294:
	s_or_b32 exec_lo, exec_lo, s6
.LBB15_295:
	s_delay_alu instid0(SALU_CYCLE_1)
	s_or_b32 exec_lo, exec_lo, s5
	v_mov_b32_e32 v10, 0
	ds_load_b32 v10, v10 offset:32
	s_wait_dscnt 0x0
	v_mul_f32_e32 v10, v22, v10
.LBB15_296:
	s_or_b32 exec_lo, exec_lo, s4
	s_delay_alu instid0(SALU_CYCLE_1)
	s_mov_b32 s4, exec_lo
	ds_store_b32 v70, v11
	s_wait_dscnt 0x0
	s_barrier_signal -1
	s_barrier_wait -1
	v_cmpx_gt_u32_e32 9, v0
	s_cbranch_execz .LBB15_318
; %bb.297:
	v_cmp_ne_u32_e32 vcc_lo, 1, v20
	s_cbranch_vccnz .LBB15_299
; %bb.298:
	v_cmp_eq_u32_e32 vcc_lo, 1, v0
	ds_load_b32 v19, v70
	v_cndmask_b32_e32 v18, v2, v3, vcc_lo
	v_cmp_eq_u32_e32 vcc_lo, 2, v0
	s_delay_alu instid0(VALU_DEP_2) | instskip(SKIP_1) | instid1(VALU_DEP_2)
	v_cndmask_b32_e32 v18, v18, v4, vcc_lo
	v_cmp_eq_u32_e32 vcc_lo, 3, v0
	v_cndmask_b32_e32 v18, v18, v5, vcc_lo
	v_cmp_eq_u32_e32 vcc_lo, 4, v0
	s_delay_alu instid0(VALU_DEP_2) | instskip(SKIP_1) | instid1(VALU_DEP_2)
	v_cndmask_b32_e32 v18, v18, v6, vcc_lo
	v_cmp_eq_u32_e32 vcc_lo, 5, v0
	;; [unrolled: 5-line block ×7, first 2 shown]
	v_cndmask_b32_e32 v18, v18, v17, vcc_lo
	s_wait_dscnt 0x0
	s_delay_alu instid0(VALU_DEP_1)
	v_mul_f32_e32 v18, v18, v19
	s_cbranch_execz .LBB15_300
	s_branch .LBB15_301
.LBB15_299:
                                        ; implicit-def: $vgpr18
.LBB15_300:
	ds_load_b32 v18, v70
.LBB15_301:
	s_mov_b32 s5, exec_lo
	v_cmpx_ne_u32_e32 8, v0
	s_cbranch_execz .LBB15_317
; %bb.302:
	v_cmp_eq_u32_e32 vcc_lo, 1, v21
	ds_load_b32 v22, v70 offset:4
	v_cndmask_b32_e32 v19, v2, v3, vcc_lo
	v_cmp_eq_u32_e32 vcc_lo, 2, v21
	s_delay_alu instid0(VALU_DEP_2) | instskip(SKIP_1) | instid1(VALU_DEP_2)
	v_cndmask_b32_e32 v19, v19, v4, vcc_lo
	v_cmp_eq_u32_e32 vcc_lo, 3, v21
	v_cndmask_b32_e32 v19, v19, v5, vcc_lo
	v_cmp_eq_u32_e32 vcc_lo, 4, v21
	s_delay_alu instid0(VALU_DEP_2) | instskip(SKIP_1) | instid1(VALU_DEP_2)
	v_cndmask_b32_e32 v19, v19, v6, vcc_lo
	v_cmp_eq_u32_e32 vcc_lo, 5, v21
	;; [unrolled: 5-line block ×7, first 2 shown]
	v_cndmask_b32_e32 v19, v19, v17, vcc_lo
	s_wait_dscnt 0x0
	s_delay_alu instid0(VALU_DEP_1)
	v_fmac_f32_e32 v18, v19, v22
	s_and_saveexec_b32 s6, s3
	s_cbranch_execz .LBB15_316
; %bb.303:
	v_add_nc_u32_e32 v19, 2, v0
	ds_load_b32 v22, v70 offset:8
	s_mov_b32 s3, exec_lo
	v_cmp_eq_u32_e32 vcc_lo, 1, v19
	v_cndmask_b32_e32 v21, v2, v3, vcc_lo
	v_cmp_eq_u32_e32 vcc_lo, 2, v19
	s_delay_alu instid0(VALU_DEP_2) | instskip(SKIP_1) | instid1(VALU_DEP_2)
	v_cndmask_b32_e32 v21, v21, v4, vcc_lo
	v_cmp_eq_u32_e32 vcc_lo, 3, v19
	v_cndmask_b32_e32 v21, v21, v5, vcc_lo
	v_cmp_eq_u32_e32 vcc_lo, 4, v19
	s_delay_alu instid0(VALU_DEP_2) | instskip(SKIP_1) | instid1(VALU_DEP_2)
	v_cndmask_b32_e32 v21, v21, v6, vcc_lo
	;; [unrolled: 5-line block ×7, first 2 shown]
	v_cmp_eq_u32_e32 vcc_lo, 15, v19
	v_cndmask_b32_e32 v19, v21, v17, vcc_lo
	s_wait_dscnt 0x0
	s_delay_alu instid0(VALU_DEP_1)
	v_fmac_f32_e32 v18, v19, v22
	v_cmpx_ne_u32_e32 6, v0
	s_cbranch_execz .LBB15_315
; %bb.304:
	v_add_nc_u32_e32 v19, 3, v0
	ds_load_b32 v22, v70 offset:12
	v_cmp_eq_u32_e32 vcc_lo, 1, v19
	v_cndmask_b32_e32 v21, v2, v3, vcc_lo
	v_cmp_eq_u32_e32 vcc_lo, 2, v19
	s_delay_alu instid0(VALU_DEP_2) | instskip(SKIP_1) | instid1(VALU_DEP_2)
	v_cndmask_b32_e32 v21, v21, v4, vcc_lo
	v_cmp_eq_u32_e32 vcc_lo, 3, v19
	v_cndmask_b32_e32 v21, v21, v5, vcc_lo
	v_cmp_eq_u32_e32 vcc_lo, 4, v19
	s_delay_alu instid0(VALU_DEP_2) | instskip(SKIP_1) | instid1(VALU_DEP_2)
	v_cndmask_b32_e32 v21, v21, v6, vcc_lo
	;; [unrolled: 5-line block ×7, first 2 shown]
	v_cmp_eq_u32_e32 vcc_lo, 15, v19
	v_cndmask_b32_e32 v19, v21, v17, vcc_lo
	s_wait_dscnt 0x0
	s_delay_alu instid0(VALU_DEP_1)
	v_fmac_f32_e32 v18, v19, v22
	s_and_saveexec_b32 s7, s2
	s_cbranch_execz .LBB15_314
; %bb.305:
	v_add_nc_u32_e32 v19, 4, v0
	ds_load_b32 v22, v70 offset:16
	s_mov_b32 s2, exec_lo
	v_cmp_eq_u32_e32 vcc_lo, 1, v19
	v_cndmask_b32_e32 v21, v2, v3, vcc_lo
	v_cmp_eq_u32_e32 vcc_lo, 2, v19
	s_delay_alu instid0(VALU_DEP_2) | instskip(SKIP_1) | instid1(VALU_DEP_2)
	v_cndmask_b32_e32 v21, v21, v4, vcc_lo
	v_cmp_eq_u32_e32 vcc_lo, 3, v19
	v_cndmask_b32_e32 v21, v21, v5, vcc_lo
	v_cmp_eq_u32_e32 vcc_lo, 4, v19
	s_delay_alu instid0(VALU_DEP_2) | instskip(SKIP_1) | instid1(VALU_DEP_2)
	v_cndmask_b32_e32 v21, v21, v6, vcc_lo
	v_cmp_eq_u32_e32 vcc_lo, 5, v19
	v_cndmask_b32_e32 v21, v21, v7, vcc_lo
	v_cmp_eq_u32_e32 vcc_lo, 6, v19
	s_delay_alu instid0(VALU_DEP_2) | instskip(SKIP_1) | instid1(VALU_DEP_2)
	v_cndmask_b32_e32 v21, v21, v8, vcc_lo
	v_cmp_eq_u32_e32 vcc_lo, 7, v19
	v_cndmask_b32_e32 v21, v21, v9, vcc_lo
	v_cmp_eq_u32_e32 vcc_lo, 8, v19
	s_delay_alu instid0(VALU_DEP_2) | instskip(SKIP_1) | instid1(VALU_DEP_2)
	v_cndmask_b32_e32 v21, v21, v10, vcc_lo
	v_cmp_eq_u32_e32 vcc_lo, 9, v19
	v_cndmask_b32_e32 v21, v21, v11, vcc_lo
	v_cmp_eq_u32_e32 vcc_lo, 10, v19
	s_delay_alu instid0(VALU_DEP_2) | instskip(SKIP_1) | instid1(VALU_DEP_2)
	v_cndmask_b32_e32 v21, v21, v12, vcc_lo
	v_cmp_eq_u32_e32 vcc_lo, 11, v19
	v_cndmask_b32_e32 v21, v21, v13, vcc_lo
	v_cmp_eq_u32_e32 vcc_lo, 12, v19
	s_delay_alu instid0(VALU_DEP_2) | instskip(SKIP_1) | instid1(VALU_DEP_2)
	v_cndmask_b32_e32 v21, v21, v14, vcc_lo
	v_cmp_eq_u32_e32 vcc_lo, 13, v19
	v_cndmask_b32_e32 v21, v21, v15, vcc_lo
	v_cmp_eq_u32_e32 vcc_lo, 14, v19
	s_delay_alu instid0(VALU_DEP_2) | instskip(SKIP_1) | instid1(VALU_DEP_2)
	v_cndmask_b32_e32 v21, v21, v16, vcc_lo
	v_cmp_eq_u32_e32 vcc_lo, 15, v19
	v_cndmask_b32_e32 v19, v21, v17, vcc_lo
	s_wait_dscnt 0x0
	s_delay_alu instid0(VALU_DEP_1)
	v_fmac_f32_e32 v18, v19, v22
	v_cmpx_ne_u32_e32 4, v0
	s_cbranch_execz .LBB15_313
; %bb.306:
	v_add_nc_u32_e32 v19, 5, v0
	ds_load_b32 v22, v70 offset:20
	v_cmp_eq_u32_e32 vcc_lo, 1, v19
	v_cndmask_b32_e32 v21, v2, v3, vcc_lo
	v_cmp_eq_u32_e32 vcc_lo, 2, v19
	s_delay_alu instid0(VALU_DEP_2) | instskip(SKIP_1) | instid1(VALU_DEP_2)
	v_cndmask_b32_e32 v21, v21, v4, vcc_lo
	v_cmp_eq_u32_e32 vcc_lo, 3, v19
	v_cndmask_b32_e32 v21, v21, v5, vcc_lo
	v_cmp_eq_u32_e32 vcc_lo, 4, v19
	s_delay_alu instid0(VALU_DEP_2) | instskip(SKIP_1) | instid1(VALU_DEP_2)
	v_cndmask_b32_e32 v21, v21, v6, vcc_lo
	;; [unrolled: 5-line block ×7, first 2 shown]
	v_cmp_eq_u32_e32 vcc_lo, 15, v19
	v_cndmask_b32_e32 v19, v21, v17, vcc_lo
	s_wait_dscnt 0x0
	s_delay_alu instid0(VALU_DEP_1)
	v_fmac_f32_e32 v18, v19, v22
	s_and_saveexec_b32 s8, s1
	s_cbranch_execz .LBB15_312
; %bb.307:
	v_add_nc_u32_e32 v19, 6, v0
	ds_load_b32 v22, v70 offset:24
	s_mov_b32 s1, exec_lo
	v_cmp_eq_u32_e32 vcc_lo, 1, v19
	v_cndmask_b32_e32 v21, v2, v3, vcc_lo
	v_cmp_eq_u32_e32 vcc_lo, 2, v19
	s_delay_alu instid0(VALU_DEP_2) | instskip(SKIP_1) | instid1(VALU_DEP_2)
	v_cndmask_b32_e32 v21, v21, v4, vcc_lo
	v_cmp_eq_u32_e32 vcc_lo, 3, v19
	v_cndmask_b32_e32 v21, v21, v5, vcc_lo
	v_cmp_eq_u32_e32 vcc_lo, 4, v19
	s_delay_alu instid0(VALU_DEP_2) | instskip(SKIP_1) | instid1(VALU_DEP_2)
	v_cndmask_b32_e32 v21, v21, v6, vcc_lo
	;; [unrolled: 5-line block ×7, first 2 shown]
	v_cmp_eq_u32_e32 vcc_lo, 15, v19
	v_cndmask_b32_e32 v19, v21, v17, vcc_lo
	s_wait_dscnt 0x0
	s_delay_alu instid0(VALU_DEP_1)
	v_fmac_f32_e32 v18, v19, v22
	v_cmpx_ne_u32_e32 2, v0
	s_cbranch_execz .LBB15_311
; %bb.308:
	v_add_nc_u32_e32 v19, 7, v0
	s_delay_alu instid0(VALU_DEP_1) | instskip(SKIP_2) | instid1(VALU_DEP_2)
	v_cmp_eq_u32_e32 vcc_lo, 1, v19
	v_cndmask_b32_e32 v21, v2, v3, vcc_lo
	v_cmp_eq_u32_e32 vcc_lo, 2, v19
	v_cndmask_b32_e32 v21, v21, v4, vcc_lo
	v_cmp_eq_u32_e32 vcc_lo, 3, v19
	s_delay_alu instid0(VALU_DEP_2) | instskip(SKIP_1) | instid1(VALU_DEP_2)
	v_cndmask_b32_e32 v21, v21, v5, vcc_lo
	v_cmp_eq_u32_e32 vcc_lo, 4, v19
	v_cndmask_b32_e32 v21, v21, v6, vcc_lo
	v_cmp_eq_u32_e32 vcc_lo, 5, v19
	s_delay_alu instid0(VALU_DEP_2) | instskip(SKIP_1) | instid1(VALU_DEP_2)
	;; [unrolled: 5-line block ×3, first 2 shown]
	v_cndmask_b32_e32 v21, v21, v9, vcc_lo
	v_cmp_eq_u32_e32 vcc_lo, 8, v19
	v_cndmask_b32_e32 v21, v21, v10, vcc_lo
	v_cmp_eq_u32_e32 vcc_lo, 9, v19
	s_delay_alu instid0(VALU_DEP_2) | instskip(SKIP_4) | instid1(VALU_DEP_2)
	v_cndmask_b32_e32 v11, v21, v11, vcc_lo
	v_cmp_eq_u32_e32 vcc_lo, 10, v19
	ds_load_b32 v21, v70 offset:28
	v_cndmask_b32_e32 v11, v11, v12, vcc_lo
	v_cmp_eq_u32_e32 vcc_lo, 11, v19
	v_cndmask_b32_e32 v11, v11, v13, vcc_lo
	v_cmp_eq_u32_e32 vcc_lo, 12, v19
	s_delay_alu instid0(VALU_DEP_2) | instskip(SKIP_1) | instid1(VALU_DEP_2)
	v_cndmask_b32_e32 v11, v11, v14, vcc_lo
	v_cmp_eq_u32_e32 vcc_lo, 13, v19
	v_cndmask_b32_e32 v11, v11, v15, vcc_lo
	v_cmp_eq_u32_e32 vcc_lo, 14, v19
	s_delay_alu instid0(VALU_DEP_2) | instskip(SKIP_1) | instid1(VALU_DEP_2)
	v_cndmask_b32_e32 v11, v11, v16, vcc_lo
	v_cmp_eq_u32_e32 vcc_lo, 15, v19
	v_cndmask_b32_e32 v11, v11, v17, vcc_lo
	s_wait_dscnt 0x0
	s_delay_alu instid0(VALU_DEP_1)
	v_fmac_f32_e32 v18, v11, v21
	s_and_saveexec_b32 s9, s0
	s_cbranch_execz .LBB15_310
; %bb.309:
	ds_load_b32 v11, v70 offset:32
	s_wait_dscnt 0x0
	v_fmac_f32_e32 v18, v10, v11
.LBB15_310:
	s_or_b32 exec_lo, exec_lo, s9
.LBB15_311:
	s_delay_alu instid0(SALU_CYCLE_1)
	s_or_b32 exec_lo, exec_lo, s1
.LBB15_312:
	s_delay_alu instid0(SALU_CYCLE_1)
	s_or_b32 exec_lo, exec_lo, s8
.LBB15_313:
	s_delay_alu instid0(SALU_CYCLE_1)
	s_or_b32 exec_lo, exec_lo, s2
.LBB15_314:
	s_delay_alu instid0(SALU_CYCLE_1)
	s_or_b32 exec_lo, exec_lo, s7
.LBB15_315:
	s_delay_alu instid0(SALU_CYCLE_1)
	s_or_b32 exec_lo, exec_lo, s3
.LBB15_316:
	s_delay_alu instid0(SALU_CYCLE_1)
	s_or_b32 exec_lo, exec_lo, s6
.LBB15_317:
	s_delay_alu instid0(SALU_CYCLE_1)
	s_or_b32 exec_lo, exec_lo, s5
	v_mov_b32_e32 v11, 0
	ds_load_b32 v11, v11 offset:36
	s_wait_dscnt 0x0
	v_mul_f32_e32 v11, v18, v11
.LBB15_318:
	s_or_b32 exec_lo, exec_lo, s4
	s_delay_alu instid0(SALU_CYCLE_1)
	s_mov_b32 s0, exec_lo
	ds_store_b32 v70, v12
	s_wait_dscnt 0x0
	s_barrier_signal -1
	s_barrier_wait -1
	v_cmpx_gt_u32_e32 10, v0
	s_cbranch_execz .LBB15_328
; %bb.319:
	v_cmp_ne_u32_e32 vcc_lo, 1, v20
	s_cbranch_vccnz .LBB15_321
; %bb.320:
	v_cmp_eq_u32_e32 vcc_lo, 1, v0
	ds_load_b32 v19, v70
	v_cndmask_b32_e32 v18, v2, v3, vcc_lo
	v_cmp_eq_u32_e32 vcc_lo, 2, v0
	s_delay_alu instid0(VALU_DEP_2) | instskip(SKIP_1) | instid1(VALU_DEP_2)
	v_cndmask_b32_e32 v18, v18, v4, vcc_lo
	v_cmp_eq_u32_e32 vcc_lo, 3, v0
	v_cndmask_b32_e32 v18, v18, v5, vcc_lo
	v_cmp_eq_u32_e32 vcc_lo, 4, v0
	s_delay_alu instid0(VALU_DEP_2) | instskip(SKIP_1) | instid1(VALU_DEP_2)
	v_cndmask_b32_e32 v18, v18, v6, vcc_lo
	v_cmp_eq_u32_e32 vcc_lo, 5, v0
	;; [unrolled: 5-line block ×7, first 2 shown]
	v_cndmask_b32_e32 v18, v18, v17, vcc_lo
	s_wait_dscnt 0x0
	s_delay_alu instid0(VALU_DEP_1)
	v_mul_f32_e32 v21, v18, v19
	s_cbranch_execz .LBB15_322
	s_branch .LBB15_323
.LBB15_321:
                                        ; implicit-def: $vgpr21
.LBB15_322:
	ds_load_b32 v21, v70
.LBB15_323:
	s_mov_b32 s1, exec_lo
	v_cmpx_ne_u32_e32 9, v0
	s_cbranch_execz .LBB15_327
; %bb.324:
	v_mov_b64_e32 v[18:19], v[0:1]
	v_lshl_add_u32 v22, v0, 2, 0x44
	s_mov_b32 s2, 0
.LBB15_325:                             ; =>This Inner Loop Header: Depth=1
	s_delay_alu instid0(VALU_DEP_2)
	v_add_nc_u64_e32 v[18:19], 1, v[18:19]
	ds_load_b32 v24, v22
	v_add_nc_u32_e32 v22, 4, v22
	v_cmp_eq_u32_e32 vcc_lo, 1, v18
	v_cndmask_b32_e32 v23, v2, v3, vcc_lo
	v_cmp_eq_u32_e32 vcc_lo, 2, v18
	s_delay_alu instid0(VALU_DEP_2) | instskip(SKIP_1) | instid1(VALU_DEP_2)
	v_cndmask_b32_e32 v23, v23, v4, vcc_lo
	v_cmp_eq_u32_e32 vcc_lo, 3, v18
	v_cndmask_b32_e32 v23, v23, v5, vcc_lo
	v_cmp_eq_u32_e32 vcc_lo, 4, v18
	s_delay_alu instid0(VALU_DEP_2) | instskip(SKIP_1) | instid1(VALU_DEP_2)
	v_cndmask_b32_e32 v23, v23, v6, vcc_lo
	;; [unrolled: 5-line block ×7, first 2 shown]
	v_cmp_eq_u32_e32 vcc_lo, 15, v18
	v_cndmask_b32_e32 v23, v23, v17, vcc_lo
	v_cmp_lt_u32_e32 vcc_lo, 8, v18
	s_wait_dscnt 0x0
	s_delay_alu instid0(VALU_DEP_2) | instskip(SKIP_1) | instid1(SALU_CYCLE_1)
	v_fmac_f32_e32 v21, v23, v24
	s_or_b32 s2, vcc_lo, s2
	s_and_not1_b32 exec_lo, exec_lo, s2
	s_cbranch_execnz .LBB15_325
; %bb.326:
	s_or_b32 exec_lo, exec_lo, s2
.LBB15_327:
	s_delay_alu instid0(SALU_CYCLE_1)
	s_or_b32 exec_lo, exec_lo, s1
	v_mov_b32_e32 v12, 0
	ds_load_b32 v12, v12 offset:40
	s_wait_dscnt 0x0
	v_mul_f32_e32 v12, v21, v12
.LBB15_328:
	s_or_b32 exec_lo, exec_lo, s0
	s_delay_alu instid0(SALU_CYCLE_1)
	s_mov_b32 s0, exec_lo
	ds_store_b32 v70, v13
	s_wait_dscnt 0x0
	s_barrier_signal -1
	s_barrier_wait -1
	v_cmpx_gt_u32_e32 11, v0
	s_cbranch_execz .LBB15_338
; %bb.329:
	v_cmp_ne_u32_e32 vcc_lo, 1, v20
	s_cbranch_vccnz .LBB15_331
; %bb.330:
	v_cmp_eq_u32_e32 vcc_lo, 1, v0
	ds_load_b32 v19, v70
	v_cndmask_b32_e32 v18, v2, v3, vcc_lo
	v_cmp_eq_u32_e32 vcc_lo, 2, v0
	s_delay_alu instid0(VALU_DEP_2) | instskip(SKIP_1) | instid1(VALU_DEP_2)
	v_cndmask_b32_e32 v18, v18, v4, vcc_lo
	v_cmp_eq_u32_e32 vcc_lo, 3, v0
	v_cndmask_b32_e32 v18, v18, v5, vcc_lo
	v_cmp_eq_u32_e32 vcc_lo, 4, v0
	s_delay_alu instid0(VALU_DEP_2) | instskip(SKIP_1) | instid1(VALU_DEP_2)
	v_cndmask_b32_e32 v18, v18, v6, vcc_lo
	v_cmp_eq_u32_e32 vcc_lo, 5, v0
	;; [unrolled: 5-line block ×7, first 2 shown]
	v_cndmask_b32_e32 v18, v18, v17, vcc_lo
	s_wait_dscnt 0x0
	s_delay_alu instid0(VALU_DEP_1)
	v_mul_f32_e32 v21, v18, v19
	s_cbranch_execz .LBB15_332
	s_branch .LBB15_333
.LBB15_331:
                                        ; implicit-def: $vgpr21
.LBB15_332:
	ds_load_b32 v21, v70
.LBB15_333:
	s_mov_b32 s1, exec_lo
	v_cmpx_ne_u32_e32 10, v0
	s_cbranch_execz .LBB15_337
; %bb.334:
	v_mov_b64_e32 v[18:19], v[0:1]
	v_lshl_add_u32 v22, v0, 2, 0x44
	s_mov_b32 s2, 0
.LBB15_335:                             ; =>This Inner Loop Header: Depth=1
	s_delay_alu instid0(VALU_DEP_2)
	v_add_nc_u64_e32 v[18:19], 1, v[18:19]
	ds_load_b32 v24, v22
	v_add_nc_u32_e32 v22, 4, v22
	v_cmp_eq_u32_e32 vcc_lo, 1, v18
	v_cndmask_b32_e32 v23, v2, v3, vcc_lo
	v_cmp_eq_u32_e32 vcc_lo, 2, v18
	s_delay_alu instid0(VALU_DEP_2) | instskip(SKIP_1) | instid1(VALU_DEP_2)
	v_cndmask_b32_e32 v23, v23, v4, vcc_lo
	v_cmp_eq_u32_e32 vcc_lo, 3, v18
	v_cndmask_b32_e32 v23, v23, v5, vcc_lo
	v_cmp_eq_u32_e32 vcc_lo, 4, v18
	s_delay_alu instid0(VALU_DEP_2) | instskip(SKIP_1) | instid1(VALU_DEP_2)
	v_cndmask_b32_e32 v23, v23, v6, vcc_lo
	v_cmp_eq_u32_e32 vcc_lo, 5, v18
	v_cndmask_b32_e32 v23, v23, v7, vcc_lo
	v_cmp_eq_u32_e32 vcc_lo, 6, v18
	s_delay_alu instid0(VALU_DEP_2) | instskip(SKIP_1) | instid1(VALU_DEP_2)
	v_cndmask_b32_e32 v23, v23, v8, vcc_lo
	v_cmp_eq_u32_e32 vcc_lo, 7, v18
	v_cndmask_b32_e32 v23, v23, v9, vcc_lo
	v_cmp_eq_u32_e32 vcc_lo, 8, v18
	s_delay_alu instid0(VALU_DEP_2) | instskip(SKIP_1) | instid1(VALU_DEP_2)
	v_cndmask_b32_e32 v23, v23, v10, vcc_lo
	v_cmp_eq_u32_e32 vcc_lo, 9, v18
	v_cndmask_b32_e32 v23, v23, v11, vcc_lo
	v_cmp_eq_u32_e32 vcc_lo, 10, v18
	s_delay_alu instid0(VALU_DEP_2) | instskip(SKIP_1) | instid1(VALU_DEP_2)
	v_cndmask_b32_e32 v23, v23, v12, vcc_lo
	v_cmp_eq_u32_e32 vcc_lo, 11, v18
	v_cndmask_b32_e32 v23, v23, v13, vcc_lo
	v_cmp_eq_u32_e32 vcc_lo, 12, v18
	s_delay_alu instid0(VALU_DEP_2) | instskip(SKIP_1) | instid1(VALU_DEP_2)
	v_cndmask_b32_e32 v23, v23, v14, vcc_lo
	v_cmp_eq_u32_e32 vcc_lo, 13, v18
	v_cndmask_b32_e32 v23, v23, v15, vcc_lo
	v_cmp_eq_u32_e32 vcc_lo, 14, v18
	s_delay_alu instid0(VALU_DEP_2) | instskip(SKIP_1) | instid1(VALU_DEP_2)
	v_cndmask_b32_e32 v23, v23, v16, vcc_lo
	v_cmp_eq_u32_e32 vcc_lo, 15, v18
	v_cndmask_b32_e32 v23, v23, v17, vcc_lo
	v_cmp_lt_u32_e32 vcc_lo, 9, v18
	s_wait_dscnt 0x0
	s_delay_alu instid0(VALU_DEP_2) | instskip(SKIP_1) | instid1(SALU_CYCLE_1)
	v_fmac_f32_e32 v21, v23, v24
	s_or_b32 s2, vcc_lo, s2
	s_and_not1_b32 exec_lo, exec_lo, s2
	s_cbranch_execnz .LBB15_335
; %bb.336:
	s_or_b32 exec_lo, exec_lo, s2
.LBB15_337:
	s_delay_alu instid0(SALU_CYCLE_1)
	s_or_b32 exec_lo, exec_lo, s1
	v_mov_b32_e32 v13, 0
	ds_load_b32 v13, v13 offset:44
	s_wait_dscnt 0x0
	v_mul_f32_e32 v13, v21, v13
.LBB15_338:
	s_or_b32 exec_lo, exec_lo, s0
	s_delay_alu instid0(SALU_CYCLE_1)
	s_mov_b32 s0, exec_lo
	ds_store_b32 v70, v14
	s_wait_dscnt 0x0
	s_barrier_signal -1
	s_barrier_wait -1
	v_cmpx_gt_u32_e32 12, v0
	s_cbranch_execz .LBB15_348
; %bb.339:
	v_cmp_ne_u32_e32 vcc_lo, 1, v20
	s_cbranch_vccnz .LBB15_341
; %bb.340:
	v_cmp_eq_u32_e32 vcc_lo, 1, v0
	ds_load_b32 v19, v70
	v_cndmask_b32_e32 v18, v2, v3, vcc_lo
	v_cmp_eq_u32_e32 vcc_lo, 2, v0
	s_delay_alu instid0(VALU_DEP_2) | instskip(SKIP_1) | instid1(VALU_DEP_2)
	v_cndmask_b32_e32 v18, v18, v4, vcc_lo
	v_cmp_eq_u32_e32 vcc_lo, 3, v0
	v_cndmask_b32_e32 v18, v18, v5, vcc_lo
	v_cmp_eq_u32_e32 vcc_lo, 4, v0
	s_delay_alu instid0(VALU_DEP_2) | instskip(SKIP_1) | instid1(VALU_DEP_2)
	v_cndmask_b32_e32 v18, v18, v6, vcc_lo
	v_cmp_eq_u32_e32 vcc_lo, 5, v0
	;; [unrolled: 5-line block ×7, first 2 shown]
	v_cndmask_b32_e32 v18, v18, v17, vcc_lo
	s_wait_dscnt 0x0
	s_delay_alu instid0(VALU_DEP_1)
	v_mul_f32_e32 v21, v18, v19
	s_cbranch_execz .LBB15_342
	s_branch .LBB15_343
.LBB15_341:
                                        ; implicit-def: $vgpr21
.LBB15_342:
	ds_load_b32 v21, v70
.LBB15_343:
	s_mov_b32 s1, exec_lo
	v_cmpx_ne_u32_e32 11, v0
	s_cbranch_execz .LBB15_347
; %bb.344:
	v_mov_b64_e32 v[18:19], v[0:1]
	v_lshl_add_u32 v22, v0, 2, 0x44
	s_mov_b32 s2, 0
.LBB15_345:                             ; =>This Inner Loop Header: Depth=1
	s_delay_alu instid0(VALU_DEP_2)
	v_add_nc_u64_e32 v[18:19], 1, v[18:19]
	ds_load_b32 v24, v22
	v_add_nc_u32_e32 v22, 4, v22
	v_cmp_eq_u32_e32 vcc_lo, 1, v18
	v_cndmask_b32_e32 v23, v2, v3, vcc_lo
	v_cmp_eq_u32_e32 vcc_lo, 2, v18
	s_delay_alu instid0(VALU_DEP_2) | instskip(SKIP_1) | instid1(VALU_DEP_2)
	v_cndmask_b32_e32 v23, v23, v4, vcc_lo
	v_cmp_eq_u32_e32 vcc_lo, 3, v18
	v_cndmask_b32_e32 v23, v23, v5, vcc_lo
	v_cmp_eq_u32_e32 vcc_lo, 4, v18
	s_delay_alu instid0(VALU_DEP_2) | instskip(SKIP_1) | instid1(VALU_DEP_2)
	v_cndmask_b32_e32 v23, v23, v6, vcc_lo
	;; [unrolled: 5-line block ×7, first 2 shown]
	v_cmp_eq_u32_e32 vcc_lo, 15, v18
	v_cndmask_b32_e32 v23, v23, v17, vcc_lo
	v_cmp_lt_u32_e32 vcc_lo, 10, v18
	s_wait_dscnt 0x0
	s_delay_alu instid0(VALU_DEP_2) | instskip(SKIP_1) | instid1(SALU_CYCLE_1)
	v_fmac_f32_e32 v21, v23, v24
	s_or_b32 s2, vcc_lo, s2
	s_and_not1_b32 exec_lo, exec_lo, s2
	s_cbranch_execnz .LBB15_345
; %bb.346:
	s_or_b32 exec_lo, exec_lo, s2
.LBB15_347:
	s_delay_alu instid0(SALU_CYCLE_1)
	s_or_b32 exec_lo, exec_lo, s1
	v_mov_b32_e32 v14, 0
	ds_load_b32 v14, v14 offset:48
	s_wait_dscnt 0x0
	v_mul_f32_e32 v14, v21, v14
.LBB15_348:
	s_or_b32 exec_lo, exec_lo, s0
	s_delay_alu instid0(SALU_CYCLE_1)
	s_mov_b32 s0, exec_lo
	ds_store_b32 v70, v15
	s_wait_dscnt 0x0
	s_barrier_signal -1
	s_barrier_wait -1
	v_cmpx_gt_u32_e32 13, v0
	s_cbranch_execz .LBB15_358
; %bb.349:
	v_cmp_ne_u32_e32 vcc_lo, 1, v20
	s_cbranch_vccnz .LBB15_351
; %bb.350:
	v_cmp_eq_u32_e32 vcc_lo, 1, v0
	ds_load_b32 v19, v70
	v_cndmask_b32_e32 v18, v2, v3, vcc_lo
	v_cmp_eq_u32_e32 vcc_lo, 2, v0
	s_delay_alu instid0(VALU_DEP_2) | instskip(SKIP_1) | instid1(VALU_DEP_2)
	v_cndmask_b32_e32 v18, v18, v4, vcc_lo
	v_cmp_eq_u32_e32 vcc_lo, 3, v0
	v_cndmask_b32_e32 v18, v18, v5, vcc_lo
	v_cmp_eq_u32_e32 vcc_lo, 4, v0
	s_delay_alu instid0(VALU_DEP_2) | instskip(SKIP_1) | instid1(VALU_DEP_2)
	v_cndmask_b32_e32 v18, v18, v6, vcc_lo
	v_cmp_eq_u32_e32 vcc_lo, 5, v0
	;; [unrolled: 5-line block ×7, first 2 shown]
	v_cndmask_b32_e32 v18, v18, v17, vcc_lo
	s_wait_dscnt 0x0
	s_delay_alu instid0(VALU_DEP_1)
	v_mul_f32_e32 v21, v18, v19
	s_cbranch_execz .LBB15_352
	s_branch .LBB15_353
.LBB15_351:
                                        ; implicit-def: $vgpr21
.LBB15_352:
	ds_load_b32 v21, v70
.LBB15_353:
	s_mov_b32 s1, exec_lo
	v_cmpx_ne_u32_e32 12, v0
	s_cbranch_execz .LBB15_357
; %bb.354:
	v_mov_b64_e32 v[18:19], v[0:1]
	v_lshl_add_u32 v22, v0, 2, 0x44
	s_mov_b32 s2, 0
.LBB15_355:                             ; =>This Inner Loop Header: Depth=1
	s_delay_alu instid0(VALU_DEP_2)
	v_add_nc_u64_e32 v[18:19], 1, v[18:19]
	ds_load_b32 v24, v22
	v_add_nc_u32_e32 v22, 4, v22
	v_cmp_eq_u32_e32 vcc_lo, 1, v18
	v_cndmask_b32_e32 v23, v2, v3, vcc_lo
	v_cmp_eq_u32_e32 vcc_lo, 2, v18
	s_delay_alu instid0(VALU_DEP_2) | instskip(SKIP_1) | instid1(VALU_DEP_2)
	v_cndmask_b32_e32 v23, v23, v4, vcc_lo
	v_cmp_eq_u32_e32 vcc_lo, 3, v18
	v_cndmask_b32_e32 v23, v23, v5, vcc_lo
	v_cmp_eq_u32_e32 vcc_lo, 4, v18
	s_delay_alu instid0(VALU_DEP_2) | instskip(SKIP_1) | instid1(VALU_DEP_2)
	v_cndmask_b32_e32 v23, v23, v6, vcc_lo
	;; [unrolled: 5-line block ×7, first 2 shown]
	v_cmp_eq_u32_e32 vcc_lo, 15, v18
	v_cndmask_b32_e32 v23, v23, v17, vcc_lo
	v_cmp_lt_u32_e32 vcc_lo, 11, v18
	s_wait_dscnt 0x0
	s_delay_alu instid0(VALU_DEP_2) | instskip(SKIP_1) | instid1(SALU_CYCLE_1)
	v_fmac_f32_e32 v21, v23, v24
	s_or_b32 s2, vcc_lo, s2
	s_and_not1_b32 exec_lo, exec_lo, s2
	s_cbranch_execnz .LBB15_355
; %bb.356:
	s_or_b32 exec_lo, exec_lo, s2
.LBB15_357:
	s_delay_alu instid0(SALU_CYCLE_1)
	s_or_b32 exec_lo, exec_lo, s1
	v_mov_b32_e32 v15, 0
	ds_load_b32 v15, v15 offset:52
	s_wait_dscnt 0x0
	v_mul_f32_e32 v15, v21, v15
.LBB15_358:
	s_or_b32 exec_lo, exec_lo, s0
	v_cmp_gt_u32_e64 s0, 14, v0
	ds_store_b32 v70, v16
	s_wait_dscnt 0x0
	s_barrier_signal -1
	s_barrier_wait -1
	s_and_saveexec_b32 s1, s0
	s_cbranch_execz .LBB15_368
; %bb.359:
	v_cmp_ne_u32_e32 vcc_lo, 1, v20
	s_cbranch_vccnz .LBB15_361
; %bb.360:
	v_cmp_eq_u32_e32 vcc_lo, 1, v0
	ds_load_b32 v19, v70
	v_cndmask_b32_e32 v18, v2, v3, vcc_lo
	v_cmp_eq_u32_e32 vcc_lo, 2, v0
	s_delay_alu instid0(VALU_DEP_2) | instskip(SKIP_1) | instid1(VALU_DEP_2)
	v_cndmask_b32_e32 v18, v18, v4, vcc_lo
	v_cmp_eq_u32_e32 vcc_lo, 3, v0
	v_cndmask_b32_e32 v18, v18, v5, vcc_lo
	v_cmp_eq_u32_e32 vcc_lo, 4, v0
	s_delay_alu instid0(VALU_DEP_2) | instskip(SKIP_1) | instid1(VALU_DEP_2)
	v_cndmask_b32_e32 v18, v18, v6, vcc_lo
	v_cmp_eq_u32_e32 vcc_lo, 5, v0
	;; [unrolled: 5-line block ×7, first 2 shown]
	v_cndmask_b32_e32 v18, v18, v17, vcc_lo
	s_wait_dscnt 0x0
	s_delay_alu instid0(VALU_DEP_1)
	v_mul_f32_e32 v21, v18, v19
	s_cbranch_execz .LBB15_362
	s_branch .LBB15_363
.LBB15_361:
                                        ; implicit-def: $vgpr21
.LBB15_362:
	ds_load_b32 v21, v70
.LBB15_363:
	s_mov_b32 s2, exec_lo
	v_cmpx_ne_u32_e32 13, v0
	s_cbranch_execz .LBB15_367
; %bb.364:
	v_mov_b64_e32 v[18:19], v[0:1]
	v_lshl_add_u32 v22, v0, 2, 0x44
	s_mov_b32 s3, 0
.LBB15_365:                             ; =>This Inner Loop Header: Depth=1
	s_delay_alu instid0(VALU_DEP_2)
	v_add_nc_u64_e32 v[18:19], 1, v[18:19]
	ds_load_b32 v24, v22
	v_add_nc_u32_e32 v22, 4, v22
	v_cmp_eq_u32_e32 vcc_lo, 1, v18
	v_cndmask_b32_e32 v23, v2, v3, vcc_lo
	v_cmp_eq_u32_e32 vcc_lo, 2, v18
	s_delay_alu instid0(VALU_DEP_2) | instskip(SKIP_1) | instid1(VALU_DEP_2)
	v_cndmask_b32_e32 v23, v23, v4, vcc_lo
	v_cmp_eq_u32_e32 vcc_lo, 3, v18
	v_cndmask_b32_e32 v23, v23, v5, vcc_lo
	v_cmp_eq_u32_e32 vcc_lo, 4, v18
	s_delay_alu instid0(VALU_DEP_2) | instskip(SKIP_1) | instid1(VALU_DEP_2)
	v_cndmask_b32_e32 v23, v23, v6, vcc_lo
	;; [unrolled: 5-line block ×7, first 2 shown]
	v_cmp_eq_u32_e32 vcc_lo, 15, v18
	v_cndmask_b32_e32 v23, v23, v17, vcc_lo
	v_cmp_lt_u32_e32 vcc_lo, 12, v18
	s_wait_dscnt 0x0
	s_delay_alu instid0(VALU_DEP_2) | instskip(SKIP_1) | instid1(SALU_CYCLE_1)
	v_fmac_f32_e32 v21, v23, v24
	s_or_b32 s3, vcc_lo, s3
	s_and_not1_b32 exec_lo, exec_lo, s3
	s_cbranch_execnz .LBB15_365
; %bb.366:
	s_or_b32 exec_lo, exec_lo, s3
.LBB15_367:
	s_delay_alu instid0(SALU_CYCLE_1)
	s_or_b32 exec_lo, exec_lo, s2
	v_mov_b32_e32 v16, 0
	ds_load_b32 v16, v16 offset:56
	s_wait_dscnt 0x0
	v_mul_f32_e32 v16, v21, v16
.LBB15_368:
	s_or_b32 exec_lo, exec_lo, s1
	s_delay_alu instid0(SALU_CYCLE_1)
	s_mov_b32 s1, exec_lo
	ds_store_b32 v70, v17
	s_wait_dscnt 0x0
	s_barrier_signal -1
	s_barrier_wait -1
	v_cmpx_ne_u32_e32 15, v0
	s_cbranch_execz .LBB15_378
; %bb.369:
	v_cmp_ne_u32_e32 vcc_lo, 1, v20
	s_cbranch_vccnz .LBB15_371
; %bb.370:
	v_cmp_eq_u32_e32 vcc_lo, 1, v0
	ds_load_b32 v19, v70
	v_cndmask_b32_e32 v18, v2, v3, vcc_lo
	v_cmp_eq_u32_e32 vcc_lo, 2, v0
	s_delay_alu instid0(VALU_DEP_2) | instskip(SKIP_1) | instid1(VALU_DEP_2)
	v_cndmask_b32_e32 v18, v18, v4, vcc_lo
	v_cmp_eq_u32_e32 vcc_lo, 3, v0
	v_cndmask_b32_e32 v18, v18, v5, vcc_lo
	v_cmp_eq_u32_e32 vcc_lo, 4, v0
	s_delay_alu instid0(VALU_DEP_2) | instskip(SKIP_1) | instid1(VALU_DEP_2)
	v_cndmask_b32_e32 v18, v18, v6, vcc_lo
	v_cmp_eq_u32_e32 vcc_lo, 5, v0
	;; [unrolled: 5-line block ×7, first 2 shown]
	v_cndmask_b32_e32 v18, v18, v17, vcc_lo
	s_wait_dscnt 0x0
	s_delay_alu instid0(VALU_DEP_1)
	v_mul_f32_e32 v18, v18, v19
	s_cbranch_execz .LBB15_372
	s_branch .LBB15_373
.LBB15_371:
                                        ; implicit-def: $vgpr18
.LBB15_372:
	ds_load_b32 v18, v70
.LBB15_373:
	s_and_saveexec_b32 s2, s0
	s_cbranch_execz .LBB15_377
; %bb.374:
	v_lshl_add_u32 v19, v0, 2, 0x44
	s_mov_b32 s0, 0
.LBB15_375:                             ; =>This Inner Loop Header: Depth=1
	v_add_nc_u64_e32 v[0:1], 1, v[0:1]
	ds_load_b32 v21, v19
	v_add_nc_u32_e32 v19, 4, v19
	v_cmp_eq_u32_e32 vcc_lo, 1, v0
	v_cndmask_b32_e32 v20, v2, v3, vcc_lo
	v_cmp_eq_u32_e32 vcc_lo, 2, v0
	s_delay_alu instid0(VALU_DEP_2) | instskip(SKIP_1) | instid1(VALU_DEP_2)
	v_cndmask_b32_e32 v20, v20, v4, vcc_lo
	v_cmp_eq_u32_e32 vcc_lo, 3, v0
	v_cndmask_b32_e32 v20, v20, v5, vcc_lo
	v_cmp_eq_u32_e32 vcc_lo, 4, v0
	s_delay_alu instid0(VALU_DEP_2) | instskip(SKIP_1) | instid1(VALU_DEP_2)
	v_cndmask_b32_e32 v20, v20, v6, vcc_lo
	;; [unrolled: 5-line block ×7, first 2 shown]
	v_cmp_eq_u32_e32 vcc_lo, 15, v0
	v_cndmask_b32_e32 v20, v20, v17, vcc_lo
	v_cmp_lt_u32_e32 vcc_lo, 13, v0
	s_wait_dscnt 0x0
	s_delay_alu instid0(VALU_DEP_2) | instskip(SKIP_1) | instid1(SALU_CYCLE_1)
	v_fmac_f32_e32 v18, v20, v21
	s_or_b32 s0, vcc_lo, s0
	s_and_not1_b32 exec_lo, exec_lo, s0
	s_cbranch_execnz .LBB15_375
; %bb.376:
	s_or_b32 exec_lo, exec_lo, s0
.LBB15_377:
	s_delay_alu instid0(SALU_CYCLE_1)
	s_or_b32 exec_lo, exec_lo, s2
	v_mov_b32_e32 v0, 0
	ds_load_b32 v0, v0 offset:60
	s_wait_dscnt 0x0
	v_mul_f32_e32 v17, v18, v0
.LBB15_378:
	s_or_b32 exec_lo, exec_lo, s1
	s_delay_alu instid0(VALU_DEP_1)
	v_mov_b64_e32 v[32:33], v[16:17]
	v_mov_b64_e32 v[30:31], v[14:15]
	;; [unrolled: 1-line block ×8, first 2 shown]
.LBB15_379:
	s_wait_xcnt 0x7
	v_lshl_add_u64 v[0:1], v[34:35], 2, s[18:19]
	s_wait_loadcnt 0x7
	v_lshl_add_u64 v[2:3], v[36:37], 2, s[18:19]
	v_lshl_add_u64 v[4:5], v[38:39], 2, s[18:19]
	;; [unrolled: 1-line block ×4, first 2 shown]
	s_wait_loadcnt 0x6
	v_lshl_add_u64 v[10:11], v[44:45], 2, s[18:19]
	s_wait_loadcnt 0x4
	v_lshl_add_u64 v[12:13], v[46:47], 2, s[18:19]
	;; [unrolled: 2-line block ×4, first 2 shown]
	v_lshl_add_u64 v[34:35], v[54:55], 2, s[18:19]
	v_lshl_add_u64 v[36:37], v[58:59], 2, s[18:19]
	;; [unrolled: 1-line block ×5, first 2 shown]
	s_clause 0xf
	global_store_b32 v[50:51], v18, off
	global_store_b32 v[56:57], v19, off
	;; [unrolled: 1-line block ×16, first 2 shown]
.LBB15_380:
	s_sendmsg sendmsg(MSG_DEALLOC_VGPRS)
	s_endpgm
	.section	.rodata,"a",@progbits
	.p2align	6, 0x0
	.amdhsa_kernel _ZN9rocsolver6v33100L18trti2_kernel_smallILi16EfPfEEv13rocblas_fill_17rocblas_diagonal_T1_iil
		.amdhsa_group_segment_fixed_size 128
		.amdhsa_private_segment_fixed_size 0
		.amdhsa_kernarg_size 32
		.amdhsa_user_sgpr_count 2
		.amdhsa_user_sgpr_dispatch_ptr 0
		.amdhsa_user_sgpr_queue_ptr 0
		.amdhsa_user_sgpr_kernarg_segment_ptr 1
		.amdhsa_user_sgpr_dispatch_id 0
		.amdhsa_user_sgpr_kernarg_preload_length 0
		.amdhsa_user_sgpr_kernarg_preload_offset 0
		.amdhsa_user_sgpr_private_segment_size 0
		.amdhsa_wavefront_size32 1
		.amdhsa_uses_dynamic_stack 0
		.amdhsa_enable_private_segment 0
		.amdhsa_system_sgpr_workgroup_id_x 1
		.amdhsa_system_sgpr_workgroup_id_y 0
		.amdhsa_system_sgpr_workgroup_id_z 0
		.amdhsa_system_sgpr_workgroup_info 0
		.amdhsa_system_vgpr_workitem_id 0
		.amdhsa_next_free_vgpr 80
		.amdhsa_next_free_sgpr 24
		.amdhsa_named_barrier_count 0
		.amdhsa_reserve_vcc 1
		.amdhsa_float_round_mode_32 0
		.amdhsa_float_round_mode_16_64 0
		.amdhsa_float_denorm_mode_32 3
		.amdhsa_float_denorm_mode_16_64 3
		.amdhsa_fp16_overflow 0
		.amdhsa_memory_ordered 1
		.amdhsa_forward_progress 1
		.amdhsa_inst_pref_size 158
		.amdhsa_round_robin_scheduling 0
		.amdhsa_exception_fp_ieee_invalid_op 0
		.amdhsa_exception_fp_denorm_src 0
		.amdhsa_exception_fp_ieee_div_zero 0
		.amdhsa_exception_fp_ieee_overflow 0
		.amdhsa_exception_fp_ieee_underflow 0
		.amdhsa_exception_fp_ieee_inexact 0
		.amdhsa_exception_int_div_zero 0
	.end_amdhsa_kernel
	.section	.text._ZN9rocsolver6v33100L18trti2_kernel_smallILi16EfPfEEv13rocblas_fill_17rocblas_diagonal_T1_iil,"axG",@progbits,_ZN9rocsolver6v33100L18trti2_kernel_smallILi16EfPfEEv13rocblas_fill_17rocblas_diagonal_T1_iil,comdat
.Lfunc_end15:
	.size	_ZN9rocsolver6v33100L18trti2_kernel_smallILi16EfPfEEv13rocblas_fill_17rocblas_diagonal_T1_iil, .Lfunc_end15-_ZN9rocsolver6v33100L18trti2_kernel_smallILi16EfPfEEv13rocblas_fill_17rocblas_diagonal_T1_iil
                                        ; -- End function
	.set _ZN9rocsolver6v33100L18trti2_kernel_smallILi16EfPfEEv13rocblas_fill_17rocblas_diagonal_T1_iil.num_vgpr, 80
	.set _ZN9rocsolver6v33100L18trti2_kernel_smallILi16EfPfEEv13rocblas_fill_17rocblas_diagonal_T1_iil.num_agpr, 0
	.set _ZN9rocsolver6v33100L18trti2_kernel_smallILi16EfPfEEv13rocblas_fill_17rocblas_diagonal_T1_iil.numbered_sgpr, 24
	.set _ZN9rocsolver6v33100L18trti2_kernel_smallILi16EfPfEEv13rocblas_fill_17rocblas_diagonal_T1_iil.num_named_barrier, 0
	.set _ZN9rocsolver6v33100L18trti2_kernel_smallILi16EfPfEEv13rocblas_fill_17rocblas_diagonal_T1_iil.private_seg_size, 0
	.set _ZN9rocsolver6v33100L18trti2_kernel_smallILi16EfPfEEv13rocblas_fill_17rocblas_diagonal_T1_iil.uses_vcc, 1
	.set _ZN9rocsolver6v33100L18trti2_kernel_smallILi16EfPfEEv13rocblas_fill_17rocblas_diagonal_T1_iil.uses_flat_scratch, 0
	.set _ZN9rocsolver6v33100L18trti2_kernel_smallILi16EfPfEEv13rocblas_fill_17rocblas_diagonal_T1_iil.has_dyn_sized_stack, 0
	.set _ZN9rocsolver6v33100L18trti2_kernel_smallILi16EfPfEEv13rocblas_fill_17rocblas_diagonal_T1_iil.has_recursion, 0
	.set _ZN9rocsolver6v33100L18trti2_kernel_smallILi16EfPfEEv13rocblas_fill_17rocblas_diagonal_T1_iil.has_indirect_call, 0
	.section	.AMDGPU.csdata,"",@progbits
; Kernel info:
; codeLenInByte = 20128
; TotalNumSgprs: 26
; NumVgprs: 80
; ScratchSize: 0
; MemoryBound: 0
; FloatMode: 240
; IeeeMode: 1
; LDSByteSize: 128 bytes/workgroup (compile time only)
; SGPRBlocks: 0
; VGPRBlocks: 4
; NumSGPRsForWavesPerEU: 26
; NumVGPRsForWavesPerEU: 80
; NamedBarCnt: 0
; Occupancy: 12
; WaveLimiterHint : 0
; COMPUTE_PGM_RSRC2:SCRATCH_EN: 0
; COMPUTE_PGM_RSRC2:USER_SGPR: 2
; COMPUTE_PGM_RSRC2:TRAP_HANDLER: 0
; COMPUTE_PGM_RSRC2:TGID_X_EN: 1
; COMPUTE_PGM_RSRC2:TGID_Y_EN: 0
; COMPUTE_PGM_RSRC2:TGID_Z_EN: 0
; COMPUTE_PGM_RSRC2:TIDIG_COMP_CNT: 0
	.section	.text._ZN9rocsolver6v33100L18trti2_kernel_smallILi17EfPfEEv13rocblas_fill_17rocblas_diagonal_T1_iil,"axG",@progbits,_ZN9rocsolver6v33100L18trti2_kernel_smallILi17EfPfEEv13rocblas_fill_17rocblas_diagonal_T1_iil,comdat
	.globl	_ZN9rocsolver6v33100L18trti2_kernel_smallILi17EfPfEEv13rocblas_fill_17rocblas_diagonal_T1_iil ; -- Begin function _ZN9rocsolver6v33100L18trti2_kernel_smallILi17EfPfEEv13rocblas_fill_17rocblas_diagonal_T1_iil
	.p2align	8
	.type	_ZN9rocsolver6v33100L18trti2_kernel_smallILi17EfPfEEv13rocblas_fill_17rocblas_diagonal_T1_iil,@function
_ZN9rocsolver6v33100L18trti2_kernel_smallILi17EfPfEEv13rocblas_fill_17rocblas_diagonal_T1_iil: ; @_ZN9rocsolver6v33100L18trti2_kernel_smallILi17EfPfEEv13rocblas_fill_17rocblas_diagonal_T1_iil
; %bb.0:
	s_mov_b32 s2, exec_lo
	v_cmpx_gt_u32_e32 17, v0
	s_cbranch_execz .LBB16_406
; %bb.1:
	s_load_b256 s[20:27], s[0:1], 0x0
	s_wait_xcnt 0x0
	s_bfe_u32 s0, ttmp6, 0x4000c
	s_and_b32 s1, ttmp6, 15
	s_add_co_i32 s0, s0, 1
	s_getreg_b32 s2, hwreg(HW_REG_IB_STS2, 6, 4)
	s_mul_i32 s0, ttmp9, s0
	v_mov_b32_e32 v1, 0
	s_add_co_i32 s0, s1, s0
	s_delay_alu instid0(VALU_DEP_1)
	v_mov_b32_e32 v35, v1
	s_wait_kmcnt 0x0
	v_add3_u32 v66, s25, s25, v0
	s_ashr_i32 s1, s24, 31
	s_cmp_eq_u32 s2, 0
	s_cselect_b32 s2, ttmp9, s0
	s_delay_alu instid0(VALU_DEP_1)
	v_add_nc_u32_e32 v68, s25, v66
	s_ashr_i32 s3, s2, 31
	s_mov_b32 s0, s24
	s_mul_u64 s[2:3], s[26:27], s[2:3]
	s_lshl_b64 s[0:1], s[0:1], 2
	v_add_nc_u32_e32 v70, s25, v68
	s_lshl_b64 s[2:3], s[2:3], 2
	s_delay_alu instid0(SALU_CYCLE_1) | instskip(NEXT) | instid1(VALU_DEP_1)
	s_add_nc_u64 s[2:3], s[22:23], s[2:3]
	v_add_nc_u32_e32 v72, s25, v70
	s_add_nc_u64 s[18:19], s[2:3], s[0:1]
	s_mov_b32 s0, s25
	s_ashr_i32 s1, s25, 31
	global_load_b32 v2, v0, s[18:19] scale_offset
	v_add_nc_u32_e32 v74, s25, v72
	s_cmp_lg_u32 s21, 0x84
	s_cselect_b32 s17, -1, 0
	s_cmp_eq_u32 s21, 0x84
	s_delay_alu instid0(VALU_DEP_1) | instskip(NEXT) | instid1(VALU_DEP_1)
	v_add_nc_u32_e32 v76, s25, v74
	v_add_nc_u32_e32 v78, s25, v76
	s_delay_alu instid0(VALU_DEP_1) | instskip(NEXT) | instid1(VALU_DEP_1)
	v_add_nc_u32_e32 v80, s25, v78
	v_add_nc_u32_e32 v82, s25, v80
	s_delay_alu instid0(VALU_DEP_1) | instskip(NEXT) | instid1(VALU_DEP_1)
	v_dual_lshlrev_b32 v34, 2, v0 :: v_dual_add_nc_u32 v84, s25, v82
	v_add_nc_u64_e32 v[86:87], s[18:19], v[34:35]
	s_delay_alu instid0(VALU_DEP_2) | instskip(NEXT) | instid1(VALU_DEP_2)
	v_dual_mov_b32 v35, -1.0 :: v_dual_add_nc_u32 v88, s25, v84
	v_lshl_add_u64 v[90:91], s[0:1], 2, v[86:87]
	v_cmp_eq_u32_e64 s0, 0, v0
	s_delay_alu instid0(VALU_DEP_3)
	v_add_nc_u32_e32 v92, s25, v88
	s_clause 0x7
	global_load_b32 v3, v[90:91], off
	global_load_b32 v4, v66, s[18:19] scale_offset
	global_load_b32 v5, v68, s[18:19] scale_offset
	;; [unrolled: 1-line block ×7, first 2 shown]
	v_add_nc_u32_e32 v94, s25, v92
	s_delay_alu instid0(VALU_DEP_1) | instskip(NEXT) | instid1(VALU_DEP_1)
	v_add_nc_u32_e32 v96, s25, v94
	v_add_nc_u32_e32 v98, s25, v96
	s_clause 0x7
	global_load_b32 v11, v80, s[18:19] scale_offset
	global_load_b32 v12, v82, s[18:19] scale_offset
	;; [unrolled: 1-line block ×8, first 2 shown]
	s_cbranch_scc1 .LBB16_3
; %bb.2:
	v_cmp_eq_u32_e64 s1, 1, v0
	v_cmp_eq_u32_e64 s2, 2, v0
	;; [unrolled: 1-line block ×5, first 2 shown]
	s_wait_loadcnt 0xf
	v_cndmask_b32_e64 v19, v2, v3, s1
	v_cmp_eq_u32_e64 s6, 6, v0
	v_cmp_eq_u32_e64 s7, 7, v0
	;; [unrolled: 1-line block ×4, first 2 shown]
	s_wait_loadcnt 0xe
	v_cndmask_b32_e64 v19, v19, v4, s2
	v_cmp_eq_u32_e64 s10, 10, v0
	v_cmp_eq_u32_e64 s11, 11, v0
	;; [unrolled: 1-line block ×4, first 2 shown]
	s_wait_loadcnt 0xd
	v_cndmask_b32_e64 v19, v19, v5, s3
	v_cmp_eq_u32_e64 s14, 14, v0
	v_cmp_eq_u32_e64 s15, 15, v0
	;; [unrolled: 1-line block ×3, first 2 shown]
	s_wait_loadcnt 0xc
	v_cndmask_b32_e64 v19, v19, v6, s4
	s_wait_loadcnt 0xb
	s_delay_alu instid0(VALU_DEP_1) | instskip(SKIP_1) | instid1(VALU_DEP_1)
	v_cndmask_b32_e64 v19, v19, v7, s5
	s_wait_loadcnt 0xa
	v_cndmask_b32_e64 v19, v19, v8, s6
	s_wait_loadcnt 0x9
	s_delay_alu instid0(VALU_DEP_1) | instskip(SKIP_1) | instid1(VALU_DEP_1)
	v_cndmask_b32_e64 v19, v19, v9, s7
	;; [unrolled: 5-line block ×6, first 2 shown]
	s_wait_loadcnt 0x0
	v_cndmask_b32_e64 v19, v19, v18, s16
	s_delay_alu instid0(VALU_DEP_1) | instskip(SKIP_1) | instid1(VALU_DEP_2)
	v_div_scale_f32 v20, null, v19, v19, 1.0
	v_div_scale_f32 v23, vcc_lo, 1.0, v19, 1.0
	v_rcp_f32_e32 v21, v20
	v_nop
	s_delay_alu instid0(TRANS32_DEP_1) | instskip(NEXT) | instid1(VALU_DEP_1)
	v_fma_f32 v22, -v20, v21, 1.0
	v_fmac_f32_e32 v21, v22, v21
	s_delay_alu instid0(VALU_DEP_1) | instskip(NEXT) | instid1(VALU_DEP_1)
	v_mul_f32_e32 v22, v23, v21
	v_fma_f32 v24, -v20, v22, v23
	s_delay_alu instid0(VALU_DEP_1) | instskip(NEXT) | instid1(VALU_DEP_1)
	v_fmac_f32_e32 v22, v24, v21
	v_fma_f32 v20, -v20, v22, v23
	s_delay_alu instid0(VALU_DEP_1) | instskip(NEXT) | instid1(VALU_DEP_1)
	v_div_fmas_f32 v20, v20, v21, v22
	v_div_fixup_f32 v19, v20, v19, 1.0
	s_delay_alu instid0(VALU_DEP_1)
	v_dual_cndmask_b32 v18, v18, v19, s16 :: v_dual_cndmask_b32 v17, v17, v19, s15
	v_dual_cndmask_b32 v16, v16, v19, s14 :: v_dual_cndmask_b32 v15, v15, v19, s13
	;; [unrolled: 1-line block ×8, first 2 shown]
	v_cndmask_b32_e64 v2, v2, v19, s0
	v_xor_b32_e32 v35, 0x80000000, v19
.LBB16_3:
	v_dual_ashrrev_i32 v67, 31, v66 :: v_dual_ashrrev_i32 v69, 31, v68
	v_dual_ashrrev_i32 v71, 31, v70 :: v_dual_ashrrev_i32 v73, 31, v72
	;; [unrolled: 1-line block ×7, first 2 shown]
	v_ashrrev_i32_e32 v97, 31, v96
	v_add_nc_u32_e32 v103, 0x50, v34
	s_cmp_eq_u32 s20, 0x79
	ds_store_b32 v34, v35
	s_cbranch_scc1 .LBB16_7
; %bb.4:
	s_wait_loadcnt 0x0
	v_mov_b64_e32 v[64:65], v[32:33]
	v_mov_b64_e32 v[62:63], v[30:31]
	;; [unrolled: 1-line block ×16, first 2 shown]
	v_cmp_eq_u32_e64 s1, 16, v0
	ds_store_b32 v103, v17
	s_wait_dscnt 0x0
	s_barrier_signal -1
	s_barrier_wait -1
	s_and_saveexec_b32 s0, s1
	s_cbranch_execz .LBB16_11
; %bb.5:
	s_and_b32 vcc_lo, exec_lo, s17
	s_cbranch_vccz .LBB16_8
; %bb.6:
	v_cmp_eq_u32_e32 vcc_lo, 1, v0
	ds_load_b32 v35, v103
	v_cndmask_b32_e32 v34, v2, v3, vcc_lo
	v_cmp_eq_u32_e32 vcc_lo, 2, v0
	s_delay_alu instid0(VALU_DEP_2) | instskip(SKIP_1) | instid1(VALU_DEP_2)
	v_cndmask_b32_e32 v34, v34, v4, vcc_lo
	v_cmp_eq_u32_e32 vcc_lo, 3, v0
	v_cndmask_b32_e32 v34, v34, v5, vcc_lo
	v_cmp_eq_u32_e32 vcc_lo, 4, v0
	s_delay_alu instid0(VALU_DEP_2) | instskip(SKIP_1) | instid1(VALU_DEP_2)
	v_cndmask_b32_e32 v34, v34, v6, vcc_lo
	v_cmp_eq_u32_e32 vcc_lo, 5, v0
	;; [unrolled: 5-line block ×7, first 2 shown]
	v_cndmask_b32_e32 v34, v34, v17, vcc_lo
	v_cmp_eq_u32_e32 vcc_lo, 16, v0
	s_delay_alu instid0(VALU_DEP_2) | instskip(SKIP_1) | instid1(VALU_DEP_1)
	v_cndmask_b32_e32 v34, v34, v18, vcc_lo
	s_wait_dscnt 0x0
	v_mul_f32_e32 v49, v34, v35
	s_cbranch_execz .LBB16_9
	s_branch .LBB16_10
.LBB16_7:
                                        ; implicit-def: $vgpr34_vgpr35_vgpr36_vgpr37_vgpr38_vgpr39_vgpr40_vgpr41_vgpr42_vgpr43_vgpr44_vgpr45_vgpr46_vgpr47_vgpr48_vgpr49_vgpr50_vgpr51_vgpr52_vgpr53_vgpr54_vgpr55_vgpr56_vgpr57_vgpr58_vgpr59_vgpr60_vgpr61_vgpr62_vgpr63_vgpr64_vgpr65
	s_cbranch_execnz .LBB16_242
	s_branch .LBB16_405
.LBB16_8:
                                        ; implicit-def: $vgpr49
.LBB16_9:
	ds_load_b32 v49, v103
.LBB16_10:
	v_dual_mov_b32 v34, 0 :: v_dual_mov_b32 v35, v3
	v_dual_mov_b32 v37, v5 :: v_dual_mov_b32 v38, v6
	;; [unrolled: 1-line block ×3, first 2 shown]
	ds_load_b32 v50, v34 offset:60
	v_dual_mov_b32 v34, v2 :: v_dual_mov_b32 v36, v4
	v_dual_mov_b32 v41, v9 :: v_dual_mov_b32 v42, v10
	;; [unrolled: 1-line block ×5, first 2 shown]
	s_wait_dscnt 0x0
	v_dual_mul_f32 v49, v49, v50 :: v_dual_mov_b32 v50, v18
.LBB16_11:
	s_or_b32 exec_lo, exec_lo, s0
	v_cmp_lt_u32_e64 s0, 14, v0
	ds_store_b32 v103, v48
	s_wait_dscnt 0x0
	s_barrier_signal -1
	s_barrier_wait -1
	s_and_saveexec_b32 s2, s0
	s_cbranch_execz .LBB16_17
; %bb.12:
	s_and_not1_b32 vcc_lo, exec_lo, s17
	s_cbranch_vccnz .LBB16_14
; %bb.13:
	v_cmp_eq_u32_e32 vcc_lo, 1, v0
	ds_load_b32 v52, v103
	v_cndmask_b32_e32 v51, v34, v35, vcc_lo
	v_cmp_eq_u32_e32 vcc_lo, 2, v0
	s_delay_alu instid0(VALU_DEP_2) | instskip(SKIP_1) | instid1(VALU_DEP_2)
	v_cndmask_b32_e32 v51, v51, v36, vcc_lo
	v_cmp_eq_u32_e32 vcc_lo, 3, v0
	v_cndmask_b32_e32 v51, v51, v37, vcc_lo
	v_cmp_eq_u32_e32 vcc_lo, 4, v0
	s_delay_alu instid0(VALU_DEP_2) | instskip(SKIP_1) | instid1(VALU_DEP_2)
	v_cndmask_b32_e32 v51, v51, v38, vcc_lo
	v_cmp_eq_u32_e32 vcc_lo, 5, v0
	;; [unrolled: 5-line block ×7, first 2 shown]
	v_cndmask_b32_e32 v48, v48, v49, vcc_lo
	v_cmp_eq_u32_e32 vcc_lo, 16, v0
	s_delay_alu instid0(VALU_DEP_2) | instskip(SKIP_1) | instid1(VALU_DEP_1)
	v_cndmask_b32_e32 v48, v48, v50, vcc_lo
	s_wait_dscnt 0x0
	v_mul_f32_e32 v48, v48, v52
	s_cbranch_execz .LBB16_15
	s_branch .LBB16_16
.LBB16_14:
                                        ; implicit-def: $vgpr48
.LBB16_15:
	ds_load_b32 v48, v103
.LBB16_16:
	v_mov_b32_e32 v51, 0
	ds_load_2addr_b32 v[52:53], v51 offset0:14 offset1:35
	s_wait_dscnt 0x0
	v_fma_f32 v51, v49, v53, v48
	s_delay_alu instid0(VALU_DEP_1) | instskip(NEXT) | instid1(VALU_DEP_1)
	v_cndmask_b32_e64 v48, v48, v51, s1
	v_mul_f32_e32 v48, v48, v52
.LBB16_17:
	s_or_b32 exec_lo, exec_lo, s2
	v_cmp_lt_u32_e64 s1, 13, v0
	ds_store_b32 v103, v47
	s_wait_dscnt 0x0
	s_barrier_signal -1
	s_barrier_wait -1
	s_and_saveexec_b32 s4, s1
	s_cbranch_execz .LBB16_33
; %bb.18:
	s_and_not1_b32 vcc_lo, exec_lo, s17
	s_cbranch_vccnz .LBB16_20
; %bb.19:
	v_cmp_eq_u32_e32 vcc_lo, 1, v0
	ds_load_b32 v101, v103
	v_cndmask_b32_e32 v100, v34, v35, vcc_lo
	v_cmp_eq_u32_e32 vcc_lo, 2, v0
	s_delay_alu instid0(VALU_DEP_2) | instskip(SKIP_1) | instid1(VALU_DEP_2)
	v_cndmask_b32_e32 v100, v100, v36, vcc_lo
	v_cmp_eq_u32_e32 vcc_lo, 3, v0
	v_cndmask_b32_e32 v100, v100, v37, vcc_lo
	v_cmp_eq_u32_e32 vcc_lo, 4, v0
	s_delay_alu instid0(VALU_DEP_2) | instskip(SKIP_1) | instid1(VALU_DEP_2)
	v_cndmask_b32_e32 v100, v100, v38, vcc_lo
	v_cmp_eq_u32_e32 vcc_lo, 5, v0
	;; [unrolled: 5-line block ×7, first 2 shown]
	v_cndmask_b32_e32 v100, v100, v49, vcc_lo
	v_cmp_eq_u32_e32 vcc_lo, 16, v0
	s_delay_alu instid0(VALU_DEP_2) | instskip(SKIP_1) | instid1(VALU_DEP_1)
	v_cndmask_b32_e32 v100, v100, v50, vcc_lo
	s_wait_dscnt 0x0
	v_mul_f32_e32 v104, v100, v101
	s_cbranch_execz .LBB16_21
	s_branch .LBB16_22
.LBB16_20:
                                        ; implicit-def: $vgpr104
.LBB16_21:
	ds_load_b32 v104, v103
.LBB16_22:
	s_and_saveexec_b32 s5, s0
	s_cbranch_execz .LBB16_32
; %bb.23:
	v_dual_add_nc_u32 v100, -15, v0 :: v_dual_add_nc_u32 v101, -14, v0
	s_delay_alu instid0(VALU_DEP_1)
	v_cmp_lt_u32_e32 vcc_lo, 6, v100
	v_mov_b32_e32 v100, 14
	s_and_saveexec_b32 s0, vcc_lo
	s_cbranch_execz .LBB16_27
; %bb.24:
	v_and_b32_e32 v100, -8, v101
	s_mov_b32 s6, 0
	s_mov_b64 s[2:3], 21
	s_movk_i32 s7, 0x88
	s_delay_alu instid0(VALU_DEP_1)
	v_sub_nc_u32_e32 v102, 0, v100
.LBB16_25:                              ; =>This Inner Loop Header: Depth=1
	s_add_co_i32 m0, s2, -7
	v_movrels_b32_e32 v100, v34
	v_mov_b32_e32 v105, s7
	s_add_co_i32 m0, s2, -6
	s_add_co_i32 s7, s7, 32
	ds_load_2addr_b64 v[106:109], v105 offset1:1
	s_wait_dscnt 0x0
	v_fmac_f32_e32 v104, v100, v106
	v_movrels_b32_e32 v100, v34
	s_add_co_i32 m0, s2, -5
	s_delay_alu instid0(VALU_DEP_1) | instskip(SKIP_2) | instid1(VALU_DEP_1)
	v_fmac_f32_e32 v104, v100, v107
	v_movrels_b32_e32 v100, v34
	s_add_co_i32 m0, s2, -4
	v_fmac_f32_e32 v104, v100, v108
	v_movrels_b32_e32 v100, v34
	s_add_co_i32 m0, s2, -3
	s_delay_alu instid0(VALU_DEP_1) | instskip(SKIP_4) | instid1(VALU_DEP_1)
	v_fmac_f32_e32 v104, v100, v109
	ds_load_2addr_b64 v[106:109], v105 offset0:2 offset1:3
	v_movrels_b32_e32 v100, v34
	s_add_co_i32 m0, s2, -2
	s_wait_dscnt 0x0
	v_fmac_f32_e32 v104, v100, v106
	v_movrels_b32_e32 v100, v34
	s_add_co_i32 m0, s2, -1
	s_delay_alu instid0(VALU_DEP_1) | instskip(SKIP_3) | instid1(SALU_CYCLE_1)
	v_fmac_f32_e32 v104, v100, v107
	v_movrels_b32_e32 v100, v34
	s_mov_b32 m0, s2
	s_add_nc_u64 s[2:3], s[2:3], 8
	s_add_co_i32 s8, s2, -7
	s_delay_alu instid0(VALU_DEP_1) | instskip(SKIP_1) | instid1(VALU_DEP_1)
	v_fmac_f32_e32 v104, v100, v108
	v_movrels_b32_e32 v100, v34
	v_dual_fmac_f32 v104, v100, v109 :: v_dual_add_nc_u32 v100, s2, v102
	s_delay_alu instid0(VALU_DEP_1) | instskip(SKIP_2) | instid1(SALU_CYCLE_1)
	v_cmp_eq_u32_e32 vcc_lo, 21, v100
	v_mov_b32_e32 v100, s8
	s_or_b32 s6, vcc_lo, s6
	s_and_not1_b32 exec_lo, exec_lo, s6
	s_cbranch_execnz .LBB16_25
; %bb.26:
	s_or_b32 exec_lo, exec_lo, s6
.LBB16_27:
	s_delay_alu instid0(SALU_CYCLE_1) | instskip(SKIP_3) | instid1(VALU_DEP_1)
	s_or_b32 exec_lo, exec_lo, s0
	v_and_b32_e32 v51, 7, v101
	s_mov_b32 s2, 0
	s_mov_b32 s0, exec_lo
	v_cmpx_ne_u32_e32 0, v51
	s_cbranch_execz .LBB16_31
; %bb.28:
	v_lshl_add_u32 v52, v100, 2, 0x50
	v_mov_b32_e32 v101, 0
.LBB16_29:                              ; =>This Inner Loop Header: Depth=1
	v_cmp_eq_u32_e32 vcc_lo, 1, v100
	ds_load_b32 v54, v52
	v_dual_add_nc_u32 v52, 4, v52 :: v_dual_add_nc_u32 v51, -1, v51
	v_cndmask_b32_e32 v53, v34, v35, vcc_lo
	v_cmp_eq_u32_e32 vcc_lo, 2, v100
	s_delay_alu instid0(VALU_DEP_2) | instskip(SKIP_1) | instid1(VALU_DEP_2)
	v_cndmask_b32_e32 v53, v53, v36, vcc_lo
	v_cmp_eq_u32_e32 vcc_lo, 3, v100
	v_cndmask_b32_e32 v53, v53, v37, vcc_lo
	v_cmp_eq_u32_e32 vcc_lo, 4, v100
	s_delay_alu instid0(VALU_DEP_2) | instskip(SKIP_1) | instid1(VALU_DEP_2)
	v_cndmask_b32_e32 v53, v53, v38, vcc_lo
	v_cmp_eq_u32_e32 vcc_lo, 5, v100
	;; [unrolled: 5-line block ×7, first 2 shown]
	v_cndmask_b32_e32 v53, v53, v49, vcc_lo
	v_cmp_eq_u32_e32 vcc_lo, 16, v100
	v_add_nc_u64_e32 v[100:101], 1, v[100:101]
	s_delay_alu instid0(VALU_DEP_3) | instskip(SKIP_2) | instid1(VALU_DEP_2)
	v_cndmask_b32_e32 v53, v53, v50, vcc_lo
	v_cmp_eq_u32_e32 vcc_lo, 0, v51
	s_wait_dscnt 0x0
	v_fmac_f32_e32 v104, v53, v54
	s_or_b32 s2, vcc_lo, s2
	s_delay_alu instid0(SALU_CYCLE_1)
	s_and_not1_b32 exec_lo, exec_lo, s2
	s_cbranch_execnz .LBB16_29
; %bb.30:
	s_or_b32 exec_lo, exec_lo, s2
.LBB16_31:
	s_delay_alu instid0(SALU_CYCLE_1)
	s_or_b32 exec_lo, exec_lo, s0
.LBB16_32:
	s_delay_alu instid0(SALU_CYCLE_1)
	s_or_b32 exec_lo, exec_lo, s5
	v_mov_b32_e32 v47, 0
	ds_load_b32 v47, v47 offset:52
	s_wait_dscnt 0x0
	v_mul_f32_e32 v47, v104, v47
.LBB16_33:
	s_or_b32 exec_lo, exec_lo, s4
	v_cmp_lt_u32_e64 s0, 12, v0
	ds_store_b32 v103, v46
	s_wait_dscnt 0x0
	s_barrier_signal -1
	s_barrier_wait -1
	s_and_saveexec_b32 s4, s0
	s_cbranch_execz .LBB16_49
; %bb.34:
	s_and_not1_b32 vcc_lo, exec_lo, s17
	s_cbranch_vccnz .LBB16_36
; %bb.35:
	v_cmp_eq_u32_e32 vcc_lo, 1, v0
	ds_load_b32 v101, v103
	v_cndmask_b32_e32 v100, v34, v35, vcc_lo
	v_cmp_eq_u32_e32 vcc_lo, 2, v0
	s_delay_alu instid0(VALU_DEP_2) | instskip(SKIP_1) | instid1(VALU_DEP_2)
	v_cndmask_b32_e32 v100, v100, v36, vcc_lo
	v_cmp_eq_u32_e32 vcc_lo, 3, v0
	v_cndmask_b32_e32 v100, v100, v37, vcc_lo
	v_cmp_eq_u32_e32 vcc_lo, 4, v0
	s_delay_alu instid0(VALU_DEP_2) | instskip(SKIP_1) | instid1(VALU_DEP_2)
	v_cndmask_b32_e32 v100, v100, v38, vcc_lo
	v_cmp_eq_u32_e32 vcc_lo, 5, v0
	;; [unrolled: 5-line block ×7, first 2 shown]
	v_cndmask_b32_e32 v100, v100, v49, vcc_lo
	v_cmp_eq_u32_e32 vcc_lo, 16, v0
	s_delay_alu instid0(VALU_DEP_2) | instskip(SKIP_1) | instid1(VALU_DEP_1)
	v_cndmask_b32_e32 v100, v100, v50, vcc_lo
	s_wait_dscnt 0x0
	v_mul_f32_e32 v104, v100, v101
	s_cbranch_execz .LBB16_37
	s_branch .LBB16_38
.LBB16_36:
                                        ; implicit-def: $vgpr104
.LBB16_37:
	ds_load_b32 v104, v103
.LBB16_38:
	s_and_saveexec_b32 s5, s1
	s_cbranch_execz .LBB16_48
; %bb.39:
	v_dual_add_nc_u32 v100, -14, v0 :: v_dual_add_nc_u32 v101, -13, v0
	s_delay_alu instid0(VALU_DEP_1)
	v_cmp_lt_u32_e32 vcc_lo, 6, v100
	v_mov_b32_e32 v100, 13
	s_and_saveexec_b32 s1, vcc_lo
	s_cbranch_execz .LBB16_43
; %bb.40:
	v_and_b32_e32 v100, -8, v101
	s_mov_b32 s6, 0
	s_mov_b64 s[2:3], 20
	s_movk_i32 s7, 0x84
	s_delay_alu instid0(VALU_DEP_1)
	v_sub_nc_u32_e32 v102, 0, v100
.LBB16_41:                              ; =>This Inner Loop Header: Depth=1
	s_add_co_i32 m0, s2, -7
	v_movrels_b32_e32 v100, v34
	v_mov_b32_e32 v105, s7
	s_add_co_i32 m0, s2, -6
	s_add_co_i32 s7, s7, 32
	ds_load_2addr_b32 v[106:107], v105 offset1:1
	s_wait_dscnt 0x0
	v_fmac_f32_e32 v104, v100, v106
	v_movrels_b32_e32 v100, v34
	s_add_co_i32 m0, s2, -5
	s_delay_alu instid0(VALU_DEP_1) | instskip(SKIP_4) | instid1(VALU_DEP_1)
	v_fmac_f32_e32 v104, v100, v107
	ds_load_2addr_b32 v[106:107], v105 offset0:2 offset1:3
	v_movrels_b32_e32 v100, v34
	s_add_co_i32 m0, s2, -4
	s_wait_dscnt 0x0
	v_fmac_f32_e32 v104, v100, v106
	v_movrels_b32_e32 v100, v34
	s_add_co_i32 m0, s2, -3
	s_delay_alu instid0(VALU_DEP_1) | instskip(SKIP_4) | instid1(VALU_DEP_1)
	v_fmac_f32_e32 v104, v100, v107
	ds_load_2addr_b32 v[106:107], v105 offset0:4 offset1:5
	v_movrels_b32_e32 v100, v34
	s_add_co_i32 m0, s2, -2
	s_wait_dscnt 0x0
	v_fmac_f32_e32 v104, v100, v106
	v_movrels_b32_e32 v100, v34
	s_add_co_i32 m0, s2, -1
	s_delay_alu instid0(VALU_DEP_1) | instskip(SKIP_4) | instid1(SALU_CYCLE_1)
	v_fmac_f32_e32 v104, v100, v107
	ds_load_2addr_b32 v[106:107], v105 offset0:6 offset1:7
	v_movrels_b32_e32 v100, v34
	s_mov_b32 m0, s2
	s_add_nc_u64 s[2:3], s[2:3], 8
	s_add_co_i32 s8, s2, -7
	s_wait_dscnt 0x0
	v_fmac_f32_e32 v104, v100, v106
	v_movrels_b32_e32 v100, v34
	s_delay_alu instid0(VALU_DEP_1) | instskip(NEXT) | instid1(VALU_DEP_1)
	v_dual_fmac_f32 v104, v100, v107 :: v_dual_add_nc_u32 v100, s2, v102
	v_cmp_eq_u32_e32 vcc_lo, 20, v100
	v_mov_b32_e32 v100, s8
	s_or_b32 s6, vcc_lo, s6
	s_delay_alu instid0(SALU_CYCLE_1)
	s_and_not1_b32 exec_lo, exec_lo, s6
	s_cbranch_execnz .LBB16_41
; %bb.42:
	s_or_b32 exec_lo, exec_lo, s6
.LBB16_43:
	s_delay_alu instid0(SALU_CYCLE_1) | instskip(SKIP_3) | instid1(VALU_DEP_1)
	s_or_b32 exec_lo, exec_lo, s1
	v_and_b32_e32 v51, 7, v101
	s_mov_b32 s2, 0
	s_mov_b32 s1, exec_lo
	v_cmpx_ne_u32_e32 0, v51
	s_cbranch_execz .LBB16_47
; %bb.44:
	v_lshl_add_u32 v52, v100, 2, 0x50
	v_mov_b32_e32 v101, 0
.LBB16_45:                              ; =>This Inner Loop Header: Depth=1
	v_cmp_eq_u32_e32 vcc_lo, 1, v100
	ds_load_b32 v54, v52
	v_dual_add_nc_u32 v52, 4, v52 :: v_dual_add_nc_u32 v51, -1, v51
	v_cndmask_b32_e32 v53, v34, v35, vcc_lo
	v_cmp_eq_u32_e32 vcc_lo, 2, v100
	s_delay_alu instid0(VALU_DEP_2) | instskip(SKIP_1) | instid1(VALU_DEP_2)
	v_cndmask_b32_e32 v53, v53, v36, vcc_lo
	v_cmp_eq_u32_e32 vcc_lo, 3, v100
	v_cndmask_b32_e32 v53, v53, v37, vcc_lo
	v_cmp_eq_u32_e32 vcc_lo, 4, v100
	s_delay_alu instid0(VALU_DEP_2) | instskip(SKIP_1) | instid1(VALU_DEP_2)
	v_cndmask_b32_e32 v53, v53, v38, vcc_lo
	v_cmp_eq_u32_e32 vcc_lo, 5, v100
	;; [unrolled: 5-line block ×7, first 2 shown]
	v_cndmask_b32_e32 v53, v53, v49, vcc_lo
	v_cmp_eq_u32_e32 vcc_lo, 16, v100
	v_add_nc_u64_e32 v[100:101], 1, v[100:101]
	s_delay_alu instid0(VALU_DEP_3) | instskip(SKIP_2) | instid1(VALU_DEP_2)
	v_cndmask_b32_e32 v53, v53, v50, vcc_lo
	v_cmp_eq_u32_e32 vcc_lo, 0, v51
	s_wait_dscnt 0x0
	v_fmac_f32_e32 v104, v53, v54
	s_or_b32 s2, vcc_lo, s2
	s_delay_alu instid0(SALU_CYCLE_1)
	s_and_not1_b32 exec_lo, exec_lo, s2
	s_cbranch_execnz .LBB16_45
; %bb.46:
	s_or_b32 exec_lo, exec_lo, s2
.LBB16_47:
	s_delay_alu instid0(SALU_CYCLE_1)
	s_or_b32 exec_lo, exec_lo, s1
.LBB16_48:
	s_delay_alu instid0(SALU_CYCLE_1)
	s_or_b32 exec_lo, exec_lo, s5
	v_mov_b32_e32 v46, 0
	ds_load_b32 v46, v46 offset:48
	s_wait_dscnt 0x0
	v_mul_f32_e32 v46, v104, v46
.LBB16_49:
	s_or_b32 exec_lo, exec_lo, s4
	v_cmp_lt_u32_e64 s1, 11, v0
	ds_store_b32 v103, v45
	s_wait_dscnt 0x0
	s_barrier_signal -1
	s_barrier_wait -1
	s_and_saveexec_b32 s4, s1
	s_cbranch_execz .LBB16_65
; %bb.50:
	s_and_not1_b32 vcc_lo, exec_lo, s17
	s_cbranch_vccnz .LBB16_52
; %bb.51:
	v_cmp_eq_u32_e32 vcc_lo, 1, v0
	ds_load_b32 v101, v103
	v_cndmask_b32_e32 v100, v34, v35, vcc_lo
	v_cmp_eq_u32_e32 vcc_lo, 2, v0
	s_delay_alu instid0(VALU_DEP_2) | instskip(SKIP_1) | instid1(VALU_DEP_2)
	v_cndmask_b32_e32 v100, v100, v36, vcc_lo
	v_cmp_eq_u32_e32 vcc_lo, 3, v0
	v_cndmask_b32_e32 v100, v100, v37, vcc_lo
	v_cmp_eq_u32_e32 vcc_lo, 4, v0
	s_delay_alu instid0(VALU_DEP_2) | instskip(SKIP_1) | instid1(VALU_DEP_2)
	v_cndmask_b32_e32 v100, v100, v38, vcc_lo
	v_cmp_eq_u32_e32 vcc_lo, 5, v0
	;; [unrolled: 5-line block ×7, first 2 shown]
	v_cndmask_b32_e32 v100, v100, v49, vcc_lo
	v_cmp_eq_u32_e32 vcc_lo, 16, v0
	s_delay_alu instid0(VALU_DEP_2) | instskip(SKIP_1) | instid1(VALU_DEP_1)
	v_cndmask_b32_e32 v100, v100, v50, vcc_lo
	s_wait_dscnt 0x0
	v_mul_f32_e32 v104, v100, v101
	s_cbranch_execz .LBB16_53
	s_branch .LBB16_54
.LBB16_52:
                                        ; implicit-def: $vgpr104
.LBB16_53:
	ds_load_b32 v104, v103
.LBB16_54:
	s_and_saveexec_b32 s5, s0
	s_cbranch_execz .LBB16_64
; %bb.55:
	v_dual_add_nc_u32 v100, -13, v0 :: v_dual_add_nc_u32 v101, -12, v0
	s_delay_alu instid0(VALU_DEP_1)
	v_cmp_lt_u32_e32 vcc_lo, 6, v100
	v_mov_b32_e32 v100, 12
	s_and_saveexec_b32 s0, vcc_lo
	s_cbranch_execz .LBB16_59
; %bb.56:
	v_and_b32_e32 v100, -8, v101
	s_mov_b32 s6, 0
	s_mov_b64 s[2:3], 19
	s_movk_i32 s7, 0x80
	s_delay_alu instid0(VALU_DEP_1)
	v_sub_nc_u32_e32 v102, 0, v100
.LBB16_57:                              ; =>This Inner Loop Header: Depth=1
	s_add_co_i32 m0, s2, -7
	v_movrels_b32_e32 v105, v34
	v_mov_b32_e32 v100, s7
	s_add_co_i32 m0, s2, -6
	s_add_co_i32 s7, s7, 32
	v_movrels_b32_e32 v114, v34
	s_add_co_i32 m0, s2, -5
	ds_load_b128 v[106:109], v100
	ds_load_b128 v[110:113], v100 offset:16
	v_movrels_b32_e32 v100, v34
	s_add_co_i32 m0, s2, -4
	s_wait_dscnt 0x1
	v_fmac_f32_e32 v104, v105, v106
	v_movrels_b32_e32 v105, v34
	s_add_co_i32 m0, s2, -3
	s_delay_alu instid0(VALU_DEP_2) | instskip(NEXT) | instid1(VALU_DEP_1)
	v_fmac_f32_e32 v104, v114, v107
	v_fmac_f32_e32 v104, v100, v108
	v_movrels_b32_e32 v100, v34
	s_add_co_i32 m0, s2, -2
	s_delay_alu instid0(VALU_DEP_2) | instskip(SKIP_3) | instid1(VALU_DEP_2)
	v_fmac_f32_e32 v104, v105, v109
	v_movrels_b32_e32 v105, v34
	s_add_co_i32 m0, s2, -1
	s_wait_dscnt 0x0
	v_fmac_f32_e32 v104, v100, v110
	v_movrels_b32_e32 v100, v34
	s_mov_b32 m0, s2
	s_add_nc_u64 s[2:3], s[2:3], 8
	v_movrels_b32_e32 v106, v34
	v_dual_fmac_f32 v104, v105, v111 :: v_dual_add_nc_u32 v105, s2, v102
	s_add_co_i32 s8, s2, -7
	s_delay_alu instid0(VALU_DEP_1) | instskip(NEXT) | instid1(VALU_DEP_2)
	v_fmac_f32_e32 v104, v100, v112
	v_cmp_eq_u32_e32 vcc_lo, 19, v105
	s_delay_alu instid0(VALU_DEP_2) | instskip(SKIP_1) | instid1(SALU_CYCLE_1)
	v_dual_mov_b32 v100, s8 :: v_dual_fmac_f32 v104, v106, v113
	s_or_b32 s6, vcc_lo, s6
	s_and_not1_b32 exec_lo, exec_lo, s6
	s_cbranch_execnz .LBB16_57
; %bb.58:
	s_or_b32 exec_lo, exec_lo, s6
.LBB16_59:
	s_delay_alu instid0(SALU_CYCLE_1) | instskip(SKIP_3) | instid1(VALU_DEP_1)
	s_or_b32 exec_lo, exec_lo, s0
	v_and_b32_e32 v51, 7, v101
	s_mov_b32 s2, 0
	s_mov_b32 s0, exec_lo
	v_cmpx_ne_u32_e32 0, v51
	s_cbranch_execz .LBB16_63
; %bb.60:
	v_lshl_add_u32 v52, v100, 2, 0x50
	v_mov_b32_e32 v101, 0
.LBB16_61:                              ; =>This Inner Loop Header: Depth=1
	v_cmp_eq_u32_e32 vcc_lo, 1, v100
	ds_load_b32 v54, v52
	v_dual_add_nc_u32 v52, 4, v52 :: v_dual_add_nc_u32 v51, -1, v51
	v_cndmask_b32_e32 v53, v34, v35, vcc_lo
	v_cmp_eq_u32_e32 vcc_lo, 2, v100
	s_delay_alu instid0(VALU_DEP_2) | instskip(SKIP_1) | instid1(VALU_DEP_2)
	v_cndmask_b32_e32 v53, v53, v36, vcc_lo
	v_cmp_eq_u32_e32 vcc_lo, 3, v100
	v_cndmask_b32_e32 v53, v53, v37, vcc_lo
	v_cmp_eq_u32_e32 vcc_lo, 4, v100
	s_delay_alu instid0(VALU_DEP_2) | instskip(SKIP_1) | instid1(VALU_DEP_2)
	v_cndmask_b32_e32 v53, v53, v38, vcc_lo
	v_cmp_eq_u32_e32 vcc_lo, 5, v100
	;; [unrolled: 5-line block ×7, first 2 shown]
	v_cndmask_b32_e32 v53, v53, v49, vcc_lo
	v_cmp_eq_u32_e32 vcc_lo, 16, v100
	v_add_nc_u64_e32 v[100:101], 1, v[100:101]
	s_delay_alu instid0(VALU_DEP_3) | instskip(SKIP_2) | instid1(VALU_DEP_2)
	v_cndmask_b32_e32 v53, v53, v50, vcc_lo
	v_cmp_eq_u32_e32 vcc_lo, 0, v51
	s_wait_dscnt 0x0
	v_fmac_f32_e32 v104, v53, v54
	s_or_b32 s2, vcc_lo, s2
	s_delay_alu instid0(SALU_CYCLE_1)
	s_and_not1_b32 exec_lo, exec_lo, s2
	s_cbranch_execnz .LBB16_61
; %bb.62:
	s_or_b32 exec_lo, exec_lo, s2
.LBB16_63:
	s_delay_alu instid0(SALU_CYCLE_1)
	s_or_b32 exec_lo, exec_lo, s0
.LBB16_64:
	s_delay_alu instid0(SALU_CYCLE_1)
	s_or_b32 exec_lo, exec_lo, s5
	v_mov_b32_e32 v45, 0
	ds_load_b32 v45, v45 offset:44
	s_wait_dscnt 0x0
	v_mul_f32_e32 v45, v104, v45
.LBB16_65:
	s_or_b32 exec_lo, exec_lo, s4
	v_cmp_lt_u32_e64 s0, 10, v0
	ds_store_b32 v103, v44
	s_wait_dscnt 0x0
	s_barrier_signal -1
	s_barrier_wait -1
	s_and_saveexec_b32 s4, s0
	s_cbranch_execz .LBB16_81
; %bb.66:
	s_and_not1_b32 vcc_lo, exec_lo, s17
	s_cbranch_vccnz .LBB16_68
; %bb.67:
	v_cmp_eq_u32_e32 vcc_lo, 1, v0
	ds_load_b32 v101, v103
	v_cndmask_b32_e32 v100, v34, v35, vcc_lo
	v_cmp_eq_u32_e32 vcc_lo, 2, v0
	s_delay_alu instid0(VALU_DEP_2) | instskip(SKIP_1) | instid1(VALU_DEP_2)
	v_cndmask_b32_e32 v100, v100, v36, vcc_lo
	v_cmp_eq_u32_e32 vcc_lo, 3, v0
	v_cndmask_b32_e32 v100, v100, v37, vcc_lo
	v_cmp_eq_u32_e32 vcc_lo, 4, v0
	s_delay_alu instid0(VALU_DEP_2) | instskip(SKIP_1) | instid1(VALU_DEP_2)
	v_cndmask_b32_e32 v100, v100, v38, vcc_lo
	v_cmp_eq_u32_e32 vcc_lo, 5, v0
	;; [unrolled: 5-line block ×7, first 2 shown]
	v_cndmask_b32_e32 v100, v100, v49, vcc_lo
	v_cmp_eq_u32_e32 vcc_lo, 16, v0
	s_delay_alu instid0(VALU_DEP_2) | instskip(SKIP_1) | instid1(VALU_DEP_1)
	v_cndmask_b32_e32 v100, v100, v50, vcc_lo
	s_wait_dscnt 0x0
	v_mul_f32_e32 v104, v100, v101
	s_cbranch_execz .LBB16_69
	s_branch .LBB16_70
.LBB16_68:
                                        ; implicit-def: $vgpr104
.LBB16_69:
	ds_load_b32 v104, v103
.LBB16_70:
	s_and_saveexec_b32 s5, s1
	s_cbranch_execz .LBB16_80
; %bb.71:
	v_dual_add_nc_u32 v100, -12, v0 :: v_dual_add_nc_u32 v101, -11, v0
	s_delay_alu instid0(VALU_DEP_1)
	v_cmp_lt_u32_e32 vcc_lo, 6, v100
	v_mov_b32_e32 v100, 11
	s_and_saveexec_b32 s1, vcc_lo
	s_cbranch_execz .LBB16_75
; %bb.72:
	v_and_b32_e32 v100, -8, v101
	s_mov_b32 s6, 0
	s_mov_b64 s[2:3], 18
	s_movk_i32 s7, 0x7c
	s_delay_alu instid0(VALU_DEP_1)
	v_sub_nc_u32_e32 v102, 0, v100
.LBB16_73:                              ; =>This Inner Loop Header: Depth=1
	s_add_co_i32 m0, s2, -7
	v_movrels_b32_e32 v105, v34
	v_mov_b32_e32 v100, s7
	s_add_co_i32 m0, s2, -6
	s_add_co_i32 s7, s7, 32
	v_movrels_b32_e32 v114, v34
	ds_load_2addr_b32 v[106:107], v100 offset1:1
	ds_load_2addr_b32 v[108:109], v100 offset0:2 offset1:3
	s_add_co_i32 m0, s2, -5
	s_wait_dscnt 0x1
	v_fmac_f32_e32 v104, v105, v106
	ds_load_2addr_b32 v[110:111], v100 offset0:4 offset1:5
	ds_load_2addr_b32 v[112:113], v100 offset0:6 offset1:7
	v_movrels_b32_e32 v100, v34
	s_add_co_i32 m0, s2, -4
	v_fmac_f32_e32 v104, v114, v107
	v_movrels_b32_e32 v105, v34
	s_add_co_i32 m0, s2, -3
	s_wait_dscnt 0x2
	s_delay_alu instid0(VALU_DEP_2) | instskip(SKIP_2) | instid1(VALU_DEP_2)
	v_fmac_f32_e32 v104, v100, v108
	v_movrels_b32_e32 v100, v34
	s_add_co_i32 m0, s2, -2
	v_fmac_f32_e32 v104, v105, v109
	v_movrels_b32_e32 v105, v34
	s_add_co_i32 m0, s2, -1
	s_wait_dscnt 0x1
	s_delay_alu instid0(VALU_DEP_2)
	v_fmac_f32_e32 v104, v100, v110
	v_movrels_b32_e32 v100, v34
	s_mov_b32 m0, s2
	s_add_nc_u64 s[2:3], s[2:3], 8
	v_movrels_b32_e32 v106, v34
	v_dual_fmac_f32 v104, v105, v111 :: v_dual_add_nc_u32 v105, s2, v102
	s_add_co_i32 s8, s2, -7
	s_wait_dscnt 0x0
	s_delay_alu instid0(VALU_DEP_1) | instskip(NEXT) | instid1(VALU_DEP_2)
	v_fmac_f32_e32 v104, v100, v112
	v_cmp_eq_u32_e32 vcc_lo, 18, v105
	s_delay_alu instid0(VALU_DEP_2) | instskip(SKIP_1) | instid1(SALU_CYCLE_1)
	v_dual_mov_b32 v100, s8 :: v_dual_fmac_f32 v104, v106, v113
	s_or_b32 s6, vcc_lo, s6
	s_and_not1_b32 exec_lo, exec_lo, s6
	s_cbranch_execnz .LBB16_73
; %bb.74:
	s_or_b32 exec_lo, exec_lo, s6
.LBB16_75:
	s_delay_alu instid0(SALU_CYCLE_1) | instskip(SKIP_3) | instid1(VALU_DEP_1)
	s_or_b32 exec_lo, exec_lo, s1
	v_and_b32_e32 v51, 7, v101
	s_mov_b32 s2, 0
	s_mov_b32 s1, exec_lo
	v_cmpx_ne_u32_e32 0, v51
	s_cbranch_execz .LBB16_79
; %bb.76:
	v_lshl_add_u32 v52, v100, 2, 0x50
	v_mov_b32_e32 v101, 0
.LBB16_77:                              ; =>This Inner Loop Header: Depth=1
	v_cmp_eq_u32_e32 vcc_lo, 1, v100
	ds_load_b32 v54, v52
	v_dual_add_nc_u32 v52, 4, v52 :: v_dual_add_nc_u32 v51, -1, v51
	v_cndmask_b32_e32 v53, v34, v35, vcc_lo
	v_cmp_eq_u32_e32 vcc_lo, 2, v100
	s_delay_alu instid0(VALU_DEP_2) | instskip(SKIP_1) | instid1(VALU_DEP_2)
	v_cndmask_b32_e32 v53, v53, v36, vcc_lo
	v_cmp_eq_u32_e32 vcc_lo, 3, v100
	v_cndmask_b32_e32 v53, v53, v37, vcc_lo
	v_cmp_eq_u32_e32 vcc_lo, 4, v100
	s_delay_alu instid0(VALU_DEP_2) | instskip(SKIP_1) | instid1(VALU_DEP_2)
	v_cndmask_b32_e32 v53, v53, v38, vcc_lo
	v_cmp_eq_u32_e32 vcc_lo, 5, v100
	;; [unrolled: 5-line block ×7, first 2 shown]
	v_cndmask_b32_e32 v53, v53, v49, vcc_lo
	v_cmp_eq_u32_e32 vcc_lo, 16, v100
	v_add_nc_u64_e32 v[100:101], 1, v[100:101]
	s_delay_alu instid0(VALU_DEP_3) | instskip(SKIP_2) | instid1(VALU_DEP_2)
	v_cndmask_b32_e32 v53, v53, v50, vcc_lo
	v_cmp_eq_u32_e32 vcc_lo, 0, v51
	s_wait_dscnt 0x0
	v_fmac_f32_e32 v104, v53, v54
	s_or_b32 s2, vcc_lo, s2
	s_delay_alu instid0(SALU_CYCLE_1)
	s_and_not1_b32 exec_lo, exec_lo, s2
	s_cbranch_execnz .LBB16_77
; %bb.78:
	s_or_b32 exec_lo, exec_lo, s2
.LBB16_79:
	s_delay_alu instid0(SALU_CYCLE_1)
	s_or_b32 exec_lo, exec_lo, s1
.LBB16_80:
	s_delay_alu instid0(SALU_CYCLE_1)
	s_or_b32 exec_lo, exec_lo, s5
	v_mov_b32_e32 v44, 0
	ds_load_b32 v44, v44 offset:40
	s_wait_dscnt 0x0
	v_mul_f32_e32 v44, v104, v44
.LBB16_81:
	s_or_b32 exec_lo, exec_lo, s4
	v_cmp_lt_u32_e64 s1, 9, v0
	ds_store_b32 v103, v43
	s_wait_dscnt 0x0
	s_barrier_signal -1
	s_barrier_wait -1
	s_and_saveexec_b32 s4, s1
	s_cbranch_execz .LBB16_97
; %bb.82:
	s_and_not1_b32 vcc_lo, exec_lo, s17
	s_cbranch_vccnz .LBB16_84
; %bb.83:
	v_cmp_eq_u32_e32 vcc_lo, 1, v0
	ds_load_b32 v101, v103
	v_cndmask_b32_e32 v100, v34, v35, vcc_lo
	v_cmp_eq_u32_e32 vcc_lo, 2, v0
	s_delay_alu instid0(VALU_DEP_2) | instskip(SKIP_1) | instid1(VALU_DEP_2)
	v_cndmask_b32_e32 v100, v100, v36, vcc_lo
	v_cmp_eq_u32_e32 vcc_lo, 3, v0
	v_cndmask_b32_e32 v100, v100, v37, vcc_lo
	v_cmp_eq_u32_e32 vcc_lo, 4, v0
	s_delay_alu instid0(VALU_DEP_2) | instskip(SKIP_1) | instid1(VALU_DEP_2)
	v_cndmask_b32_e32 v100, v100, v38, vcc_lo
	v_cmp_eq_u32_e32 vcc_lo, 5, v0
	;; [unrolled: 5-line block ×7, first 2 shown]
	v_cndmask_b32_e32 v100, v100, v49, vcc_lo
	v_cmp_eq_u32_e32 vcc_lo, 16, v0
	s_delay_alu instid0(VALU_DEP_2) | instskip(SKIP_1) | instid1(VALU_DEP_1)
	v_cndmask_b32_e32 v100, v100, v50, vcc_lo
	s_wait_dscnt 0x0
	v_mul_f32_e32 v104, v100, v101
	s_cbranch_execz .LBB16_85
	s_branch .LBB16_86
.LBB16_84:
                                        ; implicit-def: $vgpr104
.LBB16_85:
	ds_load_b32 v104, v103
.LBB16_86:
	s_and_saveexec_b32 s5, s0
	s_cbranch_execz .LBB16_96
; %bb.87:
	v_dual_add_nc_u32 v100, -11, v0 :: v_dual_add_nc_u32 v101, -10, v0
	s_delay_alu instid0(VALU_DEP_1)
	v_cmp_lt_u32_e32 vcc_lo, 6, v100
	v_mov_b32_e32 v100, 10
	s_and_saveexec_b32 s0, vcc_lo
	s_cbranch_execz .LBB16_91
; %bb.88:
	v_and_b32_e32 v100, -8, v101
	s_mov_b32 s6, 0
	s_mov_b64 s[2:3], 17
	s_movk_i32 s7, 0x78
	s_delay_alu instid0(VALU_DEP_1)
	v_sub_nc_u32_e32 v102, 0, v100
.LBB16_89:                              ; =>This Inner Loop Header: Depth=1
	s_add_co_i32 m0, s2, -7
	v_movrels_b32_e32 v105, v34
	v_mov_b32_e32 v100, s7
	s_add_co_i32 m0, s2, -6
	s_add_co_i32 s7, s7, 32
	v_movrels_b32_e32 v114, v34
	s_add_co_i32 m0, s2, -5
	ds_load_2addr_b64 v[106:109], v100 offset1:1
	ds_load_2addr_b64 v[110:113], v100 offset0:2 offset1:3
	v_movrels_b32_e32 v100, v34
	s_add_co_i32 m0, s2, -4
	s_wait_dscnt 0x1
	v_fmac_f32_e32 v104, v105, v106
	v_movrels_b32_e32 v105, v34
	s_add_co_i32 m0, s2, -3
	s_delay_alu instid0(VALU_DEP_2) | instskip(NEXT) | instid1(VALU_DEP_1)
	v_fmac_f32_e32 v104, v114, v107
	v_fmac_f32_e32 v104, v100, v108
	v_movrels_b32_e32 v100, v34
	s_add_co_i32 m0, s2, -2
	s_delay_alu instid0(VALU_DEP_2) | instskip(SKIP_3) | instid1(VALU_DEP_2)
	v_fmac_f32_e32 v104, v105, v109
	v_movrels_b32_e32 v105, v34
	s_add_co_i32 m0, s2, -1
	s_wait_dscnt 0x0
	v_fmac_f32_e32 v104, v100, v110
	v_movrels_b32_e32 v100, v34
	s_mov_b32 m0, s2
	s_add_nc_u64 s[2:3], s[2:3], 8
	v_movrels_b32_e32 v106, v34
	v_dual_fmac_f32 v104, v105, v111 :: v_dual_add_nc_u32 v105, s2, v102
	s_add_co_i32 s8, s2, -7
	s_delay_alu instid0(VALU_DEP_1) | instskip(NEXT) | instid1(VALU_DEP_2)
	v_fmac_f32_e32 v104, v100, v112
	v_cmp_eq_u32_e32 vcc_lo, 17, v105
	s_delay_alu instid0(VALU_DEP_2) | instskip(SKIP_1) | instid1(SALU_CYCLE_1)
	v_dual_mov_b32 v100, s8 :: v_dual_fmac_f32 v104, v106, v113
	s_or_b32 s6, vcc_lo, s6
	s_and_not1_b32 exec_lo, exec_lo, s6
	s_cbranch_execnz .LBB16_89
; %bb.90:
	s_or_b32 exec_lo, exec_lo, s6
.LBB16_91:
	s_delay_alu instid0(SALU_CYCLE_1) | instskip(SKIP_3) | instid1(VALU_DEP_1)
	s_or_b32 exec_lo, exec_lo, s0
	v_and_b32_e32 v51, 7, v101
	s_mov_b32 s2, 0
	s_mov_b32 s0, exec_lo
	v_cmpx_ne_u32_e32 0, v51
	s_cbranch_execz .LBB16_95
; %bb.92:
	v_lshl_add_u32 v52, v100, 2, 0x50
	v_mov_b32_e32 v101, 0
.LBB16_93:                              ; =>This Inner Loop Header: Depth=1
	v_cmp_eq_u32_e32 vcc_lo, 1, v100
	ds_load_b32 v54, v52
	v_dual_add_nc_u32 v52, 4, v52 :: v_dual_add_nc_u32 v51, -1, v51
	v_cndmask_b32_e32 v53, v34, v35, vcc_lo
	v_cmp_eq_u32_e32 vcc_lo, 2, v100
	s_delay_alu instid0(VALU_DEP_2) | instskip(SKIP_1) | instid1(VALU_DEP_2)
	v_cndmask_b32_e32 v53, v53, v36, vcc_lo
	v_cmp_eq_u32_e32 vcc_lo, 3, v100
	v_cndmask_b32_e32 v53, v53, v37, vcc_lo
	v_cmp_eq_u32_e32 vcc_lo, 4, v100
	s_delay_alu instid0(VALU_DEP_2) | instskip(SKIP_1) | instid1(VALU_DEP_2)
	v_cndmask_b32_e32 v53, v53, v38, vcc_lo
	v_cmp_eq_u32_e32 vcc_lo, 5, v100
	;; [unrolled: 5-line block ×7, first 2 shown]
	v_cndmask_b32_e32 v53, v53, v49, vcc_lo
	v_cmp_eq_u32_e32 vcc_lo, 16, v100
	v_add_nc_u64_e32 v[100:101], 1, v[100:101]
	s_delay_alu instid0(VALU_DEP_3) | instskip(SKIP_2) | instid1(VALU_DEP_2)
	v_cndmask_b32_e32 v53, v53, v50, vcc_lo
	v_cmp_eq_u32_e32 vcc_lo, 0, v51
	s_wait_dscnt 0x0
	v_fmac_f32_e32 v104, v53, v54
	s_or_b32 s2, vcc_lo, s2
	s_delay_alu instid0(SALU_CYCLE_1)
	s_and_not1_b32 exec_lo, exec_lo, s2
	s_cbranch_execnz .LBB16_93
; %bb.94:
	s_or_b32 exec_lo, exec_lo, s2
.LBB16_95:
	s_delay_alu instid0(SALU_CYCLE_1)
	s_or_b32 exec_lo, exec_lo, s0
.LBB16_96:
	s_delay_alu instid0(SALU_CYCLE_1)
	s_or_b32 exec_lo, exec_lo, s5
	v_mov_b32_e32 v43, 0
	ds_load_b32 v43, v43 offset:36
	s_wait_dscnt 0x0
	v_mul_f32_e32 v43, v104, v43
.LBB16_97:
	s_or_b32 exec_lo, exec_lo, s4
	v_cmp_lt_u32_e64 s0, 8, v0
	ds_store_b32 v103, v42
	s_wait_dscnt 0x0
	s_barrier_signal -1
	s_barrier_wait -1
	s_and_saveexec_b32 s4, s0
	s_cbranch_execz .LBB16_113
; %bb.98:
	s_and_not1_b32 vcc_lo, exec_lo, s17
	s_cbranch_vccnz .LBB16_100
; %bb.99:
	v_cmp_eq_u32_e32 vcc_lo, 1, v0
	ds_load_b32 v101, v103
	v_cndmask_b32_e32 v100, v34, v35, vcc_lo
	v_cmp_eq_u32_e32 vcc_lo, 2, v0
	s_delay_alu instid0(VALU_DEP_2) | instskip(SKIP_1) | instid1(VALU_DEP_2)
	v_cndmask_b32_e32 v100, v100, v36, vcc_lo
	v_cmp_eq_u32_e32 vcc_lo, 3, v0
	v_cndmask_b32_e32 v100, v100, v37, vcc_lo
	v_cmp_eq_u32_e32 vcc_lo, 4, v0
	s_delay_alu instid0(VALU_DEP_2) | instskip(SKIP_1) | instid1(VALU_DEP_2)
	v_cndmask_b32_e32 v100, v100, v38, vcc_lo
	v_cmp_eq_u32_e32 vcc_lo, 5, v0
	;; [unrolled: 5-line block ×7, first 2 shown]
	v_cndmask_b32_e32 v100, v100, v49, vcc_lo
	v_cmp_eq_u32_e32 vcc_lo, 16, v0
	s_delay_alu instid0(VALU_DEP_2) | instskip(SKIP_1) | instid1(VALU_DEP_1)
	v_cndmask_b32_e32 v100, v100, v50, vcc_lo
	s_wait_dscnt 0x0
	v_mul_f32_e32 v104, v100, v101
	s_cbranch_execz .LBB16_101
	s_branch .LBB16_102
.LBB16_100:
                                        ; implicit-def: $vgpr104
.LBB16_101:
	ds_load_b32 v104, v103
.LBB16_102:
	s_and_saveexec_b32 s5, s1
	s_cbranch_execz .LBB16_112
; %bb.103:
	v_dual_add_nc_u32 v100, -10, v0 :: v_dual_add_nc_u32 v101, -9, v0
	s_delay_alu instid0(VALU_DEP_1)
	v_cmp_lt_u32_e32 vcc_lo, 6, v100
	v_mov_b32_e32 v100, 9
	s_and_saveexec_b32 s1, vcc_lo
	s_cbranch_execz .LBB16_107
; %bb.104:
	v_and_b32_e32 v100, -8, v101
	s_mov_b32 s6, 0
	s_mov_b64 s[2:3], 16
	s_movk_i32 s7, 0x74
	s_delay_alu instid0(VALU_DEP_1)
	v_sub_nc_u32_e32 v102, 0, v100
.LBB16_105:                             ; =>This Inner Loop Header: Depth=1
	s_add_co_i32 m0, s2, -7
	v_movrels_b32_e32 v105, v34
	v_mov_b32_e32 v100, s7
	s_add_co_i32 m0, s2, -6
	s_add_co_i32 s7, s7, 32
	v_movrels_b32_e32 v114, v34
	ds_load_2addr_b32 v[106:107], v100 offset1:1
	ds_load_2addr_b32 v[108:109], v100 offset0:2 offset1:3
	s_add_co_i32 m0, s2, -5
	s_wait_dscnt 0x1
	v_fmac_f32_e32 v104, v105, v106
	ds_load_2addr_b32 v[110:111], v100 offset0:4 offset1:5
	ds_load_2addr_b32 v[112:113], v100 offset0:6 offset1:7
	v_movrels_b32_e32 v100, v34
	s_add_co_i32 m0, s2, -4
	v_fmac_f32_e32 v104, v114, v107
	v_movrels_b32_e32 v105, v34
	s_add_co_i32 m0, s2, -3
	s_wait_dscnt 0x2
	s_delay_alu instid0(VALU_DEP_2) | instskip(SKIP_2) | instid1(VALU_DEP_2)
	v_fmac_f32_e32 v104, v100, v108
	v_movrels_b32_e32 v100, v34
	s_add_co_i32 m0, s2, -2
	v_fmac_f32_e32 v104, v105, v109
	v_movrels_b32_e32 v105, v34
	s_add_co_i32 m0, s2, -1
	s_wait_dscnt 0x1
	s_delay_alu instid0(VALU_DEP_2)
	v_fmac_f32_e32 v104, v100, v110
	v_movrels_b32_e32 v100, v34
	s_mov_b32 m0, s2
	s_add_nc_u64 s[2:3], s[2:3], 8
	v_movrels_b32_e32 v106, v34
	v_dual_fmac_f32 v104, v105, v111 :: v_dual_add_nc_u32 v105, s2, v102
	s_add_co_i32 s8, s2, -7
	s_wait_dscnt 0x0
	s_delay_alu instid0(VALU_DEP_1) | instskip(NEXT) | instid1(VALU_DEP_2)
	v_fmac_f32_e32 v104, v100, v112
	v_cmp_eq_u32_e32 vcc_lo, 16, v105
	s_delay_alu instid0(VALU_DEP_2) | instskip(SKIP_1) | instid1(SALU_CYCLE_1)
	v_dual_mov_b32 v100, s8 :: v_dual_fmac_f32 v104, v106, v113
	s_or_b32 s6, vcc_lo, s6
	s_and_not1_b32 exec_lo, exec_lo, s6
	s_cbranch_execnz .LBB16_105
; %bb.106:
	s_or_b32 exec_lo, exec_lo, s6
.LBB16_107:
	s_delay_alu instid0(SALU_CYCLE_1) | instskip(SKIP_3) | instid1(VALU_DEP_1)
	s_or_b32 exec_lo, exec_lo, s1
	v_and_b32_e32 v51, 7, v101
	s_mov_b32 s2, 0
	s_mov_b32 s1, exec_lo
	v_cmpx_ne_u32_e32 0, v51
	s_cbranch_execz .LBB16_111
; %bb.108:
	v_lshl_add_u32 v52, v100, 2, 0x50
	v_mov_b32_e32 v101, 0
.LBB16_109:                             ; =>This Inner Loop Header: Depth=1
	v_cmp_eq_u32_e32 vcc_lo, 1, v100
	ds_load_b32 v54, v52
	v_dual_add_nc_u32 v52, 4, v52 :: v_dual_add_nc_u32 v51, -1, v51
	v_cndmask_b32_e32 v53, v34, v35, vcc_lo
	v_cmp_eq_u32_e32 vcc_lo, 2, v100
	s_delay_alu instid0(VALU_DEP_2) | instskip(SKIP_1) | instid1(VALU_DEP_2)
	v_cndmask_b32_e32 v53, v53, v36, vcc_lo
	v_cmp_eq_u32_e32 vcc_lo, 3, v100
	v_cndmask_b32_e32 v53, v53, v37, vcc_lo
	v_cmp_eq_u32_e32 vcc_lo, 4, v100
	s_delay_alu instid0(VALU_DEP_2) | instskip(SKIP_1) | instid1(VALU_DEP_2)
	v_cndmask_b32_e32 v53, v53, v38, vcc_lo
	v_cmp_eq_u32_e32 vcc_lo, 5, v100
	v_cndmask_b32_e32 v53, v53, v39, vcc_lo
	v_cmp_eq_u32_e32 vcc_lo, 6, v100
	s_delay_alu instid0(VALU_DEP_2) | instskip(SKIP_1) | instid1(VALU_DEP_2)
	v_cndmask_b32_e32 v53, v53, v40, vcc_lo
	v_cmp_eq_u32_e32 vcc_lo, 7, v100
	v_cndmask_b32_e32 v53, v53, v41, vcc_lo
	v_cmp_eq_u32_e32 vcc_lo, 8, v100
	s_delay_alu instid0(VALU_DEP_2) | instskip(SKIP_1) | instid1(VALU_DEP_2)
	v_cndmask_b32_e32 v53, v53, v42, vcc_lo
	v_cmp_eq_u32_e32 vcc_lo, 9, v100
	v_cndmask_b32_e32 v53, v53, v43, vcc_lo
	v_cmp_eq_u32_e32 vcc_lo, 10, v100
	s_delay_alu instid0(VALU_DEP_2) | instskip(SKIP_1) | instid1(VALU_DEP_2)
	v_cndmask_b32_e32 v53, v53, v44, vcc_lo
	v_cmp_eq_u32_e32 vcc_lo, 11, v100
	v_cndmask_b32_e32 v53, v53, v45, vcc_lo
	v_cmp_eq_u32_e32 vcc_lo, 12, v100
	s_delay_alu instid0(VALU_DEP_2) | instskip(SKIP_1) | instid1(VALU_DEP_2)
	v_cndmask_b32_e32 v53, v53, v46, vcc_lo
	v_cmp_eq_u32_e32 vcc_lo, 13, v100
	v_cndmask_b32_e32 v53, v53, v47, vcc_lo
	v_cmp_eq_u32_e32 vcc_lo, 14, v100
	s_delay_alu instid0(VALU_DEP_2) | instskip(SKIP_1) | instid1(VALU_DEP_2)
	v_cndmask_b32_e32 v53, v53, v48, vcc_lo
	v_cmp_eq_u32_e32 vcc_lo, 15, v100
	v_cndmask_b32_e32 v53, v53, v49, vcc_lo
	v_cmp_eq_u32_e32 vcc_lo, 16, v100
	v_add_nc_u64_e32 v[100:101], 1, v[100:101]
	s_delay_alu instid0(VALU_DEP_3) | instskip(SKIP_2) | instid1(VALU_DEP_2)
	v_cndmask_b32_e32 v53, v53, v50, vcc_lo
	v_cmp_eq_u32_e32 vcc_lo, 0, v51
	s_wait_dscnt 0x0
	v_fmac_f32_e32 v104, v53, v54
	s_or_b32 s2, vcc_lo, s2
	s_delay_alu instid0(SALU_CYCLE_1)
	s_and_not1_b32 exec_lo, exec_lo, s2
	s_cbranch_execnz .LBB16_109
; %bb.110:
	s_or_b32 exec_lo, exec_lo, s2
.LBB16_111:
	s_delay_alu instid0(SALU_CYCLE_1)
	s_or_b32 exec_lo, exec_lo, s1
.LBB16_112:
	s_delay_alu instid0(SALU_CYCLE_1)
	s_or_b32 exec_lo, exec_lo, s5
	v_mov_b32_e32 v42, 0
	ds_load_b32 v42, v42 offset:32
	s_wait_dscnt 0x0
	v_mul_f32_e32 v42, v104, v42
.LBB16_113:
	s_or_b32 exec_lo, exec_lo, s4
	v_cmp_lt_u32_e64 s1, 7, v0
	ds_store_b32 v103, v41
	s_wait_dscnt 0x0
	s_barrier_signal -1
	s_barrier_wait -1
	s_and_saveexec_b32 s4, s1
	s_cbranch_execz .LBB16_129
; %bb.114:
	s_and_not1_b32 vcc_lo, exec_lo, s17
	s_cbranch_vccnz .LBB16_116
; %bb.115:
	v_cmp_eq_u32_e32 vcc_lo, 1, v0
	ds_load_b32 v101, v103
	v_cndmask_b32_e32 v100, v34, v35, vcc_lo
	v_cmp_eq_u32_e32 vcc_lo, 2, v0
	s_delay_alu instid0(VALU_DEP_2) | instskip(SKIP_1) | instid1(VALU_DEP_2)
	v_cndmask_b32_e32 v100, v100, v36, vcc_lo
	v_cmp_eq_u32_e32 vcc_lo, 3, v0
	v_cndmask_b32_e32 v100, v100, v37, vcc_lo
	v_cmp_eq_u32_e32 vcc_lo, 4, v0
	s_delay_alu instid0(VALU_DEP_2) | instskip(SKIP_1) | instid1(VALU_DEP_2)
	v_cndmask_b32_e32 v100, v100, v38, vcc_lo
	v_cmp_eq_u32_e32 vcc_lo, 5, v0
	;; [unrolled: 5-line block ×7, first 2 shown]
	v_cndmask_b32_e32 v100, v100, v49, vcc_lo
	v_cmp_eq_u32_e32 vcc_lo, 16, v0
	s_delay_alu instid0(VALU_DEP_2) | instskip(SKIP_1) | instid1(VALU_DEP_1)
	v_cndmask_b32_e32 v100, v100, v50, vcc_lo
	s_wait_dscnt 0x0
	v_mul_f32_e32 v104, v100, v101
	s_cbranch_execz .LBB16_117
	s_branch .LBB16_118
.LBB16_116:
                                        ; implicit-def: $vgpr104
.LBB16_117:
	ds_load_b32 v104, v103
.LBB16_118:
	s_and_saveexec_b32 s5, s0
	s_cbranch_execz .LBB16_128
; %bb.119:
	v_add_nc_u32_e32 v100, -9, v0
	s_delay_alu instid0(VALU_DEP_1)
	v_cmp_lt_u32_e32 vcc_lo, 6, v100
	v_mov_b32_e32 v100, 8
	s_and_saveexec_b32 s0, vcc_lo
	s_cbranch_execz .LBB16_123
; %bb.120:
	v_and_b32_e32 v100, 24, v0
	s_mov_b32 s6, 0
	s_mov_b64 s[2:3], 15
	s_movk_i32 s7, 0x70
	s_delay_alu instid0(VALU_DEP_1)
	v_sub_nc_u32_e32 v102, 0, v100
.LBB16_121:                             ; =>This Inner Loop Header: Depth=1
	s_add_co_i32 m0, s2, -7
	v_movrels_b32_e32 v101, v34
	v_mov_b32_e32 v100, s7
	s_add_co_i32 m0, s2, -6
	s_add_co_i32 s7, s7, 32
	v_movrels_b32_e32 v105, v34
	s_add_co_i32 m0, s2, -5
	ds_load_b128 v[106:109], v100
	ds_load_b128 v[110:113], v100 offset:16
	v_movrels_b32_e32 v100, v34
	s_add_co_i32 m0, s2, -4
	s_wait_dscnt 0x1
	v_fmac_f32_e32 v104, v101, v106
	v_movrels_b32_e32 v101, v34
	s_add_co_i32 m0, s2, -3
	s_delay_alu instid0(VALU_DEP_2) | instskip(NEXT) | instid1(VALU_DEP_1)
	v_fmac_f32_e32 v104, v105, v107
	v_fmac_f32_e32 v104, v100, v108
	v_movrels_b32_e32 v100, v34
	s_add_co_i32 m0, s2, -2
	s_delay_alu instid0(VALU_DEP_2) | instskip(SKIP_3) | instid1(VALU_DEP_2)
	v_fmac_f32_e32 v104, v101, v109
	v_movrels_b32_e32 v101, v34
	s_add_co_i32 m0, s2, -1
	s_wait_dscnt 0x0
	v_fmac_f32_e32 v104, v100, v110
	v_movrels_b32_e32 v100, v34
	s_mov_b32 m0, s2
	s_add_nc_u64 s[2:3], s[2:3], 8
	v_movrels_b32_e32 v105, v34
	v_dual_fmac_f32 v104, v101, v111 :: v_dual_add_nc_u32 v101, s2, v102
	s_add_co_i32 s8, s2, -7
	s_delay_alu instid0(VALU_DEP_1) | instskip(NEXT) | instid1(VALU_DEP_2)
	v_fmac_f32_e32 v104, v100, v112
	v_cmp_eq_u32_e32 vcc_lo, 7, v101
	s_delay_alu instid0(VALU_DEP_2) | instskip(SKIP_1) | instid1(SALU_CYCLE_1)
	v_dual_mov_b32 v100, s8 :: v_dual_fmac_f32 v104, v105, v113
	s_or_b32 s6, vcc_lo, s6
	s_and_not1_b32 exec_lo, exec_lo, s6
	s_cbranch_execnz .LBB16_121
; %bb.122:
	s_or_b32 exec_lo, exec_lo, s6
.LBB16_123:
	s_delay_alu instid0(SALU_CYCLE_1) | instskip(SKIP_3) | instid1(VALU_DEP_1)
	s_or_b32 exec_lo, exec_lo, s0
	v_and_b32_e32 v51, 7, v0
	s_mov_b32 s2, 0
	s_mov_b32 s0, exec_lo
	v_cmpx_ne_u32_e32 0, v51
	s_cbranch_execz .LBB16_127
; %bb.124:
	v_lshl_add_u32 v52, v100, 2, 0x50
	v_mov_b32_e32 v101, 0
.LBB16_125:                             ; =>This Inner Loop Header: Depth=1
	v_cmp_eq_u32_e32 vcc_lo, 1, v100
	ds_load_b32 v54, v52
	v_dual_add_nc_u32 v52, 4, v52 :: v_dual_add_nc_u32 v51, -1, v51
	v_cndmask_b32_e32 v53, v34, v35, vcc_lo
	v_cmp_eq_u32_e32 vcc_lo, 2, v100
	s_delay_alu instid0(VALU_DEP_2) | instskip(SKIP_1) | instid1(VALU_DEP_2)
	v_cndmask_b32_e32 v53, v53, v36, vcc_lo
	v_cmp_eq_u32_e32 vcc_lo, 3, v100
	v_cndmask_b32_e32 v53, v53, v37, vcc_lo
	v_cmp_eq_u32_e32 vcc_lo, 4, v100
	s_delay_alu instid0(VALU_DEP_2) | instskip(SKIP_1) | instid1(VALU_DEP_2)
	v_cndmask_b32_e32 v53, v53, v38, vcc_lo
	v_cmp_eq_u32_e32 vcc_lo, 5, v100
	;; [unrolled: 5-line block ×7, first 2 shown]
	v_cndmask_b32_e32 v53, v53, v49, vcc_lo
	v_cmp_eq_u32_e32 vcc_lo, 16, v100
	v_add_nc_u64_e32 v[100:101], 1, v[100:101]
	s_delay_alu instid0(VALU_DEP_3) | instskip(SKIP_2) | instid1(VALU_DEP_2)
	v_cndmask_b32_e32 v53, v53, v50, vcc_lo
	v_cmp_eq_u32_e32 vcc_lo, 0, v51
	s_wait_dscnt 0x0
	v_fmac_f32_e32 v104, v53, v54
	s_or_b32 s2, vcc_lo, s2
	s_delay_alu instid0(SALU_CYCLE_1)
	s_and_not1_b32 exec_lo, exec_lo, s2
	s_cbranch_execnz .LBB16_125
; %bb.126:
	s_or_b32 exec_lo, exec_lo, s2
.LBB16_127:
	s_delay_alu instid0(SALU_CYCLE_1)
	s_or_b32 exec_lo, exec_lo, s0
.LBB16_128:
	s_delay_alu instid0(SALU_CYCLE_1)
	s_or_b32 exec_lo, exec_lo, s5
	v_mov_b32_e32 v41, 0
	ds_load_b32 v41, v41 offset:28
	s_wait_dscnt 0x0
	v_mul_f32_e32 v41, v104, v41
.LBB16_129:
	s_or_b32 exec_lo, exec_lo, s4
	v_cmp_lt_u32_e64 s0, 6, v0
	ds_store_b32 v103, v40
	s_wait_dscnt 0x0
	s_barrier_signal -1
	s_barrier_wait -1
	s_and_saveexec_b32 s4, s0
	s_cbranch_execz .LBB16_145
; %bb.130:
	s_and_not1_b32 vcc_lo, exec_lo, s17
	s_cbranch_vccnz .LBB16_132
; %bb.131:
	v_cmp_eq_u32_e32 vcc_lo, 1, v0
	ds_load_b32 v101, v103
	v_cndmask_b32_e32 v100, v34, v35, vcc_lo
	v_cmp_eq_u32_e32 vcc_lo, 2, v0
	s_delay_alu instid0(VALU_DEP_2) | instskip(SKIP_1) | instid1(VALU_DEP_2)
	v_cndmask_b32_e32 v100, v100, v36, vcc_lo
	v_cmp_eq_u32_e32 vcc_lo, 3, v0
	v_cndmask_b32_e32 v100, v100, v37, vcc_lo
	v_cmp_eq_u32_e32 vcc_lo, 4, v0
	s_delay_alu instid0(VALU_DEP_2) | instskip(SKIP_1) | instid1(VALU_DEP_2)
	v_cndmask_b32_e32 v100, v100, v38, vcc_lo
	v_cmp_eq_u32_e32 vcc_lo, 5, v0
	;; [unrolled: 5-line block ×7, first 2 shown]
	v_cndmask_b32_e32 v100, v100, v49, vcc_lo
	v_cmp_eq_u32_e32 vcc_lo, 16, v0
	s_delay_alu instid0(VALU_DEP_2) | instskip(SKIP_1) | instid1(VALU_DEP_1)
	v_cndmask_b32_e32 v100, v100, v50, vcc_lo
	s_wait_dscnt 0x0
	v_mul_f32_e32 v104, v100, v101
	s_cbranch_execz .LBB16_133
	s_branch .LBB16_134
.LBB16_132:
                                        ; implicit-def: $vgpr104
.LBB16_133:
	ds_load_b32 v104, v103
.LBB16_134:
	s_and_saveexec_b32 s5, s1
	s_cbranch_execz .LBB16_144
; %bb.135:
	v_dual_add_nc_u32 v100, -8, v0 :: v_dual_add_nc_u32 v101, -7, v0
	s_delay_alu instid0(VALU_DEP_1)
	v_cmp_lt_u32_e32 vcc_lo, 6, v100
	v_mov_b32_e32 v100, 7
	s_and_saveexec_b32 s1, vcc_lo
	s_cbranch_execz .LBB16_139
; %bb.136:
	v_and_b32_e32 v100, -8, v101
	s_mov_b32 s6, 0
	s_mov_b64 s[2:3], 14
	s_movk_i32 s7, 0x6c
	s_delay_alu instid0(VALU_DEP_1)
	v_sub_nc_u32_e32 v102, 0, v100
.LBB16_137:                             ; =>This Inner Loop Header: Depth=1
	s_add_co_i32 m0, s2, -7
	v_movrels_b32_e32 v105, v34
	v_mov_b32_e32 v100, s7
	s_add_co_i32 m0, s2, -6
	s_add_co_i32 s7, s7, 32
	v_movrels_b32_e32 v114, v34
	ds_load_2addr_b32 v[106:107], v100 offset1:1
	ds_load_2addr_b32 v[108:109], v100 offset0:2 offset1:3
	s_add_co_i32 m0, s2, -5
	s_wait_dscnt 0x1
	v_fmac_f32_e32 v104, v105, v106
	ds_load_2addr_b32 v[110:111], v100 offset0:4 offset1:5
	ds_load_2addr_b32 v[112:113], v100 offset0:6 offset1:7
	v_movrels_b32_e32 v100, v34
	s_add_co_i32 m0, s2, -4
	v_fmac_f32_e32 v104, v114, v107
	v_movrels_b32_e32 v105, v34
	s_add_co_i32 m0, s2, -3
	s_wait_dscnt 0x2
	s_delay_alu instid0(VALU_DEP_2) | instskip(SKIP_2) | instid1(VALU_DEP_2)
	v_fmac_f32_e32 v104, v100, v108
	v_movrels_b32_e32 v100, v34
	s_add_co_i32 m0, s2, -2
	v_fmac_f32_e32 v104, v105, v109
	v_movrels_b32_e32 v105, v34
	s_add_co_i32 m0, s2, -1
	s_wait_dscnt 0x1
	s_delay_alu instid0(VALU_DEP_2)
	v_fmac_f32_e32 v104, v100, v110
	v_movrels_b32_e32 v100, v34
	s_mov_b32 m0, s2
	s_add_nc_u64 s[2:3], s[2:3], 8
	v_movrels_b32_e32 v106, v34
	v_dual_fmac_f32 v104, v105, v111 :: v_dual_add_nc_u32 v105, s2, v102
	s_add_co_i32 s8, s2, -7
	s_wait_dscnt 0x0
	s_delay_alu instid0(VALU_DEP_1) | instskip(NEXT) | instid1(VALU_DEP_2)
	v_fmac_f32_e32 v104, v100, v112
	v_cmp_eq_u32_e32 vcc_lo, 14, v105
	s_delay_alu instid0(VALU_DEP_2) | instskip(SKIP_1) | instid1(SALU_CYCLE_1)
	v_dual_mov_b32 v100, s8 :: v_dual_fmac_f32 v104, v106, v113
	s_or_b32 s6, vcc_lo, s6
	s_and_not1_b32 exec_lo, exec_lo, s6
	s_cbranch_execnz .LBB16_137
; %bb.138:
	s_or_b32 exec_lo, exec_lo, s6
.LBB16_139:
	s_delay_alu instid0(SALU_CYCLE_1) | instskip(SKIP_3) | instid1(VALU_DEP_1)
	s_or_b32 exec_lo, exec_lo, s1
	v_and_b32_e32 v51, 7, v101
	s_mov_b32 s2, 0
	s_mov_b32 s1, exec_lo
	v_cmpx_ne_u32_e32 0, v51
	s_cbranch_execz .LBB16_143
; %bb.140:
	v_lshl_add_u32 v52, v100, 2, 0x50
	v_mov_b32_e32 v101, 0
.LBB16_141:                             ; =>This Inner Loop Header: Depth=1
	v_cmp_eq_u32_e32 vcc_lo, 1, v100
	ds_load_b32 v54, v52
	v_dual_add_nc_u32 v52, 4, v52 :: v_dual_add_nc_u32 v51, -1, v51
	v_cndmask_b32_e32 v53, v34, v35, vcc_lo
	v_cmp_eq_u32_e32 vcc_lo, 2, v100
	s_delay_alu instid0(VALU_DEP_2) | instskip(SKIP_1) | instid1(VALU_DEP_2)
	v_cndmask_b32_e32 v53, v53, v36, vcc_lo
	v_cmp_eq_u32_e32 vcc_lo, 3, v100
	v_cndmask_b32_e32 v53, v53, v37, vcc_lo
	v_cmp_eq_u32_e32 vcc_lo, 4, v100
	s_delay_alu instid0(VALU_DEP_2) | instskip(SKIP_1) | instid1(VALU_DEP_2)
	v_cndmask_b32_e32 v53, v53, v38, vcc_lo
	v_cmp_eq_u32_e32 vcc_lo, 5, v100
	;; [unrolled: 5-line block ×7, first 2 shown]
	v_cndmask_b32_e32 v53, v53, v49, vcc_lo
	v_cmp_eq_u32_e32 vcc_lo, 16, v100
	v_add_nc_u64_e32 v[100:101], 1, v[100:101]
	s_delay_alu instid0(VALU_DEP_3) | instskip(SKIP_2) | instid1(VALU_DEP_2)
	v_cndmask_b32_e32 v53, v53, v50, vcc_lo
	v_cmp_eq_u32_e32 vcc_lo, 0, v51
	s_wait_dscnt 0x0
	v_fmac_f32_e32 v104, v53, v54
	s_or_b32 s2, vcc_lo, s2
	s_delay_alu instid0(SALU_CYCLE_1)
	s_and_not1_b32 exec_lo, exec_lo, s2
	s_cbranch_execnz .LBB16_141
; %bb.142:
	s_or_b32 exec_lo, exec_lo, s2
.LBB16_143:
	s_delay_alu instid0(SALU_CYCLE_1)
	s_or_b32 exec_lo, exec_lo, s1
.LBB16_144:
	s_delay_alu instid0(SALU_CYCLE_1)
	s_or_b32 exec_lo, exec_lo, s5
	v_mov_b32_e32 v40, 0
	ds_load_b32 v40, v40 offset:24
	s_wait_dscnt 0x0
	v_mul_f32_e32 v40, v104, v40
.LBB16_145:
	s_or_b32 exec_lo, exec_lo, s4
	v_cmp_lt_u32_e64 s1, 5, v0
	ds_store_b32 v103, v39
	s_wait_dscnt 0x0
	s_barrier_signal -1
	s_barrier_wait -1
	s_and_saveexec_b32 s4, s1
	s_cbranch_execz .LBB16_161
; %bb.146:
	s_and_not1_b32 vcc_lo, exec_lo, s17
	s_cbranch_vccnz .LBB16_148
; %bb.147:
	v_cmp_eq_u32_e32 vcc_lo, 1, v0
	ds_load_b32 v101, v103
	v_cndmask_b32_e32 v100, v34, v35, vcc_lo
	v_cmp_eq_u32_e32 vcc_lo, 2, v0
	s_delay_alu instid0(VALU_DEP_2) | instskip(SKIP_1) | instid1(VALU_DEP_2)
	v_cndmask_b32_e32 v100, v100, v36, vcc_lo
	v_cmp_eq_u32_e32 vcc_lo, 3, v0
	v_cndmask_b32_e32 v100, v100, v37, vcc_lo
	v_cmp_eq_u32_e32 vcc_lo, 4, v0
	s_delay_alu instid0(VALU_DEP_2) | instskip(SKIP_1) | instid1(VALU_DEP_2)
	v_cndmask_b32_e32 v100, v100, v38, vcc_lo
	v_cmp_eq_u32_e32 vcc_lo, 5, v0
	;; [unrolled: 5-line block ×7, first 2 shown]
	v_cndmask_b32_e32 v100, v100, v49, vcc_lo
	v_cmp_eq_u32_e32 vcc_lo, 16, v0
	s_delay_alu instid0(VALU_DEP_2) | instskip(SKIP_1) | instid1(VALU_DEP_1)
	v_cndmask_b32_e32 v100, v100, v50, vcc_lo
	s_wait_dscnt 0x0
	v_mul_f32_e32 v104, v100, v101
	s_cbranch_execz .LBB16_149
	s_branch .LBB16_150
.LBB16_148:
                                        ; implicit-def: $vgpr104
.LBB16_149:
	ds_load_b32 v104, v103
.LBB16_150:
	s_and_saveexec_b32 s5, s0
	s_cbranch_execz .LBB16_160
; %bb.151:
	v_dual_add_nc_u32 v102, -7, v0 :: v_dual_add_nc_u32 v101, -6, v0
	v_mov_b32_e32 v100, 6
	s_mov_b32 s0, exec_lo
	s_delay_alu instid0(VALU_DEP_2)
	v_cmpx_lt_u32_e32 6, v102
	s_cbranch_execz .LBB16_155
; %bb.152:
	v_and_b32_e32 v100, -8, v101
	s_mov_b32 s6, 0
	s_mov_b64 s[2:3], 13
	s_movk_i32 s7, 0x68
	s_delay_alu instid0(VALU_DEP_1)
	v_sub_nc_u32_e32 v102, 0, v100
.LBB16_153:                             ; =>This Inner Loop Header: Depth=1
	s_add_co_i32 m0, s2, -7
	v_movrels_b32_e32 v105, v34
	v_mov_b32_e32 v100, s7
	s_add_co_i32 m0, s2, -6
	s_add_co_i32 s7, s7, 32
	v_movrels_b32_e32 v114, v34
	s_add_co_i32 m0, s2, -5
	ds_load_2addr_b64 v[106:109], v100 offset1:1
	ds_load_2addr_b64 v[110:113], v100 offset0:2 offset1:3
	v_movrels_b32_e32 v100, v34
	s_add_co_i32 m0, s2, -4
	s_wait_dscnt 0x1
	v_fmac_f32_e32 v104, v105, v106
	v_movrels_b32_e32 v105, v34
	s_add_co_i32 m0, s2, -3
	s_delay_alu instid0(VALU_DEP_2) | instskip(NEXT) | instid1(VALU_DEP_1)
	v_fmac_f32_e32 v104, v114, v107
	v_fmac_f32_e32 v104, v100, v108
	v_movrels_b32_e32 v100, v34
	s_add_co_i32 m0, s2, -2
	s_delay_alu instid0(VALU_DEP_2) | instskip(SKIP_3) | instid1(VALU_DEP_2)
	v_fmac_f32_e32 v104, v105, v109
	v_movrels_b32_e32 v105, v34
	s_add_co_i32 m0, s2, -1
	s_wait_dscnt 0x0
	v_fmac_f32_e32 v104, v100, v110
	v_movrels_b32_e32 v100, v34
	s_mov_b32 m0, s2
	s_add_nc_u64 s[2:3], s[2:3], 8
	v_movrels_b32_e32 v106, v34
	v_dual_fmac_f32 v104, v105, v111 :: v_dual_add_nc_u32 v105, s2, v102
	s_add_co_i32 s8, s2, -7
	s_delay_alu instid0(VALU_DEP_1) | instskip(NEXT) | instid1(VALU_DEP_2)
	v_fmac_f32_e32 v104, v100, v112
	v_cmp_eq_u32_e32 vcc_lo, 13, v105
	s_delay_alu instid0(VALU_DEP_2) | instskip(SKIP_1) | instid1(SALU_CYCLE_1)
	v_dual_mov_b32 v100, s8 :: v_dual_fmac_f32 v104, v106, v113
	s_or_b32 s6, vcc_lo, s6
	s_and_not1_b32 exec_lo, exec_lo, s6
	s_cbranch_execnz .LBB16_153
; %bb.154:
	s_or_b32 exec_lo, exec_lo, s6
.LBB16_155:
	s_delay_alu instid0(SALU_CYCLE_1) | instskip(SKIP_3) | instid1(VALU_DEP_1)
	s_or_b32 exec_lo, exec_lo, s0
	v_and_b32_e32 v51, 7, v101
	s_mov_b32 s2, 0
	s_mov_b32 s0, exec_lo
	v_cmpx_ne_u32_e32 0, v51
	s_cbranch_execz .LBB16_159
; %bb.156:
	v_lshl_add_u32 v52, v100, 2, 0x50
	v_mov_b32_e32 v101, 0
.LBB16_157:                             ; =>This Inner Loop Header: Depth=1
	v_cmp_eq_u32_e32 vcc_lo, 1, v100
	ds_load_b32 v54, v52
	v_dual_add_nc_u32 v52, 4, v52 :: v_dual_add_nc_u32 v51, -1, v51
	v_cndmask_b32_e32 v53, v34, v35, vcc_lo
	v_cmp_eq_u32_e32 vcc_lo, 2, v100
	s_delay_alu instid0(VALU_DEP_2) | instskip(SKIP_1) | instid1(VALU_DEP_2)
	v_cndmask_b32_e32 v53, v53, v36, vcc_lo
	v_cmp_eq_u32_e32 vcc_lo, 3, v100
	v_cndmask_b32_e32 v53, v53, v37, vcc_lo
	v_cmp_eq_u32_e32 vcc_lo, 4, v100
	s_delay_alu instid0(VALU_DEP_2) | instskip(SKIP_1) | instid1(VALU_DEP_2)
	v_cndmask_b32_e32 v53, v53, v38, vcc_lo
	v_cmp_eq_u32_e32 vcc_lo, 5, v100
	;; [unrolled: 5-line block ×7, first 2 shown]
	v_cndmask_b32_e32 v53, v53, v49, vcc_lo
	v_cmp_eq_u32_e32 vcc_lo, 16, v100
	v_add_nc_u64_e32 v[100:101], 1, v[100:101]
	s_delay_alu instid0(VALU_DEP_3) | instskip(SKIP_2) | instid1(VALU_DEP_2)
	v_cndmask_b32_e32 v53, v53, v50, vcc_lo
	v_cmp_eq_u32_e32 vcc_lo, 0, v51
	s_wait_dscnt 0x0
	v_fmac_f32_e32 v104, v53, v54
	s_or_b32 s2, vcc_lo, s2
	s_delay_alu instid0(SALU_CYCLE_1)
	s_and_not1_b32 exec_lo, exec_lo, s2
	s_cbranch_execnz .LBB16_157
; %bb.158:
	s_or_b32 exec_lo, exec_lo, s2
.LBB16_159:
	s_delay_alu instid0(SALU_CYCLE_1)
	s_or_b32 exec_lo, exec_lo, s0
.LBB16_160:
	s_delay_alu instid0(SALU_CYCLE_1)
	s_or_b32 exec_lo, exec_lo, s5
	v_mov_b32_e32 v39, 0
	ds_load_b32 v39, v39 offset:20
	s_wait_dscnt 0x0
	v_mul_f32_e32 v39, v104, v39
.LBB16_161:
	s_or_b32 exec_lo, exec_lo, s4
	v_cmp_lt_u32_e64 s0, 4, v0
	ds_store_b32 v103, v38
	s_wait_dscnt 0x0
	s_barrier_signal -1
	s_barrier_wait -1
	s_and_saveexec_b32 s4, s0
	s_cbranch_execz .LBB16_177
; %bb.162:
	s_and_not1_b32 vcc_lo, exec_lo, s17
	s_cbranch_vccnz .LBB16_164
; %bb.163:
	v_cmp_eq_u32_e32 vcc_lo, 1, v0
	ds_load_b32 v101, v103
	v_cndmask_b32_e32 v100, v34, v35, vcc_lo
	v_cmp_eq_u32_e32 vcc_lo, 2, v0
	s_delay_alu instid0(VALU_DEP_2) | instskip(SKIP_1) | instid1(VALU_DEP_2)
	v_cndmask_b32_e32 v100, v100, v36, vcc_lo
	v_cmp_eq_u32_e32 vcc_lo, 3, v0
	v_cndmask_b32_e32 v100, v100, v37, vcc_lo
	v_cmp_eq_u32_e32 vcc_lo, 4, v0
	s_delay_alu instid0(VALU_DEP_2) | instskip(SKIP_1) | instid1(VALU_DEP_2)
	v_cndmask_b32_e32 v100, v100, v38, vcc_lo
	v_cmp_eq_u32_e32 vcc_lo, 5, v0
	;; [unrolled: 5-line block ×7, first 2 shown]
	v_cndmask_b32_e32 v100, v100, v49, vcc_lo
	v_cmp_eq_u32_e32 vcc_lo, 16, v0
	s_delay_alu instid0(VALU_DEP_2) | instskip(SKIP_1) | instid1(VALU_DEP_1)
	v_cndmask_b32_e32 v100, v100, v50, vcc_lo
	s_wait_dscnt 0x0
	v_mul_f32_e32 v104, v100, v101
	s_cbranch_execz .LBB16_165
	s_branch .LBB16_166
.LBB16_164:
                                        ; implicit-def: $vgpr104
.LBB16_165:
	ds_load_b32 v104, v103
.LBB16_166:
	s_and_saveexec_b32 s5, s1
	s_cbranch_execz .LBB16_176
; %bb.167:
	v_dual_add_nc_u32 v100, -6, v0 :: v_dual_add_nc_u32 v101, -5, v0
	s_delay_alu instid0(VALU_DEP_1)
	v_cmp_lt_u32_e32 vcc_lo, 6, v100
	v_mov_b32_e32 v100, 5
	s_and_saveexec_b32 s1, vcc_lo
	s_cbranch_execz .LBB16_171
; %bb.168:
	v_and_b32_e32 v100, -8, v101
	s_mov_b32 s6, 0
	s_mov_b64 s[2:3], 12
	s_movk_i32 s7, 0x64
	s_delay_alu instid0(VALU_DEP_1)
	v_sub_nc_u32_e32 v102, 0, v100
.LBB16_169:                             ; =>This Inner Loop Header: Depth=1
	s_add_co_i32 m0, s2, -7
	v_movrels_b32_e32 v105, v34
	v_mov_b32_e32 v100, s7
	s_add_co_i32 m0, s2, -6
	s_add_co_i32 s7, s7, 32
	v_movrels_b32_e32 v114, v34
	ds_load_2addr_b32 v[106:107], v100 offset1:1
	ds_load_2addr_b32 v[108:109], v100 offset0:2 offset1:3
	s_add_co_i32 m0, s2, -5
	s_wait_dscnt 0x1
	v_fmac_f32_e32 v104, v105, v106
	ds_load_2addr_b32 v[110:111], v100 offset0:4 offset1:5
	ds_load_2addr_b32 v[112:113], v100 offset0:6 offset1:7
	v_movrels_b32_e32 v100, v34
	s_add_co_i32 m0, s2, -4
	v_fmac_f32_e32 v104, v114, v107
	v_movrels_b32_e32 v105, v34
	s_add_co_i32 m0, s2, -3
	s_wait_dscnt 0x2
	s_delay_alu instid0(VALU_DEP_2) | instskip(SKIP_2) | instid1(VALU_DEP_2)
	v_fmac_f32_e32 v104, v100, v108
	v_movrels_b32_e32 v100, v34
	s_add_co_i32 m0, s2, -2
	v_fmac_f32_e32 v104, v105, v109
	v_movrels_b32_e32 v105, v34
	s_add_co_i32 m0, s2, -1
	s_wait_dscnt 0x1
	s_delay_alu instid0(VALU_DEP_2)
	v_fmac_f32_e32 v104, v100, v110
	v_movrels_b32_e32 v100, v34
	s_mov_b32 m0, s2
	s_add_nc_u64 s[2:3], s[2:3], 8
	v_movrels_b32_e32 v106, v34
	v_dual_fmac_f32 v104, v105, v111 :: v_dual_add_nc_u32 v105, s2, v102
	s_add_co_i32 s8, s2, -7
	s_wait_dscnt 0x0
	s_delay_alu instid0(VALU_DEP_1) | instskip(NEXT) | instid1(VALU_DEP_2)
	v_fmac_f32_e32 v104, v100, v112
	v_cmp_eq_u32_e32 vcc_lo, 12, v105
	s_delay_alu instid0(VALU_DEP_2) | instskip(SKIP_1) | instid1(SALU_CYCLE_1)
	v_dual_mov_b32 v100, s8 :: v_dual_fmac_f32 v104, v106, v113
	s_or_b32 s6, vcc_lo, s6
	s_and_not1_b32 exec_lo, exec_lo, s6
	s_cbranch_execnz .LBB16_169
; %bb.170:
	s_or_b32 exec_lo, exec_lo, s6
.LBB16_171:
	s_delay_alu instid0(SALU_CYCLE_1) | instskip(SKIP_3) | instid1(VALU_DEP_1)
	s_or_b32 exec_lo, exec_lo, s1
	v_and_b32_e32 v51, 7, v101
	s_mov_b32 s2, 0
	s_mov_b32 s1, exec_lo
	v_cmpx_ne_u32_e32 0, v51
	s_cbranch_execz .LBB16_175
; %bb.172:
	v_lshl_add_u32 v52, v100, 2, 0x50
	v_mov_b32_e32 v101, 0
.LBB16_173:                             ; =>This Inner Loop Header: Depth=1
	v_cmp_eq_u32_e32 vcc_lo, 1, v100
	ds_load_b32 v54, v52
	v_dual_add_nc_u32 v52, 4, v52 :: v_dual_add_nc_u32 v51, -1, v51
	v_cndmask_b32_e32 v53, v34, v35, vcc_lo
	v_cmp_eq_u32_e32 vcc_lo, 2, v100
	s_delay_alu instid0(VALU_DEP_2) | instskip(SKIP_1) | instid1(VALU_DEP_2)
	v_cndmask_b32_e32 v53, v53, v36, vcc_lo
	v_cmp_eq_u32_e32 vcc_lo, 3, v100
	v_cndmask_b32_e32 v53, v53, v37, vcc_lo
	v_cmp_eq_u32_e32 vcc_lo, 4, v100
	s_delay_alu instid0(VALU_DEP_2) | instskip(SKIP_1) | instid1(VALU_DEP_2)
	v_cndmask_b32_e32 v53, v53, v38, vcc_lo
	v_cmp_eq_u32_e32 vcc_lo, 5, v100
	v_cndmask_b32_e32 v53, v53, v39, vcc_lo
	v_cmp_eq_u32_e32 vcc_lo, 6, v100
	s_delay_alu instid0(VALU_DEP_2) | instskip(SKIP_1) | instid1(VALU_DEP_2)
	v_cndmask_b32_e32 v53, v53, v40, vcc_lo
	v_cmp_eq_u32_e32 vcc_lo, 7, v100
	v_cndmask_b32_e32 v53, v53, v41, vcc_lo
	v_cmp_eq_u32_e32 vcc_lo, 8, v100
	s_delay_alu instid0(VALU_DEP_2) | instskip(SKIP_1) | instid1(VALU_DEP_2)
	v_cndmask_b32_e32 v53, v53, v42, vcc_lo
	v_cmp_eq_u32_e32 vcc_lo, 9, v100
	v_cndmask_b32_e32 v53, v53, v43, vcc_lo
	v_cmp_eq_u32_e32 vcc_lo, 10, v100
	s_delay_alu instid0(VALU_DEP_2) | instskip(SKIP_1) | instid1(VALU_DEP_2)
	v_cndmask_b32_e32 v53, v53, v44, vcc_lo
	v_cmp_eq_u32_e32 vcc_lo, 11, v100
	v_cndmask_b32_e32 v53, v53, v45, vcc_lo
	v_cmp_eq_u32_e32 vcc_lo, 12, v100
	s_delay_alu instid0(VALU_DEP_2) | instskip(SKIP_1) | instid1(VALU_DEP_2)
	v_cndmask_b32_e32 v53, v53, v46, vcc_lo
	v_cmp_eq_u32_e32 vcc_lo, 13, v100
	v_cndmask_b32_e32 v53, v53, v47, vcc_lo
	v_cmp_eq_u32_e32 vcc_lo, 14, v100
	s_delay_alu instid0(VALU_DEP_2) | instskip(SKIP_1) | instid1(VALU_DEP_2)
	v_cndmask_b32_e32 v53, v53, v48, vcc_lo
	v_cmp_eq_u32_e32 vcc_lo, 15, v100
	v_cndmask_b32_e32 v53, v53, v49, vcc_lo
	v_cmp_eq_u32_e32 vcc_lo, 16, v100
	v_add_nc_u64_e32 v[100:101], 1, v[100:101]
	s_delay_alu instid0(VALU_DEP_3) | instskip(SKIP_2) | instid1(VALU_DEP_2)
	v_cndmask_b32_e32 v53, v53, v50, vcc_lo
	v_cmp_eq_u32_e32 vcc_lo, 0, v51
	s_wait_dscnt 0x0
	v_fmac_f32_e32 v104, v53, v54
	s_or_b32 s2, vcc_lo, s2
	s_delay_alu instid0(SALU_CYCLE_1)
	s_and_not1_b32 exec_lo, exec_lo, s2
	s_cbranch_execnz .LBB16_173
; %bb.174:
	s_or_b32 exec_lo, exec_lo, s2
.LBB16_175:
	s_delay_alu instid0(SALU_CYCLE_1)
	s_or_b32 exec_lo, exec_lo, s1
.LBB16_176:
	s_delay_alu instid0(SALU_CYCLE_1)
	s_or_b32 exec_lo, exec_lo, s5
	v_mov_b32_e32 v38, 0
	ds_load_b32 v38, v38 offset:16
	s_wait_dscnt 0x0
	v_mul_f32_e32 v38, v104, v38
.LBB16_177:
	s_or_b32 exec_lo, exec_lo, s4
	v_cmp_lt_u32_e64 s1, 3, v0
	ds_store_b32 v103, v37
	s_wait_dscnt 0x0
	s_barrier_signal -1
	s_barrier_wait -1
	s_and_saveexec_b32 s4, s1
	s_cbranch_execz .LBB16_193
; %bb.178:
	s_and_not1_b32 vcc_lo, exec_lo, s17
	s_cbranch_vccnz .LBB16_180
; %bb.179:
	v_cmp_eq_u32_e32 vcc_lo, 1, v0
	ds_load_b32 v101, v103
	v_cndmask_b32_e32 v100, v34, v35, vcc_lo
	v_cmp_eq_u32_e32 vcc_lo, 2, v0
	s_delay_alu instid0(VALU_DEP_2) | instskip(SKIP_1) | instid1(VALU_DEP_2)
	v_cndmask_b32_e32 v100, v100, v36, vcc_lo
	v_cmp_eq_u32_e32 vcc_lo, 3, v0
	v_cndmask_b32_e32 v100, v100, v37, vcc_lo
	v_cmp_eq_u32_e32 vcc_lo, 4, v0
	s_delay_alu instid0(VALU_DEP_2) | instskip(SKIP_1) | instid1(VALU_DEP_2)
	v_cndmask_b32_e32 v100, v100, v38, vcc_lo
	v_cmp_eq_u32_e32 vcc_lo, 5, v0
	;; [unrolled: 5-line block ×7, first 2 shown]
	v_cndmask_b32_e32 v100, v100, v49, vcc_lo
	v_cmp_eq_u32_e32 vcc_lo, 16, v0
	s_delay_alu instid0(VALU_DEP_2) | instskip(SKIP_1) | instid1(VALU_DEP_1)
	v_cndmask_b32_e32 v100, v100, v50, vcc_lo
	s_wait_dscnt 0x0
	v_mul_f32_e32 v104, v100, v101
	s_cbranch_execz .LBB16_181
	s_branch .LBB16_182
.LBB16_180:
                                        ; implicit-def: $vgpr104
.LBB16_181:
	ds_load_b32 v104, v103
.LBB16_182:
	s_and_saveexec_b32 s5, s0
	s_cbranch_execz .LBB16_192
; %bb.183:
	v_dual_add_nc_u32 v100, -5, v0 :: v_dual_add_nc_u32 v101, -4, v0
	s_delay_alu instid0(VALU_DEP_1)
	v_cmp_lt_u32_e32 vcc_lo, 6, v100
	v_mov_b32_e32 v100, 4
	s_and_saveexec_b32 s0, vcc_lo
	s_cbranch_execz .LBB16_187
; %bb.184:
	v_and_b32_e32 v100, -8, v101
	s_mov_b32 s6, 0
	s_mov_b64 s[2:3], 5
	s_movk_i32 s7, 0x60
	s_delay_alu instid0(VALU_DEP_1)
	v_sub_nc_u32_e32 v102, 0, v100
.LBB16_185:                             ; =>This Inner Loop Header: Depth=1
	s_add_co_i32 m0, s2, -1
	v_movrels_b32_e32 v105, v34
	v_mov_b32_e32 v100, s7
	s_mov_b32 m0, s2
	s_add_co_i32 s7, s7, 32
	v_movrels_b32_e32 v114, v34
	s_add_co_i32 m0, s2, 1
	ds_load_b128 v[106:109], v100
	ds_load_b128 v[110:113], v100 offset:16
	v_movrels_b32_e32 v100, v34
	s_add_co_i32 m0, s2, 2
	s_wait_dscnt 0x1
	v_fmac_f32_e32 v104, v105, v106
	v_movrels_b32_e32 v105, v34
	s_add_co_i32 m0, s2, 3
	s_delay_alu instid0(VALU_DEP_2) | instskip(NEXT) | instid1(VALU_DEP_1)
	v_fmac_f32_e32 v104, v114, v107
	v_fmac_f32_e32 v104, v100, v108
	v_movrels_b32_e32 v100, v34
	s_add_co_i32 m0, s2, 4
	s_delay_alu instid0(VALU_DEP_2) | instskip(SKIP_3) | instid1(VALU_DEP_2)
	v_fmac_f32_e32 v104, v105, v109
	v_movrels_b32_e32 v105, v34
	s_add_co_i32 m0, s2, 5
	s_wait_dscnt 0x0
	v_fmac_f32_e32 v104, v100, v110
	v_movrels_b32_e32 v100, v34
	s_add_co_i32 m0, s2, 6
	s_add_nc_u64 s[2:3], s[2:3], 8
	v_movrels_b32_e32 v106, v34
	v_dual_fmac_f32 v104, v105, v111 :: v_dual_add_nc_u32 v105, s2, v102
	s_add_co_i32 s8, s2, -1
	s_delay_alu instid0(VALU_DEP_1) | instskip(NEXT) | instid1(VALU_DEP_2)
	v_fmac_f32_e32 v104, v100, v112
	v_cmp_eq_u32_e32 vcc_lo, 5, v105
	s_delay_alu instid0(VALU_DEP_2) | instskip(SKIP_1) | instid1(SALU_CYCLE_1)
	v_dual_mov_b32 v100, s8 :: v_dual_fmac_f32 v104, v106, v113
	s_or_b32 s6, vcc_lo, s6
	s_and_not1_b32 exec_lo, exec_lo, s6
	s_cbranch_execnz .LBB16_185
; %bb.186:
	s_or_b32 exec_lo, exec_lo, s6
.LBB16_187:
	s_delay_alu instid0(SALU_CYCLE_1) | instskip(SKIP_3) | instid1(VALU_DEP_1)
	s_or_b32 exec_lo, exec_lo, s0
	v_and_b32_e32 v51, 7, v101
	s_mov_b32 s2, 0
	s_mov_b32 s0, exec_lo
	v_cmpx_ne_u32_e32 0, v51
	s_cbranch_execz .LBB16_191
; %bb.188:
	v_lshl_add_u32 v52, v100, 2, 0x50
	v_mov_b32_e32 v101, 0
.LBB16_189:                             ; =>This Inner Loop Header: Depth=1
	v_cmp_eq_u32_e32 vcc_lo, 1, v100
	ds_load_b32 v54, v52
	v_dual_add_nc_u32 v52, 4, v52 :: v_dual_add_nc_u32 v51, -1, v51
	v_cndmask_b32_e32 v53, v34, v35, vcc_lo
	v_cmp_eq_u32_e32 vcc_lo, 2, v100
	s_delay_alu instid0(VALU_DEP_2) | instskip(SKIP_1) | instid1(VALU_DEP_2)
	v_cndmask_b32_e32 v53, v53, v36, vcc_lo
	v_cmp_eq_u32_e32 vcc_lo, 3, v100
	v_cndmask_b32_e32 v53, v53, v37, vcc_lo
	v_cmp_eq_u32_e32 vcc_lo, 4, v100
	s_delay_alu instid0(VALU_DEP_2) | instskip(SKIP_1) | instid1(VALU_DEP_2)
	v_cndmask_b32_e32 v53, v53, v38, vcc_lo
	v_cmp_eq_u32_e32 vcc_lo, 5, v100
	;; [unrolled: 5-line block ×7, first 2 shown]
	v_cndmask_b32_e32 v53, v53, v49, vcc_lo
	v_cmp_eq_u32_e32 vcc_lo, 16, v100
	v_add_nc_u64_e32 v[100:101], 1, v[100:101]
	s_delay_alu instid0(VALU_DEP_3) | instskip(SKIP_2) | instid1(VALU_DEP_2)
	v_cndmask_b32_e32 v53, v53, v50, vcc_lo
	v_cmp_eq_u32_e32 vcc_lo, 0, v51
	s_wait_dscnt 0x0
	v_fmac_f32_e32 v104, v53, v54
	s_or_b32 s2, vcc_lo, s2
	s_delay_alu instid0(SALU_CYCLE_1)
	s_and_not1_b32 exec_lo, exec_lo, s2
	s_cbranch_execnz .LBB16_189
; %bb.190:
	s_or_b32 exec_lo, exec_lo, s2
.LBB16_191:
	s_delay_alu instid0(SALU_CYCLE_1)
	s_or_b32 exec_lo, exec_lo, s0
.LBB16_192:
	s_delay_alu instid0(SALU_CYCLE_1)
	s_or_b32 exec_lo, exec_lo, s5
	v_mov_b32_e32 v37, 0
	ds_load_b32 v37, v37 offset:12
	s_wait_dscnt 0x0
	v_mul_f32_e32 v37, v104, v37
.LBB16_193:
	s_or_b32 exec_lo, exec_lo, s4
	v_cmp_lt_u32_e64 s0, 2, v0
	ds_store_b32 v103, v36
	s_wait_dscnt 0x0
	s_barrier_signal -1
	s_barrier_wait -1
	s_and_saveexec_b32 s4, s0
	s_cbranch_execz .LBB16_209
; %bb.194:
	s_and_not1_b32 vcc_lo, exec_lo, s17
	s_cbranch_vccnz .LBB16_196
; %bb.195:
	v_cmp_eq_u32_e32 vcc_lo, 1, v0
	ds_load_b32 v101, v103
	v_cndmask_b32_e32 v100, v34, v35, vcc_lo
	v_cmp_eq_u32_e32 vcc_lo, 2, v0
	s_delay_alu instid0(VALU_DEP_2) | instskip(SKIP_1) | instid1(VALU_DEP_2)
	v_cndmask_b32_e32 v100, v100, v36, vcc_lo
	v_cmp_eq_u32_e32 vcc_lo, 3, v0
	v_cndmask_b32_e32 v100, v100, v37, vcc_lo
	v_cmp_eq_u32_e32 vcc_lo, 4, v0
	s_delay_alu instid0(VALU_DEP_2) | instskip(SKIP_1) | instid1(VALU_DEP_2)
	v_cndmask_b32_e32 v100, v100, v38, vcc_lo
	v_cmp_eq_u32_e32 vcc_lo, 5, v0
	;; [unrolled: 5-line block ×7, first 2 shown]
	v_cndmask_b32_e32 v100, v100, v49, vcc_lo
	v_cmp_eq_u32_e32 vcc_lo, 16, v0
	s_delay_alu instid0(VALU_DEP_2) | instskip(SKIP_1) | instid1(VALU_DEP_1)
	v_cndmask_b32_e32 v100, v100, v50, vcc_lo
	s_wait_dscnt 0x0
	v_mul_f32_e32 v104, v100, v101
	s_cbranch_execz .LBB16_197
	s_branch .LBB16_198
.LBB16_196:
                                        ; implicit-def: $vgpr104
.LBB16_197:
	ds_load_b32 v104, v103
.LBB16_198:
	s_and_saveexec_b32 s5, s1
	s_cbranch_execz .LBB16_208
; %bb.199:
	v_dual_add_nc_u32 v100, -4, v0 :: v_dual_add_nc_u32 v101, -3, v0
	s_delay_alu instid0(VALU_DEP_1)
	v_cmp_lt_u32_e32 vcc_lo, 6, v100
	v_mov_b32_e32 v100, 3
	s_and_saveexec_b32 s1, vcc_lo
	s_cbranch_execz .LBB16_203
; %bb.200:
	v_and_b32_e32 v100, -8, v101
	s_mov_b32 s6, 0
	s_mov_b64 s[2:3], 10
	s_movk_i32 s7, 0x5c
	s_delay_alu instid0(VALU_DEP_1)
	v_sub_nc_u32_e32 v102, 0, v100
.LBB16_201:                             ; =>This Inner Loop Header: Depth=1
	s_add_co_i32 m0, s2, -7
	v_movrels_b32_e32 v105, v34
	v_mov_b32_e32 v100, s7
	s_add_co_i32 m0, s2, -6
	s_add_co_i32 s7, s7, 32
	v_movrels_b32_e32 v114, v34
	ds_load_2addr_b32 v[106:107], v100 offset1:1
	ds_load_2addr_b32 v[108:109], v100 offset0:2 offset1:3
	s_add_co_i32 m0, s2, -5
	s_wait_dscnt 0x1
	v_fmac_f32_e32 v104, v105, v106
	ds_load_2addr_b32 v[110:111], v100 offset0:4 offset1:5
	ds_load_2addr_b32 v[112:113], v100 offset0:6 offset1:7
	v_movrels_b32_e32 v100, v34
	s_add_co_i32 m0, s2, -4
	v_fmac_f32_e32 v104, v114, v107
	v_movrels_b32_e32 v105, v34
	s_add_co_i32 m0, s2, -3
	s_wait_dscnt 0x2
	s_delay_alu instid0(VALU_DEP_2) | instskip(SKIP_2) | instid1(VALU_DEP_2)
	v_fmac_f32_e32 v104, v100, v108
	v_movrels_b32_e32 v100, v34
	s_add_co_i32 m0, s2, -2
	v_fmac_f32_e32 v104, v105, v109
	v_movrels_b32_e32 v105, v34
	s_add_co_i32 m0, s2, -1
	s_wait_dscnt 0x1
	s_delay_alu instid0(VALU_DEP_2)
	v_fmac_f32_e32 v104, v100, v110
	v_movrels_b32_e32 v100, v34
	s_mov_b32 m0, s2
	s_add_nc_u64 s[2:3], s[2:3], 8
	v_movrels_b32_e32 v106, v34
	v_dual_fmac_f32 v104, v105, v111 :: v_dual_add_nc_u32 v105, s2, v102
	s_add_co_i32 s8, s2, -7
	s_wait_dscnt 0x0
	s_delay_alu instid0(VALU_DEP_1) | instskip(NEXT) | instid1(VALU_DEP_2)
	v_fmac_f32_e32 v104, v100, v112
	v_cmp_eq_u32_e32 vcc_lo, 10, v105
	s_delay_alu instid0(VALU_DEP_2) | instskip(SKIP_1) | instid1(SALU_CYCLE_1)
	v_dual_mov_b32 v100, s8 :: v_dual_fmac_f32 v104, v106, v113
	s_or_b32 s6, vcc_lo, s6
	s_and_not1_b32 exec_lo, exec_lo, s6
	s_cbranch_execnz .LBB16_201
; %bb.202:
	s_or_b32 exec_lo, exec_lo, s6
.LBB16_203:
	s_delay_alu instid0(SALU_CYCLE_1) | instskip(SKIP_3) | instid1(VALU_DEP_1)
	s_or_b32 exec_lo, exec_lo, s1
	v_and_b32_e32 v51, 7, v101
	s_mov_b32 s2, 0
	s_mov_b32 s1, exec_lo
	v_cmpx_ne_u32_e32 0, v51
	s_cbranch_execz .LBB16_207
; %bb.204:
	v_lshl_add_u32 v52, v100, 2, 0x50
	v_mov_b32_e32 v101, 0
.LBB16_205:                             ; =>This Inner Loop Header: Depth=1
	v_cmp_eq_u32_e32 vcc_lo, 1, v100
	ds_load_b32 v54, v52
	v_dual_add_nc_u32 v52, 4, v52 :: v_dual_add_nc_u32 v51, -1, v51
	v_cndmask_b32_e32 v53, v34, v35, vcc_lo
	v_cmp_eq_u32_e32 vcc_lo, 2, v100
	s_delay_alu instid0(VALU_DEP_2) | instskip(SKIP_1) | instid1(VALU_DEP_2)
	v_cndmask_b32_e32 v53, v53, v36, vcc_lo
	v_cmp_eq_u32_e32 vcc_lo, 3, v100
	v_cndmask_b32_e32 v53, v53, v37, vcc_lo
	v_cmp_eq_u32_e32 vcc_lo, 4, v100
	s_delay_alu instid0(VALU_DEP_2) | instskip(SKIP_1) | instid1(VALU_DEP_2)
	v_cndmask_b32_e32 v53, v53, v38, vcc_lo
	v_cmp_eq_u32_e32 vcc_lo, 5, v100
	;; [unrolled: 5-line block ×7, first 2 shown]
	v_cndmask_b32_e32 v53, v53, v49, vcc_lo
	v_cmp_eq_u32_e32 vcc_lo, 16, v100
	v_add_nc_u64_e32 v[100:101], 1, v[100:101]
	s_delay_alu instid0(VALU_DEP_3) | instskip(SKIP_2) | instid1(VALU_DEP_2)
	v_cndmask_b32_e32 v53, v53, v50, vcc_lo
	v_cmp_eq_u32_e32 vcc_lo, 0, v51
	s_wait_dscnt 0x0
	v_fmac_f32_e32 v104, v53, v54
	s_or_b32 s2, vcc_lo, s2
	s_delay_alu instid0(SALU_CYCLE_1)
	s_and_not1_b32 exec_lo, exec_lo, s2
	s_cbranch_execnz .LBB16_205
; %bb.206:
	s_or_b32 exec_lo, exec_lo, s2
.LBB16_207:
	s_delay_alu instid0(SALU_CYCLE_1)
	s_or_b32 exec_lo, exec_lo, s1
.LBB16_208:
	s_delay_alu instid0(SALU_CYCLE_1)
	s_or_b32 exec_lo, exec_lo, s5
	v_mov_b32_e32 v36, 0
	ds_load_b32 v36, v36 offset:8
	s_wait_dscnt 0x0
	v_mul_f32_e32 v36, v104, v36
.LBB16_209:
	s_or_b32 exec_lo, exec_lo, s4
	v_cmp_lt_u32_e64 s1, 1, v0
	ds_store_b32 v103, v35
	s_wait_dscnt 0x0
	s_barrier_signal -1
	s_barrier_wait -1
	s_and_saveexec_b32 s4, s1
	s_cbranch_execz .LBB16_225
; %bb.210:
	s_and_not1_b32 vcc_lo, exec_lo, s17
	s_cbranch_vccnz .LBB16_212
; %bb.211:
	v_cmp_eq_u32_e32 vcc_lo, 1, v0
	ds_load_b32 v101, v103
	v_cndmask_b32_e32 v100, v34, v35, vcc_lo
	v_cmp_eq_u32_e32 vcc_lo, 2, v0
	s_delay_alu instid0(VALU_DEP_2) | instskip(SKIP_1) | instid1(VALU_DEP_2)
	v_cndmask_b32_e32 v100, v100, v36, vcc_lo
	v_cmp_eq_u32_e32 vcc_lo, 3, v0
	v_cndmask_b32_e32 v100, v100, v37, vcc_lo
	v_cmp_eq_u32_e32 vcc_lo, 4, v0
	s_delay_alu instid0(VALU_DEP_2) | instskip(SKIP_1) | instid1(VALU_DEP_2)
	v_cndmask_b32_e32 v100, v100, v38, vcc_lo
	v_cmp_eq_u32_e32 vcc_lo, 5, v0
	;; [unrolled: 5-line block ×7, first 2 shown]
	v_cndmask_b32_e32 v100, v100, v49, vcc_lo
	v_cmp_eq_u32_e32 vcc_lo, 16, v0
	s_delay_alu instid0(VALU_DEP_2) | instskip(SKIP_1) | instid1(VALU_DEP_1)
	v_cndmask_b32_e32 v100, v100, v50, vcc_lo
	s_wait_dscnt 0x0
	v_mul_f32_e32 v104, v100, v101
	s_cbranch_execz .LBB16_213
	s_branch .LBB16_214
.LBB16_212:
                                        ; implicit-def: $vgpr104
.LBB16_213:
	ds_load_b32 v104, v103
.LBB16_214:
	s_and_saveexec_b32 s5, s0
	s_cbranch_execz .LBB16_224
; %bb.215:
	v_dual_add_nc_u32 v100, -3, v0 :: v_dual_add_nc_u32 v101, -2, v0
	s_delay_alu instid0(VALU_DEP_1)
	v_cmp_lt_u32_e32 vcc_lo, 6, v100
	v_mov_b32_e32 v100, 2
	s_and_saveexec_b32 s0, vcc_lo
	s_cbranch_execz .LBB16_219
; %bb.216:
	v_and_b32_e32 v100, -8, v101
	s_mov_b32 s6, 0
	s_mov_b64 s[2:3], 9
	s_movk_i32 s7, 0x58
	s_delay_alu instid0(VALU_DEP_1)
	v_sub_nc_u32_e32 v102, 0, v100
.LBB16_217:                             ; =>This Inner Loop Header: Depth=1
	s_add_co_i32 m0, s2, -7
	v_movrels_b32_e32 v105, v34
	v_mov_b32_e32 v100, s7
	s_add_co_i32 m0, s2, -6
	s_add_co_i32 s7, s7, 32
	v_movrels_b32_e32 v114, v34
	s_add_co_i32 m0, s2, -5
	ds_load_2addr_b64 v[106:109], v100 offset1:1
	ds_load_2addr_b64 v[110:113], v100 offset0:2 offset1:3
	v_movrels_b32_e32 v100, v34
	s_add_co_i32 m0, s2, -4
	s_wait_dscnt 0x1
	v_fmac_f32_e32 v104, v105, v106
	v_movrels_b32_e32 v105, v34
	s_add_co_i32 m0, s2, -3
	s_delay_alu instid0(VALU_DEP_2) | instskip(NEXT) | instid1(VALU_DEP_1)
	v_fmac_f32_e32 v104, v114, v107
	v_fmac_f32_e32 v104, v100, v108
	v_movrels_b32_e32 v100, v34
	s_add_co_i32 m0, s2, -2
	s_delay_alu instid0(VALU_DEP_2) | instskip(SKIP_3) | instid1(VALU_DEP_2)
	v_fmac_f32_e32 v104, v105, v109
	v_movrels_b32_e32 v105, v34
	s_add_co_i32 m0, s2, -1
	s_wait_dscnt 0x0
	v_fmac_f32_e32 v104, v100, v110
	v_movrels_b32_e32 v100, v34
	s_mov_b32 m0, s2
	s_add_nc_u64 s[2:3], s[2:3], 8
	v_movrels_b32_e32 v106, v34
	v_dual_fmac_f32 v104, v105, v111 :: v_dual_add_nc_u32 v105, s2, v102
	s_add_co_i32 s8, s2, -7
	s_delay_alu instid0(VALU_DEP_1) | instskip(NEXT) | instid1(VALU_DEP_2)
	v_fmac_f32_e32 v104, v100, v112
	v_cmp_eq_u32_e32 vcc_lo, 9, v105
	s_delay_alu instid0(VALU_DEP_2) | instskip(SKIP_1) | instid1(SALU_CYCLE_1)
	v_dual_mov_b32 v100, s8 :: v_dual_fmac_f32 v104, v106, v113
	s_or_b32 s6, vcc_lo, s6
	s_and_not1_b32 exec_lo, exec_lo, s6
	s_cbranch_execnz .LBB16_217
; %bb.218:
	s_or_b32 exec_lo, exec_lo, s6
.LBB16_219:
	s_delay_alu instid0(SALU_CYCLE_1) | instskip(SKIP_3) | instid1(VALU_DEP_1)
	s_or_b32 exec_lo, exec_lo, s0
	v_and_b32_e32 v51, 7, v101
	s_mov_b32 s2, 0
	s_mov_b32 s0, exec_lo
	v_cmpx_ne_u32_e32 0, v51
	s_cbranch_execz .LBB16_223
; %bb.220:
	v_lshl_add_u32 v52, v100, 2, 0x50
	v_mov_b32_e32 v101, 0
.LBB16_221:                             ; =>This Inner Loop Header: Depth=1
	v_cmp_eq_u32_e32 vcc_lo, 1, v100
	ds_load_b32 v54, v52
	v_dual_add_nc_u32 v52, 4, v52 :: v_dual_add_nc_u32 v51, -1, v51
	v_cndmask_b32_e32 v53, v34, v35, vcc_lo
	v_cmp_eq_u32_e32 vcc_lo, 2, v100
	s_delay_alu instid0(VALU_DEP_2) | instskip(SKIP_1) | instid1(VALU_DEP_2)
	v_cndmask_b32_e32 v53, v53, v36, vcc_lo
	v_cmp_eq_u32_e32 vcc_lo, 3, v100
	v_cndmask_b32_e32 v53, v53, v37, vcc_lo
	v_cmp_eq_u32_e32 vcc_lo, 4, v100
	s_delay_alu instid0(VALU_DEP_2) | instskip(SKIP_1) | instid1(VALU_DEP_2)
	v_cndmask_b32_e32 v53, v53, v38, vcc_lo
	v_cmp_eq_u32_e32 vcc_lo, 5, v100
	;; [unrolled: 5-line block ×7, first 2 shown]
	v_cndmask_b32_e32 v53, v53, v49, vcc_lo
	v_cmp_eq_u32_e32 vcc_lo, 16, v100
	v_add_nc_u64_e32 v[100:101], 1, v[100:101]
	s_delay_alu instid0(VALU_DEP_3) | instskip(SKIP_2) | instid1(VALU_DEP_2)
	v_cndmask_b32_e32 v53, v53, v50, vcc_lo
	v_cmp_eq_u32_e32 vcc_lo, 0, v51
	s_wait_dscnt 0x0
	v_fmac_f32_e32 v104, v53, v54
	s_or_b32 s2, vcc_lo, s2
	s_delay_alu instid0(SALU_CYCLE_1)
	s_and_not1_b32 exec_lo, exec_lo, s2
	s_cbranch_execnz .LBB16_221
; %bb.222:
	s_or_b32 exec_lo, exec_lo, s2
.LBB16_223:
	s_delay_alu instid0(SALU_CYCLE_1)
	s_or_b32 exec_lo, exec_lo, s0
.LBB16_224:
	s_delay_alu instid0(SALU_CYCLE_1)
	s_or_b32 exec_lo, exec_lo, s5
	v_mov_b32_e32 v35, 0
	ds_load_b32 v35, v35 offset:4
	s_wait_dscnt 0x0
	v_mul_f32_e32 v35, v104, v35
.LBB16_225:
	s_or_b32 exec_lo, exec_lo, s4
	s_mov_b32 s2, 0
	s_mov_b32 s3, exec_lo
	ds_store_b32 v103, v34
	s_wait_dscnt 0x0
	s_barrier_signal -1
	s_barrier_wait -1
	v_cmpx_ne_u32_e32 0, v0
	s_cbranch_execz .LBB16_241
; %bb.226:
	s_and_not1_b32 vcc_lo, exec_lo, s17
	s_cbranch_vccnz .LBB16_228
; %bb.227:
	v_cmp_eq_u32_e32 vcc_lo, 1, v0
	ds_load_b32 v101, v103
	v_cndmask_b32_e32 v100, v34, v35, vcc_lo
	v_cmp_eq_u32_e32 vcc_lo, 2, v0
	s_delay_alu instid0(VALU_DEP_2) | instskip(SKIP_1) | instid1(VALU_DEP_2)
	v_cndmask_b32_e32 v100, v100, v36, vcc_lo
	v_cmp_eq_u32_e32 vcc_lo, 3, v0
	v_cndmask_b32_e32 v100, v100, v37, vcc_lo
	v_cmp_eq_u32_e32 vcc_lo, 4, v0
	s_delay_alu instid0(VALU_DEP_2) | instskip(SKIP_1) | instid1(VALU_DEP_2)
	v_cndmask_b32_e32 v100, v100, v38, vcc_lo
	v_cmp_eq_u32_e32 vcc_lo, 5, v0
	;; [unrolled: 5-line block ×7, first 2 shown]
	v_cndmask_b32_e32 v100, v100, v49, vcc_lo
	v_cmp_eq_u32_e32 vcc_lo, 16, v0
	s_delay_alu instid0(VALU_DEP_2) | instskip(SKIP_1) | instid1(VALU_DEP_1)
	v_cndmask_b32_e32 v100, v100, v50, vcc_lo
	s_wait_dscnt 0x0
	v_mul_f32_e32 v104, v100, v101
	s_cbranch_execz .LBB16_229
	s_branch .LBB16_230
.LBB16_228:
                                        ; implicit-def: $vgpr104
.LBB16_229:
	ds_load_b32 v104, v103
.LBB16_230:
	s_and_saveexec_b32 s4, s1
	s_cbranch_execz .LBB16_240
; %bb.231:
	v_dual_add_nc_u32 v100, -2, v0 :: v_dual_add_nc_u32 v101, -1, v0
	s_delay_alu instid0(VALU_DEP_1)
	v_cmp_lt_u32_e32 vcc_lo, 6, v100
	v_mov_b32_e32 v100, 1
	s_and_saveexec_b32 s5, vcc_lo
	s_cbranch_execz .LBB16_235
; %bb.232:
	v_and_b32_e32 v100, -8, v101
	s_mov_b32 s6, 0
	s_mov_b64 s[0:1], 8
	s_movk_i32 s7, 0x54
	s_delay_alu instid0(VALU_DEP_1)
	v_sub_nc_u32_e32 v102, 0, v100
.LBB16_233:                             ; =>This Inner Loop Header: Depth=1
	s_add_co_i32 m0, s0, -7
	v_movrels_b32_e32 v105, v34
	v_mov_b32_e32 v100, s7
	s_add_co_i32 m0, s0, -6
	s_add_co_i32 s7, s7, 32
	v_movrels_b32_e32 v114, v34
	ds_load_2addr_b32 v[106:107], v100 offset1:1
	ds_load_2addr_b32 v[108:109], v100 offset0:2 offset1:3
	s_add_co_i32 m0, s0, -5
	s_wait_dscnt 0x1
	v_fmac_f32_e32 v104, v105, v106
	ds_load_2addr_b32 v[110:111], v100 offset0:4 offset1:5
	ds_load_2addr_b32 v[112:113], v100 offset0:6 offset1:7
	v_movrels_b32_e32 v100, v34
	s_add_co_i32 m0, s0, -4
	v_fmac_f32_e32 v104, v114, v107
	v_movrels_b32_e32 v105, v34
	s_add_co_i32 m0, s0, -3
	s_wait_dscnt 0x2
	s_delay_alu instid0(VALU_DEP_2) | instskip(SKIP_2) | instid1(VALU_DEP_2)
	v_fmac_f32_e32 v104, v100, v108
	v_movrels_b32_e32 v100, v34
	s_add_co_i32 m0, s0, -2
	v_fmac_f32_e32 v104, v105, v109
	v_movrels_b32_e32 v105, v34
	s_add_co_i32 m0, s0, -1
	s_wait_dscnt 0x1
	s_delay_alu instid0(VALU_DEP_2)
	v_fmac_f32_e32 v104, v100, v110
	v_movrels_b32_e32 v100, v34
	s_mov_b32 m0, s0
	s_add_nc_u64 s[0:1], s[0:1], 8
	v_movrels_b32_e32 v106, v34
	v_dual_fmac_f32 v104, v105, v111 :: v_dual_add_nc_u32 v105, s0, v102
	s_add_co_i32 s8, s0, -7
	s_wait_dscnt 0x0
	s_delay_alu instid0(VALU_DEP_1) | instskip(NEXT) | instid1(VALU_DEP_2)
	v_fmac_f32_e32 v104, v100, v112
	v_cmp_eq_u32_e32 vcc_lo, 8, v105
	s_delay_alu instid0(VALU_DEP_2) | instskip(SKIP_1) | instid1(SALU_CYCLE_1)
	v_dual_mov_b32 v100, s8 :: v_dual_fmac_f32 v104, v106, v113
	s_or_b32 s6, vcc_lo, s6
	s_and_not1_b32 exec_lo, exec_lo, s6
	s_cbranch_execnz .LBB16_233
; %bb.234:
	s_or_b32 exec_lo, exec_lo, s6
.LBB16_235:
	s_delay_alu instid0(SALU_CYCLE_1) | instskip(SKIP_3) | instid1(VALU_DEP_1)
	s_or_b32 exec_lo, exec_lo, s5
	v_and_b32_e32 v51, 7, v101
	s_mov_b32 s1, 0
	s_mov_b32 s0, exec_lo
	v_cmpx_ne_u32_e32 0, v51
	s_cbranch_execz .LBB16_239
; %bb.236:
	v_lshl_add_u32 v52, v100, 2, 0x50
	v_mov_b32_e32 v101, 0
.LBB16_237:                             ; =>This Inner Loop Header: Depth=1
	v_cmp_eq_u32_e32 vcc_lo, 1, v100
	ds_load_b32 v54, v52
	v_dual_add_nc_u32 v52, 4, v52 :: v_dual_add_nc_u32 v51, -1, v51
	v_cndmask_b32_e32 v53, v34, v35, vcc_lo
	v_cmp_eq_u32_e32 vcc_lo, 2, v100
	s_delay_alu instid0(VALU_DEP_2) | instskip(SKIP_1) | instid1(VALU_DEP_2)
	v_cndmask_b32_e32 v53, v53, v36, vcc_lo
	v_cmp_eq_u32_e32 vcc_lo, 3, v100
	v_cndmask_b32_e32 v53, v53, v37, vcc_lo
	v_cmp_eq_u32_e32 vcc_lo, 4, v100
	s_delay_alu instid0(VALU_DEP_2) | instskip(SKIP_1) | instid1(VALU_DEP_2)
	v_cndmask_b32_e32 v53, v53, v38, vcc_lo
	v_cmp_eq_u32_e32 vcc_lo, 5, v100
	;; [unrolled: 5-line block ×7, first 2 shown]
	v_cndmask_b32_e32 v53, v53, v49, vcc_lo
	v_cmp_eq_u32_e32 vcc_lo, 16, v100
	v_add_nc_u64_e32 v[100:101], 1, v[100:101]
	s_delay_alu instid0(VALU_DEP_3) | instskip(SKIP_2) | instid1(VALU_DEP_2)
	v_cndmask_b32_e32 v53, v53, v50, vcc_lo
	v_cmp_eq_u32_e32 vcc_lo, 0, v51
	s_wait_dscnt 0x0
	v_fmac_f32_e32 v104, v53, v54
	s_or_b32 s1, vcc_lo, s1
	s_delay_alu instid0(SALU_CYCLE_1)
	s_and_not1_b32 exec_lo, exec_lo, s1
	s_cbranch_execnz .LBB16_237
; %bb.238:
	s_or_b32 exec_lo, exec_lo, s1
.LBB16_239:
	s_delay_alu instid0(SALU_CYCLE_1)
	s_or_b32 exec_lo, exec_lo, s0
.LBB16_240:
	s_delay_alu instid0(SALU_CYCLE_1)
	s_or_b32 exec_lo, exec_lo, s4
	v_mov_b32_e32 v34, 0
	ds_load_b32 v34, v34
	s_wait_dscnt 0x0
	v_mul_f32_e32 v34, v104, v34
.LBB16_241:
	s_or_b32 exec_lo, exec_lo, s3
	s_delay_alu instid0(SALU_CYCLE_1)
	s_and_b32 vcc_lo, exec_lo, s2
	s_cbranch_vccz .LBB16_405
.LBB16_242:
	v_cmp_eq_u32_e64 s0, 0, v0
	s_wait_loadcnt 0xf
	ds_store_b32 v103, v3
	s_wait_loadcnt_dscnt 0x0
	s_barrier_signal -1
	s_barrier_wait -1
	s_and_saveexec_b32 s1, s0
	s_cbranch_execz .LBB16_248
; %bb.243:
	s_and_b32 vcc_lo, exec_lo, s17
	s_cbranch_vccz .LBB16_245
; %bb.244:
	v_cmp_eq_u32_e32 vcc_lo, 1, v0
	ds_load_b32 v19, v103
	v_cndmask_b32_e32 v3, v2, v3, vcc_lo
	v_cmp_eq_u32_e32 vcc_lo, 2, v0
	s_delay_alu instid0(VALU_DEP_2) | instskip(SKIP_1) | instid1(VALU_DEP_2)
	v_cndmask_b32_e32 v3, v3, v4, vcc_lo
	v_cmp_eq_u32_e32 vcc_lo, 3, v0
	v_cndmask_b32_e32 v3, v3, v5, vcc_lo
	v_cmp_eq_u32_e32 vcc_lo, 4, v0
	s_delay_alu instid0(VALU_DEP_2) | instskip(SKIP_1) | instid1(VALU_DEP_2)
	v_cndmask_b32_e32 v3, v3, v6, vcc_lo
	v_cmp_eq_u32_e32 vcc_lo, 5, v0
	;; [unrolled: 5-line block ×7, first 2 shown]
	v_cndmask_b32_e32 v3, v3, v17, vcc_lo
	v_cmp_eq_u32_e32 vcc_lo, 16, v0
	s_delay_alu instid0(VALU_DEP_2) | instskip(SKIP_1) | instid1(VALU_DEP_1)
	v_cndmask_b32_e32 v3, v3, v18, vcc_lo
	s_wait_dscnt 0x0
	v_mul_f32_e32 v3, v3, v19
	s_cbranch_execz .LBB16_246
	s_branch .LBB16_247
.LBB16_245:
                                        ; implicit-def: $vgpr3
.LBB16_246:
	ds_load_b32 v3, v103
.LBB16_247:
	v_mov_b32_e32 v19, 0
	ds_load_b32 v19, v19 offset:4
	s_wait_dscnt 0x0
	v_mul_f32_e32 v3, v3, v19
.LBB16_248:
	s_or_b32 exec_lo, exec_lo, s1
	v_cndmask_b32_e64 v34, 0, 1, s17
	s_mov_b32 s1, exec_lo
	ds_store_b32 v103, v4
	s_wait_dscnt 0x0
	s_barrier_signal -1
	s_barrier_wait -1
	v_cmpx_gt_u32_e32 2, v0
	s_cbranch_execz .LBB16_254
; %bb.249:
	s_and_not1_b32 vcc_lo, exec_lo, s17
	s_cbranch_vccnz .LBB16_251
; %bb.250:
	v_cmp_eq_u32_e32 vcc_lo, 1, v0
	v_cndmask_b32_e32 v19, v2, v3, vcc_lo
	v_cmp_eq_u32_e32 vcc_lo, 2, v0
	s_delay_alu instid0(VALU_DEP_2) | instskip(SKIP_4) | instid1(VALU_DEP_2)
	v_cndmask_b32_e32 v4, v19, v4, vcc_lo
	v_cmp_eq_u32_e32 vcc_lo, 3, v0
	ds_load_b32 v19, v103
	v_cndmask_b32_e32 v4, v4, v5, vcc_lo
	v_cmp_eq_u32_e32 vcc_lo, 4, v0
	v_cndmask_b32_e32 v4, v4, v6, vcc_lo
	v_cmp_eq_u32_e32 vcc_lo, 5, v0
	s_delay_alu instid0(VALU_DEP_2) | instskip(SKIP_1) | instid1(VALU_DEP_2)
	v_cndmask_b32_e32 v4, v4, v7, vcc_lo
	v_cmp_eq_u32_e32 vcc_lo, 6, v0
	v_cndmask_b32_e32 v4, v4, v8, vcc_lo
	v_cmp_eq_u32_e32 vcc_lo, 7, v0
	s_delay_alu instid0(VALU_DEP_2) | instskip(SKIP_1) | instid1(VALU_DEP_2)
	;; [unrolled: 5-line block ×6, first 2 shown]
	v_cndmask_b32_e32 v4, v4, v17, vcc_lo
	v_cmp_eq_u32_e32 vcc_lo, 16, v0
	v_cndmask_b32_e32 v4, v4, v18, vcc_lo
	s_wait_dscnt 0x0
	s_delay_alu instid0(VALU_DEP_1)
	v_mul_f32_e32 v4, v4, v19
	s_cbranch_execz .LBB16_252
	s_branch .LBB16_253
.LBB16_251:
                                        ; implicit-def: $vgpr4
.LBB16_252:
	ds_load_b32 v4, v103
.LBB16_253:
	v_mov_b32_e32 v19, 0
	ds_load_2addr_b32 v[20:21], v19 offset0:2 offset1:21
	s_wait_dscnt 0x0
	v_fma_f32 v19, v3, v21, v4
	s_delay_alu instid0(VALU_DEP_1) | instskip(NEXT) | instid1(VALU_DEP_1)
	v_cndmask_b32_e64 v4, v4, v19, s0
	v_mul_f32_e32 v4, v4, v20
.LBB16_254:
	s_or_b32 exec_lo, exec_lo, s1
	v_add_nc_u32_e32 v35, 1, v0
	v_cmp_gt_u32_e64 s1, 3, v0
	ds_store_b32 v103, v5
	s_wait_dscnt 0x0
	s_barrier_signal -1
	s_barrier_wait -1
	s_and_saveexec_b32 s2, s1
	s_cbranch_execz .LBB16_262
; %bb.255:
	v_cmp_ne_u32_e32 vcc_lo, 1, v34
	s_cbranch_vccnz .LBB16_257
; %bb.256:
	v_cmp_eq_u32_e32 vcc_lo, 1, v0
	ds_load_b32 v20, v103
	v_cndmask_b32_e32 v19, v2, v3, vcc_lo
	v_cmp_eq_u32_e32 vcc_lo, 2, v0
	s_delay_alu instid0(VALU_DEP_2) | instskip(SKIP_1) | instid1(VALU_DEP_2)
	v_cndmask_b32_e32 v19, v19, v4, vcc_lo
	v_cmp_eq_u32_e32 vcc_lo, 3, v0
	v_cndmask_b32_e32 v19, v19, v5, vcc_lo
	v_cmp_eq_u32_e32 vcc_lo, 4, v0
	s_delay_alu instid0(VALU_DEP_2) | instskip(SKIP_1) | instid1(VALU_DEP_2)
	v_cndmask_b32_e32 v19, v19, v6, vcc_lo
	v_cmp_eq_u32_e32 vcc_lo, 5, v0
	;; [unrolled: 5-line block ×7, first 2 shown]
	v_cndmask_b32_e32 v19, v19, v17, vcc_lo
	v_cmp_eq_u32_e32 vcc_lo, 16, v0
	s_delay_alu instid0(VALU_DEP_2) | instskip(SKIP_1) | instid1(VALU_DEP_1)
	v_cndmask_b32_e32 v19, v19, v18, vcc_lo
	s_wait_dscnt 0x0
	v_mul_f32_e32 v19, v19, v20
	s_cbranch_execz .LBB16_258
	s_branch .LBB16_259
.LBB16_257:
                                        ; implicit-def: $vgpr19
.LBB16_258:
	ds_load_b32 v19, v103
.LBB16_259:
	s_mov_b32 s3, exec_lo
	v_cmpx_ne_u32_e32 2, v0
	s_cbranch_execz .LBB16_261
; %bb.260:
	v_cmp_eq_u32_e32 vcc_lo, 1, v35
	v_dual_mov_b32 v21, 0 :: v_dual_cndmask_b32 v20, v2, v3
	v_cmp_eq_u32_e32 vcc_lo, 2, v35
	ds_load_b32 v21, v21 offset:88
	v_cndmask_b32_e32 v20, v20, v4, vcc_lo
	v_cmp_eq_u32_e32 vcc_lo, 3, v35
	s_delay_alu instid0(VALU_DEP_2) | instskip(SKIP_4) | instid1(VALU_DEP_2)
	v_cndmask_b32_e32 v5, v20, v5, vcc_lo
	v_cmp_eq_u32_e32 vcc_lo, 4, v35
	ds_load_b32 v20, v103 offset:4
	v_cndmask_b32_e32 v5, v5, v6, vcc_lo
	v_cmp_eq_u32_e32 vcc_lo, 5, v35
	v_cndmask_b32_e32 v5, v5, v7, vcc_lo
	v_cmp_eq_u32_e32 vcc_lo, 6, v35
	s_delay_alu instid0(VALU_DEP_2) | instskip(SKIP_1) | instid1(VALU_DEP_2)
	v_cndmask_b32_e32 v5, v5, v8, vcc_lo
	v_cmp_eq_u32_e32 vcc_lo, 7, v35
	v_cndmask_b32_e32 v5, v5, v9, vcc_lo
	v_cmp_eq_u32_e32 vcc_lo, 8, v35
	s_delay_alu instid0(VALU_DEP_2) | instskip(SKIP_1) | instid1(VALU_DEP_2)
	;; [unrolled: 5-line block ×5, first 2 shown]
	v_cndmask_b32_e32 v5, v5, v16, vcc_lo
	v_cmp_eq_u32_e32 vcc_lo, 15, v35
	v_cndmask_b32_e32 v5, v5, v17, vcc_lo
	v_cmp_eq_u32_e32 vcc_lo, 16, v35
	s_delay_alu instid0(VALU_DEP_2) | instskip(SKIP_1) | instid1(VALU_DEP_1)
	v_cndmask_b32_e32 v5, v5, v18, vcc_lo
	s_wait_dscnt 0x0
	v_fmac_f32_e32 v19, v5, v20
	s_delay_alu instid0(VALU_DEP_1) | instskip(NEXT) | instid1(VALU_DEP_1)
	v_fma_f32 v5, v4, v21, v19
	v_cndmask_b32_e64 v19, v19, v5, s0
.LBB16_261:
	s_or_b32 exec_lo, exec_lo, s3
	v_mov_b32_e32 v5, 0
	ds_load_b32 v5, v5 offset:12
	s_wait_dscnt 0x0
	v_mul_f32_e32 v5, v19, v5
.LBB16_262:
	s_or_b32 exec_lo, exec_lo, s2
	s_delay_alu instid0(SALU_CYCLE_1)
	s_mov_b32 s2, exec_lo
	ds_store_b32 v103, v6
	s_wait_dscnt 0x0
	s_barrier_signal -1
	s_barrier_wait -1
	v_cmpx_gt_u32_e32 4, v0
	s_cbranch_execz .LBB16_272
; %bb.263:
	v_cmp_ne_u32_e32 vcc_lo, 1, v34
	s_cbranch_vccnz .LBB16_265
; %bb.264:
	v_cmp_eq_u32_e32 vcc_lo, 1, v0
	ds_load_b32 v20, v103
	v_cndmask_b32_e32 v19, v2, v3, vcc_lo
	v_cmp_eq_u32_e32 vcc_lo, 2, v0
	s_delay_alu instid0(VALU_DEP_2) | instskip(SKIP_1) | instid1(VALU_DEP_2)
	v_cndmask_b32_e32 v19, v19, v4, vcc_lo
	v_cmp_eq_u32_e32 vcc_lo, 3, v0
	v_cndmask_b32_e32 v19, v19, v5, vcc_lo
	v_cmp_eq_u32_e32 vcc_lo, 4, v0
	s_delay_alu instid0(VALU_DEP_2) | instskip(SKIP_1) | instid1(VALU_DEP_2)
	v_cndmask_b32_e32 v19, v19, v6, vcc_lo
	v_cmp_eq_u32_e32 vcc_lo, 5, v0
	;; [unrolled: 5-line block ×7, first 2 shown]
	v_cndmask_b32_e32 v19, v19, v17, vcc_lo
	v_cmp_eq_u32_e32 vcc_lo, 16, v0
	s_delay_alu instid0(VALU_DEP_2) | instskip(SKIP_1) | instid1(VALU_DEP_1)
	v_cndmask_b32_e32 v19, v19, v18, vcc_lo
	s_wait_dscnt 0x0
	v_mul_f32_e32 v19, v19, v20
	s_cbranch_execz .LBB16_266
	s_branch .LBB16_267
.LBB16_265:
                                        ; implicit-def: $vgpr19
.LBB16_266:
	ds_load_b32 v19, v103
.LBB16_267:
	s_mov_b32 s3, exec_lo
	v_cmpx_ne_u32_e32 3, v0
	s_cbranch_execz .LBB16_271
; %bb.268:
	v_mov_b64_e32 v[20:21], v[0:1]
	v_lshl_add_u32 v22, v0, 2, 0x54
	s_mov_b32 s4, 0
.LBB16_269:                             ; =>This Inner Loop Header: Depth=1
	s_delay_alu instid0(VALU_DEP_2)
	v_add_nc_u64_e32 v[20:21], 1, v[20:21]
	ds_load_b32 v24, v22
	v_add_nc_u32_e32 v22, 4, v22
	v_cmp_eq_u32_e32 vcc_lo, 1, v20
	v_cndmask_b32_e32 v23, v2, v3, vcc_lo
	v_cmp_eq_u32_e32 vcc_lo, 2, v20
	s_delay_alu instid0(VALU_DEP_2) | instskip(SKIP_1) | instid1(VALU_DEP_2)
	v_cndmask_b32_e32 v23, v23, v4, vcc_lo
	v_cmp_eq_u32_e32 vcc_lo, 3, v20
	v_cndmask_b32_e32 v23, v23, v5, vcc_lo
	v_cmp_eq_u32_e32 vcc_lo, 4, v20
	s_delay_alu instid0(VALU_DEP_2) | instskip(SKIP_1) | instid1(VALU_DEP_2)
	v_cndmask_b32_e32 v23, v23, v6, vcc_lo
	v_cmp_eq_u32_e32 vcc_lo, 5, v20
	v_cndmask_b32_e32 v23, v23, v7, vcc_lo
	v_cmp_eq_u32_e32 vcc_lo, 6, v20
	s_delay_alu instid0(VALU_DEP_2) | instskip(SKIP_1) | instid1(VALU_DEP_2)
	v_cndmask_b32_e32 v23, v23, v8, vcc_lo
	v_cmp_eq_u32_e32 vcc_lo, 7, v20
	v_cndmask_b32_e32 v23, v23, v9, vcc_lo
	v_cmp_eq_u32_e32 vcc_lo, 8, v20
	s_delay_alu instid0(VALU_DEP_2) | instskip(SKIP_1) | instid1(VALU_DEP_2)
	v_cndmask_b32_e32 v23, v23, v10, vcc_lo
	v_cmp_eq_u32_e32 vcc_lo, 9, v20
	v_cndmask_b32_e32 v23, v23, v11, vcc_lo
	v_cmp_eq_u32_e32 vcc_lo, 10, v20
	s_delay_alu instid0(VALU_DEP_2) | instskip(SKIP_1) | instid1(VALU_DEP_2)
	v_cndmask_b32_e32 v23, v23, v12, vcc_lo
	v_cmp_eq_u32_e32 vcc_lo, 11, v20
	v_cndmask_b32_e32 v23, v23, v13, vcc_lo
	v_cmp_eq_u32_e32 vcc_lo, 12, v20
	s_delay_alu instid0(VALU_DEP_2) | instskip(SKIP_1) | instid1(VALU_DEP_2)
	v_cndmask_b32_e32 v23, v23, v14, vcc_lo
	v_cmp_eq_u32_e32 vcc_lo, 13, v20
	v_cndmask_b32_e32 v23, v23, v15, vcc_lo
	v_cmp_eq_u32_e32 vcc_lo, 14, v20
	s_delay_alu instid0(VALU_DEP_2) | instskip(SKIP_1) | instid1(VALU_DEP_2)
	v_cndmask_b32_e32 v23, v23, v16, vcc_lo
	v_cmp_eq_u32_e32 vcc_lo, 15, v20
	v_cndmask_b32_e32 v23, v23, v17, vcc_lo
	v_cmp_eq_u32_e32 vcc_lo, 16, v20
	s_delay_alu instid0(VALU_DEP_2) | instskip(SKIP_2) | instid1(VALU_DEP_2)
	v_cndmask_b32_e32 v23, v23, v18, vcc_lo
	v_cmp_lt_u32_e32 vcc_lo, 2, v20
	s_wait_dscnt 0x0
	v_fmac_f32_e32 v19, v23, v24
	s_or_b32 s4, vcc_lo, s4
	s_delay_alu instid0(SALU_CYCLE_1)
	s_and_not1_b32 exec_lo, exec_lo, s4
	s_cbranch_execnz .LBB16_269
; %bb.270:
	s_or_b32 exec_lo, exec_lo, s4
.LBB16_271:
	s_delay_alu instid0(SALU_CYCLE_1)
	s_or_b32 exec_lo, exec_lo, s3
	v_mov_b32_e32 v6, 0
	ds_load_b32 v6, v6 offset:16
	s_wait_dscnt 0x0
	v_mul_f32_e32 v6, v19, v6
.LBB16_272:
	s_or_b32 exec_lo, exec_lo, s2
	v_cmp_gt_u32_e64 s2, 5, v0
	ds_store_b32 v103, v7
	s_wait_dscnt 0x0
	s_barrier_signal -1
	s_barrier_wait -1
	s_and_saveexec_b32 s3, s2
	s_cbranch_execz .LBB16_282
; %bb.273:
	v_cmp_ne_u32_e32 vcc_lo, 1, v34
	s_cbranch_vccnz .LBB16_275
; %bb.274:
	v_cmp_eq_u32_e32 vcc_lo, 1, v0
	ds_load_b32 v20, v103
	v_cndmask_b32_e32 v19, v2, v3, vcc_lo
	v_cmp_eq_u32_e32 vcc_lo, 2, v0
	s_delay_alu instid0(VALU_DEP_2) | instskip(SKIP_1) | instid1(VALU_DEP_2)
	v_cndmask_b32_e32 v19, v19, v4, vcc_lo
	v_cmp_eq_u32_e32 vcc_lo, 3, v0
	v_cndmask_b32_e32 v19, v19, v5, vcc_lo
	v_cmp_eq_u32_e32 vcc_lo, 4, v0
	s_delay_alu instid0(VALU_DEP_2) | instskip(SKIP_1) | instid1(VALU_DEP_2)
	v_cndmask_b32_e32 v19, v19, v6, vcc_lo
	v_cmp_eq_u32_e32 vcc_lo, 5, v0
	;; [unrolled: 5-line block ×7, first 2 shown]
	v_cndmask_b32_e32 v19, v19, v17, vcc_lo
	v_cmp_eq_u32_e32 vcc_lo, 16, v0
	s_delay_alu instid0(VALU_DEP_2) | instskip(SKIP_1) | instid1(VALU_DEP_1)
	v_cndmask_b32_e32 v19, v19, v18, vcc_lo
	s_wait_dscnt 0x0
	v_mul_f32_e32 v19, v19, v20
	s_cbranch_execz .LBB16_276
	s_branch .LBB16_277
.LBB16_275:
                                        ; implicit-def: $vgpr19
.LBB16_276:
	ds_load_b32 v19, v103
.LBB16_277:
	s_mov_b32 s4, exec_lo
	v_cmpx_ne_u32_e32 4, v0
	s_cbranch_execz .LBB16_281
; %bb.278:
	v_mov_b64_e32 v[20:21], v[0:1]
	v_lshl_add_u32 v22, v0, 2, 0x54
	s_mov_b32 s5, 0
.LBB16_279:                             ; =>This Inner Loop Header: Depth=1
	s_delay_alu instid0(VALU_DEP_2)
	v_add_nc_u64_e32 v[20:21], 1, v[20:21]
	ds_load_b32 v24, v22
	v_add_nc_u32_e32 v22, 4, v22
	v_cmp_eq_u32_e32 vcc_lo, 1, v20
	v_cndmask_b32_e32 v23, v2, v3, vcc_lo
	v_cmp_eq_u32_e32 vcc_lo, 2, v20
	s_delay_alu instid0(VALU_DEP_2) | instskip(SKIP_1) | instid1(VALU_DEP_2)
	v_cndmask_b32_e32 v23, v23, v4, vcc_lo
	v_cmp_eq_u32_e32 vcc_lo, 3, v20
	v_cndmask_b32_e32 v23, v23, v5, vcc_lo
	v_cmp_eq_u32_e32 vcc_lo, 4, v20
	s_delay_alu instid0(VALU_DEP_2) | instskip(SKIP_1) | instid1(VALU_DEP_2)
	v_cndmask_b32_e32 v23, v23, v6, vcc_lo
	;; [unrolled: 5-line block ×7, first 2 shown]
	v_cmp_eq_u32_e32 vcc_lo, 15, v20
	v_cndmask_b32_e32 v23, v23, v17, vcc_lo
	v_cmp_eq_u32_e32 vcc_lo, 16, v20
	s_delay_alu instid0(VALU_DEP_2) | instskip(SKIP_2) | instid1(VALU_DEP_2)
	v_cndmask_b32_e32 v23, v23, v18, vcc_lo
	v_cmp_lt_u32_e32 vcc_lo, 3, v20
	s_wait_dscnt 0x0
	v_fmac_f32_e32 v19, v23, v24
	s_or_b32 s5, vcc_lo, s5
	s_delay_alu instid0(SALU_CYCLE_1)
	s_and_not1_b32 exec_lo, exec_lo, s5
	s_cbranch_execnz .LBB16_279
; %bb.280:
	s_or_b32 exec_lo, exec_lo, s5
.LBB16_281:
	s_delay_alu instid0(SALU_CYCLE_1)
	s_or_b32 exec_lo, exec_lo, s4
	v_mov_b32_e32 v7, 0
	ds_load_b32 v7, v7 offset:20
	s_wait_dscnt 0x0
	v_mul_f32_e32 v7, v19, v7
.LBB16_282:
	s_or_b32 exec_lo, exec_lo, s3
	s_delay_alu instid0(SALU_CYCLE_1)
	s_mov_b32 s3, exec_lo
	ds_store_b32 v103, v8
	s_wait_dscnt 0x0
	s_barrier_signal -1
	s_barrier_wait -1
	v_cmpx_gt_u32_e32 6, v0
	s_cbranch_execz .LBB16_292
; %bb.283:
	v_cmp_ne_u32_e32 vcc_lo, 1, v34
	s_cbranch_vccnz .LBB16_285
; %bb.284:
	v_cmp_eq_u32_e32 vcc_lo, 1, v0
	ds_load_b32 v20, v103
	v_cndmask_b32_e32 v19, v2, v3, vcc_lo
	v_cmp_eq_u32_e32 vcc_lo, 2, v0
	s_delay_alu instid0(VALU_DEP_2) | instskip(SKIP_1) | instid1(VALU_DEP_2)
	v_cndmask_b32_e32 v19, v19, v4, vcc_lo
	v_cmp_eq_u32_e32 vcc_lo, 3, v0
	v_cndmask_b32_e32 v19, v19, v5, vcc_lo
	v_cmp_eq_u32_e32 vcc_lo, 4, v0
	s_delay_alu instid0(VALU_DEP_2) | instskip(SKIP_1) | instid1(VALU_DEP_2)
	v_cndmask_b32_e32 v19, v19, v6, vcc_lo
	v_cmp_eq_u32_e32 vcc_lo, 5, v0
	v_cndmask_b32_e32 v19, v19, v7, vcc_lo
	v_cmp_eq_u32_e32 vcc_lo, 6, v0
	s_delay_alu instid0(VALU_DEP_2) | instskip(SKIP_1) | instid1(VALU_DEP_2)
	v_cndmask_b32_e32 v19, v19, v8, vcc_lo
	v_cmp_eq_u32_e32 vcc_lo, 7, v0
	v_cndmask_b32_e32 v19, v19, v9, vcc_lo
	v_cmp_eq_u32_e32 vcc_lo, 8, v0
	s_delay_alu instid0(VALU_DEP_2) | instskip(SKIP_1) | instid1(VALU_DEP_2)
	v_cndmask_b32_e32 v19, v19, v10, vcc_lo
	v_cmp_eq_u32_e32 vcc_lo, 9, v0
	v_cndmask_b32_e32 v19, v19, v11, vcc_lo
	v_cmp_eq_u32_e32 vcc_lo, 10, v0
	s_delay_alu instid0(VALU_DEP_2) | instskip(SKIP_1) | instid1(VALU_DEP_2)
	v_cndmask_b32_e32 v19, v19, v12, vcc_lo
	v_cmp_eq_u32_e32 vcc_lo, 11, v0
	v_cndmask_b32_e32 v19, v19, v13, vcc_lo
	v_cmp_eq_u32_e32 vcc_lo, 12, v0
	s_delay_alu instid0(VALU_DEP_2) | instskip(SKIP_1) | instid1(VALU_DEP_2)
	v_cndmask_b32_e32 v19, v19, v14, vcc_lo
	v_cmp_eq_u32_e32 vcc_lo, 13, v0
	v_cndmask_b32_e32 v19, v19, v15, vcc_lo
	v_cmp_eq_u32_e32 vcc_lo, 14, v0
	s_delay_alu instid0(VALU_DEP_2) | instskip(SKIP_1) | instid1(VALU_DEP_2)
	v_cndmask_b32_e32 v19, v19, v16, vcc_lo
	v_cmp_eq_u32_e32 vcc_lo, 15, v0
	v_cndmask_b32_e32 v19, v19, v17, vcc_lo
	v_cmp_eq_u32_e32 vcc_lo, 16, v0
	s_delay_alu instid0(VALU_DEP_2) | instskip(SKIP_1) | instid1(VALU_DEP_1)
	v_cndmask_b32_e32 v19, v19, v18, vcc_lo
	s_wait_dscnt 0x0
	v_mul_f32_e32 v19, v19, v20
	s_cbranch_execz .LBB16_286
	s_branch .LBB16_287
.LBB16_285:
                                        ; implicit-def: $vgpr19
.LBB16_286:
	ds_load_b32 v19, v103
.LBB16_287:
	s_mov_b32 s4, exec_lo
	v_cmpx_ne_u32_e32 5, v0
	s_cbranch_execz .LBB16_291
; %bb.288:
	v_mov_b64_e32 v[20:21], v[0:1]
	v_lshl_add_u32 v22, v0, 2, 0x54
	s_mov_b32 s5, 0
.LBB16_289:                             ; =>This Inner Loop Header: Depth=1
	s_delay_alu instid0(VALU_DEP_2)
	v_add_nc_u64_e32 v[20:21], 1, v[20:21]
	ds_load_b32 v24, v22
	v_add_nc_u32_e32 v22, 4, v22
	v_cmp_eq_u32_e32 vcc_lo, 1, v20
	v_cndmask_b32_e32 v23, v2, v3, vcc_lo
	v_cmp_eq_u32_e32 vcc_lo, 2, v20
	s_delay_alu instid0(VALU_DEP_2) | instskip(SKIP_1) | instid1(VALU_DEP_2)
	v_cndmask_b32_e32 v23, v23, v4, vcc_lo
	v_cmp_eq_u32_e32 vcc_lo, 3, v20
	v_cndmask_b32_e32 v23, v23, v5, vcc_lo
	v_cmp_eq_u32_e32 vcc_lo, 4, v20
	s_delay_alu instid0(VALU_DEP_2) | instskip(SKIP_1) | instid1(VALU_DEP_2)
	v_cndmask_b32_e32 v23, v23, v6, vcc_lo
	v_cmp_eq_u32_e32 vcc_lo, 5, v20
	v_cndmask_b32_e32 v23, v23, v7, vcc_lo
	v_cmp_eq_u32_e32 vcc_lo, 6, v20
	s_delay_alu instid0(VALU_DEP_2) | instskip(SKIP_1) | instid1(VALU_DEP_2)
	v_cndmask_b32_e32 v23, v23, v8, vcc_lo
	v_cmp_eq_u32_e32 vcc_lo, 7, v20
	v_cndmask_b32_e32 v23, v23, v9, vcc_lo
	v_cmp_eq_u32_e32 vcc_lo, 8, v20
	s_delay_alu instid0(VALU_DEP_2) | instskip(SKIP_1) | instid1(VALU_DEP_2)
	v_cndmask_b32_e32 v23, v23, v10, vcc_lo
	v_cmp_eq_u32_e32 vcc_lo, 9, v20
	v_cndmask_b32_e32 v23, v23, v11, vcc_lo
	v_cmp_eq_u32_e32 vcc_lo, 10, v20
	s_delay_alu instid0(VALU_DEP_2) | instskip(SKIP_1) | instid1(VALU_DEP_2)
	v_cndmask_b32_e32 v23, v23, v12, vcc_lo
	v_cmp_eq_u32_e32 vcc_lo, 11, v20
	v_cndmask_b32_e32 v23, v23, v13, vcc_lo
	v_cmp_eq_u32_e32 vcc_lo, 12, v20
	s_delay_alu instid0(VALU_DEP_2) | instskip(SKIP_1) | instid1(VALU_DEP_2)
	v_cndmask_b32_e32 v23, v23, v14, vcc_lo
	v_cmp_eq_u32_e32 vcc_lo, 13, v20
	v_cndmask_b32_e32 v23, v23, v15, vcc_lo
	v_cmp_eq_u32_e32 vcc_lo, 14, v20
	s_delay_alu instid0(VALU_DEP_2) | instskip(SKIP_1) | instid1(VALU_DEP_2)
	v_cndmask_b32_e32 v23, v23, v16, vcc_lo
	v_cmp_eq_u32_e32 vcc_lo, 15, v20
	v_cndmask_b32_e32 v23, v23, v17, vcc_lo
	v_cmp_eq_u32_e32 vcc_lo, 16, v20
	s_delay_alu instid0(VALU_DEP_2) | instskip(SKIP_2) | instid1(VALU_DEP_2)
	v_cndmask_b32_e32 v23, v23, v18, vcc_lo
	v_cmp_lt_u32_e32 vcc_lo, 4, v20
	s_wait_dscnt 0x0
	v_fmac_f32_e32 v19, v23, v24
	s_or_b32 s5, vcc_lo, s5
	s_delay_alu instid0(SALU_CYCLE_1)
	s_and_not1_b32 exec_lo, exec_lo, s5
	s_cbranch_execnz .LBB16_289
; %bb.290:
	s_or_b32 exec_lo, exec_lo, s5
.LBB16_291:
	s_delay_alu instid0(SALU_CYCLE_1)
	s_or_b32 exec_lo, exec_lo, s4
	v_mov_b32_e32 v8, 0
	ds_load_b32 v8, v8 offset:24
	s_wait_dscnt 0x0
	v_mul_f32_e32 v8, v19, v8
.LBB16_292:
	s_or_b32 exec_lo, exec_lo, s3
	v_cmp_gt_u32_e64 s3, 7, v0
	ds_store_b32 v103, v9
	s_wait_dscnt 0x0
	s_barrier_signal -1
	s_barrier_wait -1
	s_and_saveexec_b32 s4, s3
	s_cbranch_execz .LBB16_302
; %bb.293:
	v_cmp_ne_u32_e32 vcc_lo, 1, v34
	s_cbranch_vccnz .LBB16_295
; %bb.294:
	v_cmp_eq_u32_e32 vcc_lo, 1, v0
	ds_load_b32 v20, v103
	v_cndmask_b32_e32 v19, v2, v3, vcc_lo
	v_cmp_eq_u32_e32 vcc_lo, 2, v0
	s_delay_alu instid0(VALU_DEP_2) | instskip(SKIP_1) | instid1(VALU_DEP_2)
	v_cndmask_b32_e32 v19, v19, v4, vcc_lo
	v_cmp_eq_u32_e32 vcc_lo, 3, v0
	v_cndmask_b32_e32 v19, v19, v5, vcc_lo
	v_cmp_eq_u32_e32 vcc_lo, 4, v0
	s_delay_alu instid0(VALU_DEP_2) | instskip(SKIP_1) | instid1(VALU_DEP_2)
	v_cndmask_b32_e32 v19, v19, v6, vcc_lo
	v_cmp_eq_u32_e32 vcc_lo, 5, v0
	;; [unrolled: 5-line block ×7, first 2 shown]
	v_cndmask_b32_e32 v19, v19, v17, vcc_lo
	v_cmp_eq_u32_e32 vcc_lo, 16, v0
	s_delay_alu instid0(VALU_DEP_2) | instskip(SKIP_1) | instid1(VALU_DEP_1)
	v_cndmask_b32_e32 v19, v19, v18, vcc_lo
	s_wait_dscnt 0x0
	v_mul_f32_e32 v19, v19, v20
	s_cbranch_execz .LBB16_296
	s_branch .LBB16_297
.LBB16_295:
                                        ; implicit-def: $vgpr19
.LBB16_296:
	ds_load_b32 v19, v103
.LBB16_297:
	s_mov_b32 s5, exec_lo
	v_cmpx_ne_u32_e32 6, v0
	s_cbranch_execz .LBB16_301
; %bb.298:
	v_mov_b64_e32 v[20:21], v[0:1]
	v_lshl_add_u32 v22, v0, 2, 0x54
	s_mov_b32 s6, 0
.LBB16_299:                             ; =>This Inner Loop Header: Depth=1
	s_delay_alu instid0(VALU_DEP_2)
	v_add_nc_u64_e32 v[20:21], 1, v[20:21]
	ds_load_b32 v24, v22
	v_add_nc_u32_e32 v22, 4, v22
	v_cmp_eq_u32_e32 vcc_lo, 1, v20
	v_cndmask_b32_e32 v23, v2, v3, vcc_lo
	v_cmp_eq_u32_e32 vcc_lo, 2, v20
	s_delay_alu instid0(VALU_DEP_2) | instskip(SKIP_1) | instid1(VALU_DEP_2)
	v_cndmask_b32_e32 v23, v23, v4, vcc_lo
	v_cmp_eq_u32_e32 vcc_lo, 3, v20
	v_cndmask_b32_e32 v23, v23, v5, vcc_lo
	v_cmp_eq_u32_e32 vcc_lo, 4, v20
	s_delay_alu instid0(VALU_DEP_2) | instskip(SKIP_1) | instid1(VALU_DEP_2)
	v_cndmask_b32_e32 v23, v23, v6, vcc_lo
	v_cmp_eq_u32_e32 vcc_lo, 5, v20
	v_cndmask_b32_e32 v23, v23, v7, vcc_lo
	v_cmp_eq_u32_e32 vcc_lo, 6, v20
	s_delay_alu instid0(VALU_DEP_2) | instskip(SKIP_1) | instid1(VALU_DEP_2)
	v_cndmask_b32_e32 v23, v23, v8, vcc_lo
	v_cmp_eq_u32_e32 vcc_lo, 7, v20
	v_cndmask_b32_e32 v23, v23, v9, vcc_lo
	v_cmp_eq_u32_e32 vcc_lo, 8, v20
	s_delay_alu instid0(VALU_DEP_2) | instskip(SKIP_1) | instid1(VALU_DEP_2)
	v_cndmask_b32_e32 v23, v23, v10, vcc_lo
	v_cmp_eq_u32_e32 vcc_lo, 9, v20
	v_cndmask_b32_e32 v23, v23, v11, vcc_lo
	v_cmp_eq_u32_e32 vcc_lo, 10, v20
	s_delay_alu instid0(VALU_DEP_2) | instskip(SKIP_1) | instid1(VALU_DEP_2)
	v_cndmask_b32_e32 v23, v23, v12, vcc_lo
	v_cmp_eq_u32_e32 vcc_lo, 11, v20
	v_cndmask_b32_e32 v23, v23, v13, vcc_lo
	v_cmp_eq_u32_e32 vcc_lo, 12, v20
	s_delay_alu instid0(VALU_DEP_2) | instskip(SKIP_1) | instid1(VALU_DEP_2)
	v_cndmask_b32_e32 v23, v23, v14, vcc_lo
	v_cmp_eq_u32_e32 vcc_lo, 13, v20
	v_cndmask_b32_e32 v23, v23, v15, vcc_lo
	v_cmp_eq_u32_e32 vcc_lo, 14, v20
	s_delay_alu instid0(VALU_DEP_2) | instskip(SKIP_1) | instid1(VALU_DEP_2)
	v_cndmask_b32_e32 v23, v23, v16, vcc_lo
	v_cmp_eq_u32_e32 vcc_lo, 15, v20
	v_cndmask_b32_e32 v23, v23, v17, vcc_lo
	v_cmp_eq_u32_e32 vcc_lo, 16, v20
	s_delay_alu instid0(VALU_DEP_2) | instskip(SKIP_2) | instid1(VALU_DEP_2)
	v_cndmask_b32_e32 v23, v23, v18, vcc_lo
	v_cmp_lt_u32_e32 vcc_lo, 5, v20
	s_wait_dscnt 0x0
	v_fmac_f32_e32 v19, v23, v24
	s_or_b32 s6, vcc_lo, s6
	s_delay_alu instid0(SALU_CYCLE_1)
	s_and_not1_b32 exec_lo, exec_lo, s6
	s_cbranch_execnz .LBB16_299
; %bb.300:
	s_or_b32 exec_lo, exec_lo, s6
.LBB16_301:
	s_delay_alu instid0(SALU_CYCLE_1)
	s_or_b32 exec_lo, exec_lo, s5
	v_mov_b32_e32 v9, 0
	ds_load_b32 v9, v9 offset:28
	s_wait_dscnt 0x0
	v_mul_f32_e32 v9, v19, v9
.LBB16_302:
	s_or_b32 exec_lo, exec_lo, s4
	s_delay_alu instid0(SALU_CYCLE_1)
	s_mov_b32 s4, exec_lo
	ds_store_b32 v103, v10
	s_wait_dscnt 0x0
	s_barrier_signal -1
	s_barrier_wait -1
	v_cmpx_gt_u32_e32 8, v0
	s_cbranch_execz .LBB16_312
; %bb.303:
	v_cmp_ne_u32_e32 vcc_lo, 1, v34
	s_cbranch_vccnz .LBB16_305
; %bb.304:
	v_cmp_eq_u32_e32 vcc_lo, 1, v0
	ds_load_b32 v20, v103
	v_cndmask_b32_e32 v19, v2, v3, vcc_lo
	v_cmp_eq_u32_e32 vcc_lo, 2, v0
	s_delay_alu instid0(VALU_DEP_2) | instskip(SKIP_1) | instid1(VALU_DEP_2)
	v_cndmask_b32_e32 v19, v19, v4, vcc_lo
	v_cmp_eq_u32_e32 vcc_lo, 3, v0
	v_cndmask_b32_e32 v19, v19, v5, vcc_lo
	v_cmp_eq_u32_e32 vcc_lo, 4, v0
	s_delay_alu instid0(VALU_DEP_2) | instskip(SKIP_1) | instid1(VALU_DEP_2)
	v_cndmask_b32_e32 v19, v19, v6, vcc_lo
	v_cmp_eq_u32_e32 vcc_lo, 5, v0
	;; [unrolled: 5-line block ×7, first 2 shown]
	v_cndmask_b32_e32 v19, v19, v17, vcc_lo
	v_cmp_eq_u32_e32 vcc_lo, 16, v0
	s_delay_alu instid0(VALU_DEP_2) | instskip(SKIP_1) | instid1(VALU_DEP_1)
	v_cndmask_b32_e32 v19, v19, v18, vcc_lo
	s_wait_dscnt 0x0
	v_mul_f32_e32 v19, v19, v20
	s_cbranch_execz .LBB16_306
	s_branch .LBB16_307
.LBB16_305:
                                        ; implicit-def: $vgpr19
.LBB16_306:
	ds_load_b32 v19, v103
.LBB16_307:
	s_mov_b32 s5, exec_lo
	v_cmpx_ne_u32_e32 7, v0
	s_cbranch_execz .LBB16_311
; %bb.308:
	v_mov_b64_e32 v[20:21], v[0:1]
	v_lshl_add_u32 v22, v0, 2, 0x54
	s_mov_b32 s6, 0
.LBB16_309:                             ; =>This Inner Loop Header: Depth=1
	s_delay_alu instid0(VALU_DEP_2)
	v_add_nc_u64_e32 v[20:21], 1, v[20:21]
	ds_load_b32 v24, v22
	v_add_nc_u32_e32 v22, 4, v22
	v_cmp_eq_u32_e32 vcc_lo, 1, v20
	v_cndmask_b32_e32 v23, v2, v3, vcc_lo
	v_cmp_eq_u32_e32 vcc_lo, 2, v20
	s_delay_alu instid0(VALU_DEP_2) | instskip(SKIP_1) | instid1(VALU_DEP_2)
	v_cndmask_b32_e32 v23, v23, v4, vcc_lo
	v_cmp_eq_u32_e32 vcc_lo, 3, v20
	v_cndmask_b32_e32 v23, v23, v5, vcc_lo
	v_cmp_eq_u32_e32 vcc_lo, 4, v20
	s_delay_alu instid0(VALU_DEP_2) | instskip(SKIP_1) | instid1(VALU_DEP_2)
	v_cndmask_b32_e32 v23, v23, v6, vcc_lo
	;; [unrolled: 5-line block ×7, first 2 shown]
	v_cmp_eq_u32_e32 vcc_lo, 15, v20
	v_cndmask_b32_e32 v23, v23, v17, vcc_lo
	v_cmp_eq_u32_e32 vcc_lo, 16, v20
	s_delay_alu instid0(VALU_DEP_2) | instskip(SKIP_2) | instid1(VALU_DEP_2)
	v_cndmask_b32_e32 v23, v23, v18, vcc_lo
	v_cmp_lt_u32_e32 vcc_lo, 6, v20
	s_wait_dscnt 0x0
	v_fmac_f32_e32 v19, v23, v24
	s_or_b32 s6, vcc_lo, s6
	s_delay_alu instid0(SALU_CYCLE_1)
	s_and_not1_b32 exec_lo, exec_lo, s6
	s_cbranch_execnz .LBB16_309
; %bb.310:
	s_or_b32 exec_lo, exec_lo, s6
.LBB16_311:
	s_delay_alu instid0(SALU_CYCLE_1)
	s_or_b32 exec_lo, exec_lo, s5
	v_mov_b32_e32 v10, 0
	ds_load_b32 v10, v10 offset:32
	s_wait_dscnt 0x0
	v_mul_f32_e32 v10, v19, v10
.LBB16_312:
	s_or_b32 exec_lo, exec_lo, s4
	s_delay_alu instid0(SALU_CYCLE_1)
	s_mov_b32 s4, exec_lo
	ds_store_b32 v103, v11
	s_wait_dscnt 0x0
	s_barrier_signal -1
	s_barrier_wait -1
	v_cmpx_gt_u32_e32 9, v0
	s_cbranch_execz .LBB16_334
; %bb.313:
	v_cmp_ne_u32_e32 vcc_lo, 1, v34
	s_cbranch_vccnz .LBB16_315
; %bb.314:
	v_cmp_eq_u32_e32 vcc_lo, 1, v0
	ds_load_b32 v20, v103
	v_cndmask_b32_e32 v19, v2, v3, vcc_lo
	v_cmp_eq_u32_e32 vcc_lo, 2, v0
	s_delay_alu instid0(VALU_DEP_2) | instskip(SKIP_1) | instid1(VALU_DEP_2)
	v_cndmask_b32_e32 v19, v19, v4, vcc_lo
	v_cmp_eq_u32_e32 vcc_lo, 3, v0
	v_cndmask_b32_e32 v19, v19, v5, vcc_lo
	v_cmp_eq_u32_e32 vcc_lo, 4, v0
	s_delay_alu instid0(VALU_DEP_2) | instskip(SKIP_1) | instid1(VALU_DEP_2)
	v_cndmask_b32_e32 v19, v19, v6, vcc_lo
	v_cmp_eq_u32_e32 vcc_lo, 5, v0
	;; [unrolled: 5-line block ×7, first 2 shown]
	v_cndmask_b32_e32 v19, v19, v17, vcc_lo
	v_cmp_eq_u32_e32 vcc_lo, 16, v0
	s_delay_alu instid0(VALU_DEP_2) | instskip(SKIP_1) | instid1(VALU_DEP_1)
	v_cndmask_b32_e32 v19, v19, v18, vcc_lo
	s_wait_dscnt 0x0
	v_mul_f32_e32 v19, v19, v20
	s_cbranch_execz .LBB16_316
	s_branch .LBB16_317
.LBB16_315:
                                        ; implicit-def: $vgpr19
.LBB16_316:
	ds_load_b32 v19, v103
.LBB16_317:
	s_mov_b32 s5, exec_lo
	v_cmpx_ne_u32_e32 8, v0
	s_cbranch_execz .LBB16_333
; %bb.318:
	v_cmp_eq_u32_e32 vcc_lo, 1, v35
	ds_load_b32 v21, v103 offset:4
	v_cndmask_b32_e32 v20, v2, v3, vcc_lo
	v_cmp_eq_u32_e32 vcc_lo, 2, v35
	s_delay_alu instid0(VALU_DEP_2) | instskip(SKIP_1) | instid1(VALU_DEP_2)
	v_cndmask_b32_e32 v20, v20, v4, vcc_lo
	v_cmp_eq_u32_e32 vcc_lo, 3, v35
	v_cndmask_b32_e32 v20, v20, v5, vcc_lo
	v_cmp_eq_u32_e32 vcc_lo, 4, v35
	s_delay_alu instid0(VALU_DEP_2) | instskip(SKIP_1) | instid1(VALU_DEP_2)
	v_cndmask_b32_e32 v20, v20, v6, vcc_lo
	v_cmp_eq_u32_e32 vcc_lo, 5, v35
	;; [unrolled: 5-line block ×7, first 2 shown]
	v_cndmask_b32_e32 v20, v20, v17, vcc_lo
	v_cmp_eq_u32_e32 vcc_lo, 16, v35
	s_delay_alu instid0(VALU_DEP_2) | instskip(SKIP_1) | instid1(VALU_DEP_1)
	v_cndmask_b32_e32 v20, v20, v18, vcc_lo
	s_wait_dscnt 0x0
	v_fmac_f32_e32 v19, v20, v21
	s_and_saveexec_b32 s6, s3
	s_cbranch_execz .LBB16_332
; %bb.319:
	v_add_nc_u32_e32 v20, 2, v0
	ds_load_b32 v22, v103 offset:8
	s_mov_b32 s3, exec_lo
	v_cmp_eq_u32_e32 vcc_lo, 1, v20
	v_cndmask_b32_e32 v21, v2, v3, vcc_lo
	v_cmp_eq_u32_e32 vcc_lo, 2, v20
	s_delay_alu instid0(VALU_DEP_2) | instskip(SKIP_1) | instid1(VALU_DEP_2)
	v_cndmask_b32_e32 v21, v21, v4, vcc_lo
	v_cmp_eq_u32_e32 vcc_lo, 3, v20
	v_cndmask_b32_e32 v21, v21, v5, vcc_lo
	v_cmp_eq_u32_e32 vcc_lo, 4, v20
	s_delay_alu instid0(VALU_DEP_2) | instskip(SKIP_1) | instid1(VALU_DEP_2)
	v_cndmask_b32_e32 v21, v21, v6, vcc_lo
	;; [unrolled: 5-line block ×7, first 2 shown]
	v_cmp_eq_u32_e32 vcc_lo, 15, v20
	v_cndmask_b32_e32 v21, v21, v17, vcc_lo
	v_cmp_eq_u32_e32 vcc_lo, 16, v20
	s_delay_alu instid0(VALU_DEP_2) | instskip(SKIP_1) | instid1(VALU_DEP_1)
	v_cndmask_b32_e32 v20, v21, v18, vcc_lo
	s_wait_dscnt 0x0
	v_fmac_f32_e32 v19, v20, v22
	v_cmpx_ne_u32_e32 6, v0
	s_cbranch_execz .LBB16_331
; %bb.320:
	v_add_nc_u32_e32 v20, 3, v0
	ds_load_b32 v22, v103 offset:12
	v_cmp_eq_u32_e32 vcc_lo, 1, v20
	v_cndmask_b32_e32 v21, v2, v3, vcc_lo
	v_cmp_eq_u32_e32 vcc_lo, 2, v20
	s_delay_alu instid0(VALU_DEP_2) | instskip(SKIP_1) | instid1(VALU_DEP_2)
	v_cndmask_b32_e32 v21, v21, v4, vcc_lo
	v_cmp_eq_u32_e32 vcc_lo, 3, v20
	v_cndmask_b32_e32 v21, v21, v5, vcc_lo
	v_cmp_eq_u32_e32 vcc_lo, 4, v20
	s_delay_alu instid0(VALU_DEP_2) | instskip(SKIP_1) | instid1(VALU_DEP_2)
	v_cndmask_b32_e32 v21, v21, v6, vcc_lo
	;; [unrolled: 5-line block ×7, first 2 shown]
	v_cmp_eq_u32_e32 vcc_lo, 15, v20
	v_cndmask_b32_e32 v21, v21, v17, vcc_lo
	v_cmp_eq_u32_e32 vcc_lo, 16, v20
	s_delay_alu instid0(VALU_DEP_2) | instskip(SKIP_1) | instid1(VALU_DEP_1)
	v_cndmask_b32_e32 v20, v21, v18, vcc_lo
	s_wait_dscnt 0x0
	v_fmac_f32_e32 v19, v20, v22
	s_and_saveexec_b32 s7, s2
	s_cbranch_execz .LBB16_330
; %bb.321:
	v_add_nc_u32_e32 v20, 4, v0
	ds_load_b32 v22, v103 offset:16
	s_mov_b32 s2, exec_lo
	v_cmp_eq_u32_e32 vcc_lo, 1, v20
	v_cndmask_b32_e32 v21, v2, v3, vcc_lo
	v_cmp_eq_u32_e32 vcc_lo, 2, v20
	s_delay_alu instid0(VALU_DEP_2) | instskip(SKIP_1) | instid1(VALU_DEP_2)
	v_cndmask_b32_e32 v21, v21, v4, vcc_lo
	v_cmp_eq_u32_e32 vcc_lo, 3, v20
	v_cndmask_b32_e32 v21, v21, v5, vcc_lo
	v_cmp_eq_u32_e32 vcc_lo, 4, v20
	s_delay_alu instid0(VALU_DEP_2) | instskip(SKIP_1) | instid1(VALU_DEP_2)
	v_cndmask_b32_e32 v21, v21, v6, vcc_lo
	;; [unrolled: 5-line block ×7, first 2 shown]
	v_cmp_eq_u32_e32 vcc_lo, 15, v20
	v_cndmask_b32_e32 v21, v21, v17, vcc_lo
	v_cmp_eq_u32_e32 vcc_lo, 16, v20
	s_delay_alu instid0(VALU_DEP_2) | instskip(SKIP_1) | instid1(VALU_DEP_1)
	v_cndmask_b32_e32 v20, v21, v18, vcc_lo
	s_wait_dscnt 0x0
	v_fmac_f32_e32 v19, v20, v22
	v_cmpx_ne_u32_e32 4, v0
	s_cbranch_execz .LBB16_329
; %bb.322:
	v_add_nc_u32_e32 v20, 5, v0
	ds_load_b32 v22, v103 offset:20
	v_cmp_eq_u32_e32 vcc_lo, 1, v20
	v_cndmask_b32_e32 v21, v2, v3, vcc_lo
	v_cmp_eq_u32_e32 vcc_lo, 2, v20
	s_delay_alu instid0(VALU_DEP_2) | instskip(SKIP_1) | instid1(VALU_DEP_2)
	v_cndmask_b32_e32 v21, v21, v4, vcc_lo
	v_cmp_eq_u32_e32 vcc_lo, 3, v20
	v_cndmask_b32_e32 v21, v21, v5, vcc_lo
	v_cmp_eq_u32_e32 vcc_lo, 4, v20
	s_delay_alu instid0(VALU_DEP_2) | instskip(SKIP_1) | instid1(VALU_DEP_2)
	v_cndmask_b32_e32 v21, v21, v6, vcc_lo
	;; [unrolled: 5-line block ×7, first 2 shown]
	v_cmp_eq_u32_e32 vcc_lo, 15, v20
	v_cndmask_b32_e32 v21, v21, v17, vcc_lo
	v_cmp_eq_u32_e32 vcc_lo, 16, v20
	s_delay_alu instid0(VALU_DEP_2) | instskip(SKIP_1) | instid1(VALU_DEP_1)
	v_cndmask_b32_e32 v20, v21, v18, vcc_lo
	s_wait_dscnt 0x0
	v_fmac_f32_e32 v19, v20, v22
	s_and_saveexec_b32 s8, s1
	s_cbranch_execz .LBB16_328
; %bb.323:
	v_add_nc_u32_e32 v20, 6, v0
	ds_load_b32 v22, v103 offset:24
	s_mov_b32 s1, exec_lo
	v_cmp_eq_u32_e32 vcc_lo, 1, v20
	v_cndmask_b32_e32 v21, v2, v3, vcc_lo
	v_cmp_eq_u32_e32 vcc_lo, 2, v20
	s_delay_alu instid0(VALU_DEP_2) | instskip(SKIP_1) | instid1(VALU_DEP_2)
	v_cndmask_b32_e32 v21, v21, v4, vcc_lo
	v_cmp_eq_u32_e32 vcc_lo, 3, v20
	v_cndmask_b32_e32 v21, v21, v5, vcc_lo
	v_cmp_eq_u32_e32 vcc_lo, 4, v20
	s_delay_alu instid0(VALU_DEP_2) | instskip(SKIP_1) | instid1(VALU_DEP_2)
	v_cndmask_b32_e32 v21, v21, v6, vcc_lo
	;; [unrolled: 5-line block ×7, first 2 shown]
	v_cmp_eq_u32_e32 vcc_lo, 15, v20
	v_cndmask_b32_e32 v21, v21, v17, vcc_lo
	v_cmp_eq_u32_e32 vcc_lo, 16, v20
	s_delay_alu instid0(VALU_DEP_2) | instskip(SKIP_1) | instid1(VALU_DEP_1)
	v_cndmask_b32_e32 v20, v21, v18, vcc_lo
	s_wait_dscnt 0x0
	v_fmac_f32_e32 v19, v20, v22
	v_cmpx_ne_u32_e32 2, v0
	s_cbranch_execz .LBB16_327
; %bb.324:
	v_add_nc_u32_e32 v20, 7, v0
	s_delay_alu instid0(VALU_DEP_1) | instskip(SKIP_2) | instid1(VALU_DEP_2)
	v_cmp_eq_u32_e32 vcc_lo, 1, v20
	v_cndmask_b32_e32 v21, v2, v3, vcc_lo
	v_cmp_eq_u32_e32 vcc_lo, 2, v20
	v_cndmask_b32_e32 v21, v21, v4, vcc_lo
	v_cmp_eq_u32_e32 vcc_lo, 3, v20
	s_delay_alu instid0(VALU_DEP_2) | instskip(SKIP_1) | instid1(VALU_DEP_2)
	v_cndmask_b32_e32 v21, v21, v5, vcc_lo
	v_cmp_eq_u32_e32 vcc_lo, 4, v20
	v_cndmask_b32_e32 v21, v21, v6, vcc_lo
	v_cmp_eq_u32_e32 vcc_lo, 5, v20
	s_delay_alu instid0(VALU_DEP_2) | instskip(SKIP_1) | instid1(VALU_DEP_2)
	;; [unrolled: 5-line block ×3, first 2 shown]
	v_cndmask_b32_e32 v21, v21, v9, vcc_lo
	v_cmp_eq_u32_e32 vcc_lo, 8, v20
	v_cndmask_b32_e32 v21, v21, v10, vcc_lo
	v_cmp_eq_u32_e32 vcc_lo, 9, v20
	s_delay_alu instid0(VALU_DEP_2) | instskip(SKIP_4) | instid1(VALU_DEP_2)
	v_cndmask_b32_e32 v11, v21, v11, vcc_lo
	v_cmp_eq_u32_e32 vcc_lo, 10, v20
	ds_load_b32 v21, v103 offset:28
	v_cndmask_b32_e32 v11, v11, v12, vcc_lo
	v_cmp_eq_u32_e32 vcc_lo, 11, v20
	v_cndmask_b32_e32 v11, v11, v13, vcc_lo
	v_cmp_eq_u32_e32 vcc_lo, 12, v20
	s_delay_alu instid0(VALU_DEP_2) | instskip(SKIP_1) | instid1(VALU_DEP_2)
	v_cndmask_b32_e32 v11, v11, v14, vcc_lo
	v_cmp_eq_u32_e32 vcc_lo, 13, v20
	v_cndmask_b32_e32 v11, v11, v15, vcc_lo
	v_cmp_eq_u32_e32 vcc_lo, 14, v20
	s_delay_alu instid0(VALU_DEP_2) | instskip(SKIP_1) | instid1(VALU_DEP_2)
	v_cndmask_b32_e32 v11, v11, v16, vcc_lo
	v_cmp_eq_u32_e32 vcc_lo, 15, v20
	v_cndmask_b32_e32 v11, v11, v17, vcc_lo
	v_cmp_eq_u32_e32 vcc_lo, 16, v20
	s_delay_alu instid0(VALU_DEP_2) | instskip(SKIP_1) | instid1(VALU_DEP_1)
	v_cndmask_b32_e32 v11, v11, v18, vcc_lo
	s_wait_dscnt 0x0
	v_fmac_f32_e32 v19, v11, v21
	s_and_saveexec_b32 s9, s0
	s_cbranch_execz .LBB16_326
; %bb.325:
	ds_load_b32 v11, v103 offset:32
	s_wait_dscnt 0x0
	v_fmac_f32_e32 v19, v10, v11
.LBB16_326:
	s_or_b32 exec_lo, exec_lo, s9
.LBB16_327:
	s_delay_alu instid0(SALU_CYCLE_1)
	s_or_b32 exec_lo, exec_lo, s1
.LBB16_328:
	s_delay_alu instid0(SALU_CYCLE_1)
	s_or_b32 exec_lo, exec_lo, s8
.LBB16_329:
	s_delay_alu instid0(SALU_CYCLE_1)
	s_or_b32 exec_lo, exec_lo, s2
.LBB16_330:
	s_delay_alu instid0(SALU_CYCLE_1)
	s_or_b32 exec_lo, exec_lo, s7
.LBB16_331:
	s_delay_alu instid0(SALU_CYCLE_1)
	s_or_b32 exec_lo, exec_lo, s3
.LBB16_332:
	s_delay_alu instid0(SALU_CYCLE_1)
	s_or_b32 exec_lo, exec_lo, s6
.LBB16_333:
	s_delay_alu instid0(SALU_CYCLE_1)
	s_or_b32 exec_lo, exec_lo, s5
	v_mov_b32_e32 v11, 0
	ds_load_b32 v11, v11 offset:36
	s_wait_dscnt 0x0
	v_mul_f32_e32 v11, v19, v11
.LBB16_334:
	s_or_b32 exec_lo, exec_lo, s4
	s_delay_alu instid0(SALU_CYCLE_1)
	s_mov_b32 s0, exec_lo
	ds_store_b32 v103, v12
	s_wait_dscnt 0x0
	s_barrier_signal -1
	s_barrier_wait -1
	v_cmpx_gt_u32_e32 10, v0
	s_cbranch_execz .LBB16_344
; %bb.335:
	v_cmp_ne_u32_e32 vcc_lo, 1, v34
	s_cbranch_vccnz .LBB16_337
; %bb.336:
	v_cmp_eq_u32_e32 vcc_lo, 1, v0
	ds_load_b32 v20, v103
	v_cndmask_b32_e32 v19, v2, v3, vcc_lo
	v_cmp_eq_u32_e32 vcc_lo, 2, v0
	s_delay_alu instid0(VALU_DEP_2) | instskip(SKIP_1) | instid1(VALU_DEP_2)
	v_cndmask_b32_e32 v19, v19, v4, vcc_lo
	v_cmp_eq_u32_e32 vcc_lo, 3, v0
	v_cndmask_b32_e32 v19, v19, v5, vcc_lo
	v_cmp_eq_u32_e32 vcc_lo, 4, v0
	s_delay_alu instid0(VALU_DEP_2) | instskip(SKIP_1) | instid1(VALU_DEP_2)
	v_cndmask_b32_e32 v19, v19, v6, vcc_lo
	v_cmp_eq_u32_e32 vcc_lo, 5, v0
	;; [unrolled: 5-line block ×7, first 2 shown]
	v_cndmask_b32_e32 v19, v19, v17, vcc_lo
	v_cmp_eq_u32_e32 vcc_lo, 16, v0
	s_delay_alu instid0(VALU_DEP_2) | instskip(SKIP_1) | instid1(VALU_DEP_1)
	v_cndmask_b32_e32 v19, v19, v18, vcc_lo
	s_wait_dscnt 0x0
	v_mul_f32_e32 v19, v19, v20
	s_cbranch_execz .LBB16_338
	s_branch .LBB16_339
.LBB16_337:
                                        ; implicit-def: $vgpr19
.LBB16_338:
	ds_load_b32 v19, v103
.LBB16_339:
	s_mov_b32 s1, exec_lo
	v_cmpx_ne_u32_e32 9, v0
	s_cbranch_execz .LBB16_343
; %bb.340:
	v_mov_b64_e32 v[20:21], v[0:1]
	v_lshl_add_u32 v22, v0, 2, 0x54
	s_mov_b32 s2, 0
.LBB16_341:                             ; =>This Inner Loop Header: Depth=1
	s_delay_alu instid0(VALU_DEP_2)
	v_add_nc_u64_e32 v[20:21], 1, v[20:21]
	ds_load_b32 v24, v22
	v_add_nc_u32_e32 v22, 4, v22
	v_cmp_eq_u32_e32 vcc_lo, 1, v20
	v_cndmask_b32_e32 v23, v2, v3, vcc_lo
	v_cmp_eq_u32_e32 vcc_lo, 2, v20
	s_delay_alu instid0(VALU_DEP_2) | instskip(SKIP_1) | instid1(VALU_DEP_2)
	v_cndmask_b32_e32 v23, v23, v4, vcc_lo
	v_cmp_eq_u32_e32 vcc_lo, 3, v20
	v_cndmask_b32_e32 v23, v23, v5, vcc_lo
	v_cmp_eq_u32_e32 vcc_lo, 4, v20
	s_delay_alu instid0(VALU_DEP_2) | instskip(SKIP_1) | instid1(VALU_DEP_2)
	v_cndmask_b32_e32 v23, v23, v6, vcc_lo
	v_cmp_eq_u32_e32 vcc_lo, 5, v20
	v_cndmask_b32_e32 v23, v23, v7, vcc_lo
	v_cmp_eq_u32_e32 vcc_lo, 6, v20
	s_delay_alu instid0(VALU_DEP_2) | instskip(SKIP_1) | instid1(VALU_DEP_2)
	v_cndmask_b32_e32 v23, v23, v8, vcc_lo
	v_cmp_eq_u32_e32 vcc_lo, 7, v20
	v_cndmask_b32_e32 v23, v23, v9, vcc_lo
	v_cmp_eq_u32_e32 vcc_lo, 8, v20
	s_delay_alu instid0(VALU_DEP_2) | instskip(SKIP_1) | instid1(VALU_DEP_2)
	v_cndmask_b32_e32 v23, v23, v10, vcc_lo
	v_cmp_eq_u32_e32 vcc_lo, 9, v20
	v_cndmask_b32_e32 v23, v23, v11, vcc_lo
	v_cmp_eq_u32_e32 vcc_lo, 10, v20
	s_delay_alu instid0(VALU_DEP_2) | instskip(SKIP_1) | instid1(VALU_DEP_2)
	v_cndmask_b32_e32 v23, v23, v12, vcc_lo
	v_cmp_eq_u32_e32 vcc_lo, 11, v20
	v_cndmask_b32_e32 v23, v23, v13, vcc_lo
	v_cmp_eq_u32_e32 vcc_lo, 12, v20
	s_delay_alu instid0(VALU_DEP_2) | instskip(SKIP_1) | instid1(VALU_DEP_2)
	v_cndmask_b32_e32 v23, v23, v14, vcc_lo
	v_cmp_eq_u32_e32 vcc_lo, 13, v20
	v_cndmask_b32_e32 v23, v23, v15, vcc_lo
	v_cmp_eq_u32_e32 vcc_lo, 14, v20
	s_delay_alu instid0(VALU_DEP_2) | instskip(SKIP_1) | instid1(VALU_DEP_2)
	v_cndmask_b32_e32 v23, v23, v16, vcc_lo
	v_cmp_eq_u32_e32 vcc_lo, 15, v20
	v_cndmask_b32_e32 v23, v23, v17, vcc_lo
	v_cmp_eq_u32_e32 vcc_lo, 16, v20
	s_delay_alu instid0(VALU_DEP_2) | instskip(SKIP_2) | instid1(VALU_DEP_2)
	v_cndmask_b32_e32 v23, v23, v18, vcc_lo
	v_cmp_lt_u32_e32 vcc_lo, 8, v20
	s_wait_dscnt 0x0
	v_fmac_f32_e32 v19, v23, v24
	s_or_b32 s2, vcc_lo, s2
	s_delay_alu instid0(SALU_CYCLE_1)
	s_and_not1_b32 exec_lo, exec_lo, s2
	s_cbranch_execnz .LBB16_341
; %bb.342:
	s_or_b32 exec_lo, exec_lo, s2
.LBB16_343:
	s_delay_alu instid0(SALU_CYCLE_1)
	s_or_b32 exec_lo, exec_lo, s1
	v_mov_b32_e32 v12, 0
	ds_load_b32 v12, v12 offset:40
	s_wait_dscnt 0x0
	v_mul_f32_e32 v12, v19, v12
.LBB16_344:
	s_or_b32 exec_lo, exec_lo, s0
	s_delay_alu instid0(SALU_CYCLE_1)
	s_mov_b32 s0, exec_lo
	ds_store_b32 v103, v13
	s_wait_dscnt 0x0
	s_barrier_signal -1
	s_barrier_wait -1
	v_cmpx_gt_u32_e32 11, v0
	s_cbranch_execz .LBB16_354
; %bb.345:
	v_cmp_ne_u32_e32 vcc_lo, 1, v34
	s_cbranch_vccnz .LBB16_347
; %bb.346:
	v_cmp_eq_u32_e32 vcc_lo, 1, v0
	ds_load_b32 v20, v103
	v_cndmask_b32_e32 v19, v2, v3, vcc_lo
	v_cmp_eq_u32_e32 vcc_lo, 2, v0
	s_delay_alu instid0(VALU_DEP_2) | instskip(SKIP_1) | instid1(VALU_DEP_2)
	v_cndmask_b32_e32 v19, v19, v4, vcc_lo
	v_cmp_eq_u32_e32 vcc_lo, 3, v0
	v_cndmask_b32_e32 v19, v19, v5, vcc_lo
	v_cmp_eq_u32_e32 vcc_lo, 4, v0
	s_delay_alu instid0(VALU_DEP_2) | instskip(SKIP_1) | instid1(VALU_DEP_2)
	v_cndmask_b32_e32 v19, v19, v6, vcc_lo
	v_cmp_eq_u32_e32 vcc_lo, 5, v0
	;; [unrolled: 5-line block ×7, first 2 shown]
	v_cndmask_b32_e32 v19, v19, v17, vcc_lo
	v_cmp_eq_u32_e32 vcc_lo, 16, v0
	s_delay_alu instid0(VALU_DEP_2) | instskip(SKIP_1) | instid1(VALU_DEP_1)
	v_cndmask_b32_e32 v19, v19, v18, vcc_lo
	s_wait_dscnt 0x0
	v_mul_f32_e32 v19, v19, v20
	s_cbranch_execz .LBB16_348
	s_branch .LBB16_349
.LBB16_347:
                                        ; implicit-def: $vgpr19
.LBB16_348:
	ds_load_b32 v19, v103
.LBB16_349:
	s_mov_b32 s1, exec_lo
	v_cmpx_ne_u32_e32 10, v0
	s_cbranch_execz .LBB16_353
; %bb.350:
	v_mov_b64_e32 v[20:21], v[0:1]
	v_lshl_add_u32 v22, v0, 2, 0x54
	s_mov_b32 s2, 0
.LBB16_351:                             ; =>This Inner Loop Header: Depth=1
	s_delay_alu instid0(VALU_DEP_2)
	v_add_nc_u64_e32 v[20:21], 1, v[20:21]
	ds_load_b32 v24, v22
	v_add_nc_u32_e32 v22, 4, v22
	v_cmp_eq_u32_e32 vcc_lo, 1, v20
	v_cndmask_b32_e32 v23, v2, v3, vcc_lo
	v_cmp_eq_u32_e32 vcc_lo, 2, v20
	s_delay_alu instid0(VALU_DEP_2) | instskip(SKIP_1) | instid1(VALU_DEP_2)
	v_cndmask_b32_e32 v23, v23, v4, vcc_lo
	v_cmp_eq_u32_e32 vcc_lo, 3, v20
	v_cndmask_b32_e32 v23, v23, v5, vcc_lo
	v_cmp_eq_u32_e32 vcc_lo, 4, v20
	s_delay_alu instid0(VALU_DEP_2) | instskip(SKIP_1) | instid1(VALU_DEP_2)
	v_cndmask_b32_e32 v23, v23, v6, vcc_lo
	v_cmp_eq_u32_e32 vcc_lo, 5, v20
	v_cndmask_b32_e32 v23, v23, v7, vcc_lo
	v_cmp_eq_u32_e32 vcc_lo, 6, v20
	s_delay_alu instid0(VALU_DEP_2) | instskip(SKIP_1) | instid1(VALU_DEP_2)
	v_cndmask_b32_e32 v23, v23, v8, vcc_lo
	v_cmp_eq_u32_e32 vcc_lo, 7, v20
	v_cndmask_b32_e32 v23, v23, v9, vcc_lo
	v_cmp_eq_u32_e32 vcc_lo, 8, v20
	s_delay_alu instid0(VALU_DEP_2) | instskip(SKIP_1) | instid1(VALU_DEP_2)
	v_cndmask_b32_e32 v23, v23, v10, vcc_lo
	v_cmp_eq_u32_e32 vcc_lo, 9, v20
	v_cndmask_b32_e32 v23, v23, v11, vcc_lo
	v_cmp_eq_u32_e32 vcc_lo, 10, v20
	s_delay_alu instid0(VALU_DEP_2) | instskip(SKIP_1) | instid1(VALU_DEP_2)
	v_cndmask_b32_e32 v23, v23, v12, vcc_lo
	v_cmp_eq_u32_e32 vcc_lo, 11, v20
	v_cndmask_b32_e32 v23, v23, v13, vcc_lo
	v_cmp_eq_u32_e32 vcc_lo, 12, v20
	s_delay_alu instid0(VALU_DEP_2) | instskip(SKIP_1) | instid1(VALU_DEP_2)
	v_cndmask_b32_e32 v23, v23, v14, vcc_lo
	v_cmp_eq_u32_e32 vcc_lo, 13, v20
	v_cndmask_b32_e32 v23, v23, v15, vcc_lo
	v_cmp_eq_u32_e32 vcc_lo, 14, v20
	s_delay_alu instid0(VALU_DEP_2) | instskip(SKIP_1) | instid1(VALU_DEP_2)
	v_cndmask_b32_e32 v23, v23, v16, vcc_lo
	v_cmp_eq_u32_e32 vcc_lo, 15, v20
	v_cndmask_b32_e32 v23, v23, v17, vcc_lo
	v_cmp_eq_u32_e32 vcc_lo, 16, v20
	s_delay_alu instid0(VALU_DEP_2) | instskip(SKIP_2) | instid1(VALU_DEP_2)
	v_cndmask_b32_e32 v23, v23, v18, vcc_lo
	v_cmp_lt_u32_e32 vcc_lo, 9, v20
	s_wait_dscnt 0x0
	v_fmac_f32_e32 v19, v23, v24
	s_or_b32 s2, vcc_lo, s2
	s_delay_alu instid0(SALU_CYCLE_1)
	s_and_not1_b32 exec_lo, exec_lo, s2
	s_cbranch_execnz .LBB16_351
; %bb.352:
	s_or_b32 exec_lo, exec_lo, s2
.LBB16_353:
	s_delay_alu instid0(SALU_CYCLE_1)
	s_or_b32 exec_lo, exec_lo, s1
	v_mov_b32_e32 v13, 0
	ds_load_b32 v13, v13 offset:44
	s_wait_dscnt 0x0
	v_mul_f32_e32 v13, v19, v13
.LBB16_354:
	s_or_b32 exec_lo, exec_lo, s0
	s_delay_alu instid0(SALU_CYCLE_1)
	s_mov_b32 s0, exec_lo
	ds_store_b32 v103, v14
	s_wait_dscnt 0x0
	s_barrier_signal -1
	s_barrier_wait -1
	v_cmpx_gt_u32_e32 12, v0
	s_cbranch_execz .LBB16_364
; %bb.355:
	v_cmp_ne_u32_e32 vcc_lo, 1, v34
	s_cbranch_vccnz .LBB16_357
; %bb.356:
	v_cmp_eq_u32_e32 vcc_lo, 1, v0
	ds_load_b32 v20, v103
	v_cndmask_b32_e32 v19, v2, v3, vcc_lo
	v_cmp_eq_u32_e32 vcc_lo, 2, v0
	s_delay_alu instid0(VALU_DEP_2) | instskip(SKIP_1) | instid1(VALU_DEP_2)
	v_cndmask_b32_e32 v19, v19, v4, vcc_lo
	v_cmp_eq_u32_e32 vcc_lo, 3, v0
	v_cndmask_b32_e32 v19, v19, v5, vcc_lo
	v_cmp_eq_u32_e32 vcc_lo, 4, v0
	s_delay_alu instid0(VALU_DEP_2) | instskip(SKIP_1) | instid1(VALU_DEP_2)
	v_cndmask_b32_e32 v19, v19, v6, vcc_lo
	v_cmp_eq_u32_e32 vcc_lo, 5, v0
	;; [unrolled: 5-line block ×7, first 2 shown]
	v_cndmask_b32_e32 v19, v19, v17, vcc_lo
	v_cmp_eq_u32_e32 vcc_lo, 16, v0
	s_delay_alu instid0(VALU_DEP_2) | instskip(SKIP_1) | instid1(VALU_DEP_1)
	v_cndmask_b32_e32 v19, v19, v18, vcc_lo
	s_wait_dscnt 0x0
	v_mul_f32_e32 v19, v19, v20
	s_cbranch_execz .LBB16_358
	s_branch .LBB16_359
.LBB16_357:
                                        ; implicit-def: $vgpr19
.LBB16_358:
	ds_load_b32 v19, v103
.LBB16_359:
	s_mov_b32 s1, exec_lo
	v_cmpx_ne_u32_e32 11, v0
	s_cbranch_execz .LBB16_363
; %bb.360:
	v_mov_b64_e32 v[20:21], v[0:1]
	v_lshl_add_u32 v22, v0, 2, 0x54
	s_mov_b32 s2, 0
.LBB16_361:                             ; =>This Inner Loop Header: Depth=1
	s_delay_alu instid0(VALU_DEP_2)
	v_add_nc_u64_e32 v[20:21], 1, v[20:21]
	ds_load_b32 v24, v22
	v_add_nc_u32_e32 v22, 4, v22
	v_cmp_eq_u32_e32 vcc_lo, 1, v20
	v_cndmask_b32_e32 v23, v2, v3, vcc_lo
	v_cmp_eq_u32_e32 vcc_lo, 2, v20
	s_delay_alu instid0(VALU_DEP_2) | instskip(SKIP_1) | instid1(VALU_DEP_2)
	v_cndmask_b32_e32 v23, v23, v4, vcc_lo
	v_cmp_eq_u32_e32 vcc_lo, 3, v20
	v_cndmask_b32_e32 v23, v23, v5, vcc_lo
	v_cmp_eq_u32_e32 vcc_lo, 4, v20
	s_delay_alu instid0(VALU_DEP_2) | instskip(SKIP_1) | instid1(VALU_DEP_2)
	v_cndmask_b32_e32 v23, v23, v6, vcc_lo
	;; [unrolled: 5-line block ×7, first 2 shown]
	v_cmp_eq_u32_e32 vcc_lo, 15, v20
	v_cndmask_b32_e32 v23, v23, v17, vcc_lo
	v_cmp_eq_u32_e32 vcc_lo, 16, v20
	s_delay_alu instid0(VALU_DEP_2) | instskip(SKIP_2) | instid1(VALU_DEP_2)
	v_cndmask_b32_e32 v23, v23, v18, vcc_lo
	v_cmp_lt_u32_e32 vcc_lo, 10, v20
	s_wait_dscnt 0x0
	v_fmac_f32_e32 v19, v23, v24
	s_or_b32 s2, vcc_lo, s2
	s_delay_alu instid0(SALU_CYCLE_1)
	s_and_not1_b32 exec_lo, exec_lo, s2
	s_cbranch_execnz .LBB16_361
; %bb.362:
	s_or_b32 exec_lo, exec_lo, s2
.LBB16_363:
	s_delay_alu instid0(SALU_CYCLE_1)
	s_or_b32 exec_lo, exec_lo, s1
	v_mov_b32_e32 v14, 0
	ds_load_b32 v14, v14 offset:48
	s_wait_dscnt 0x0
	v_mul_f32_e32 v14, v19, v14
.LBB16_364:
	s_or_b32 exec_lo, exec_lo, s0
	s_delay_alu instid0(SALU_CYCLE_1)
	s_mov_b32 s0, exec_lo
	ds_store_b32 v103, v15
	s_wait_dscnt 0x0
	s_barrier_signal -1
	s_barrier_wait -1
	v_cmpx_gt_u32_e32 13, v0
	s_cbranch_execz .LBB16_374
; %bb.365:
	v_cmp_ne_u32_e32 vcc_lo, 1, v34
	s_cbranch_vccnz .LBB16_367
; %bb.366:
	v_cmp_eq_u32_e32 vcc_lo, 1, v0
	ds_load_b32 v20, v103
	v_cndmask_b32_e32 v19, v2, v3, vcc_lo
	v_cmp_eq_u32_e32 vcc_lo, 2, v0
	s_delay_alu instid0(VALU_DEP_2) | instskip(SKIP_1) | instid1(VALU_DEP_2)
	v_cndmask_b32_e32 v19, v19, v4, vcc_lo
	v_cmp_eq_u32_e32 vcc_lo, 3, v0
	v_cndmask_b32_e32 v19, v19, v5, vcc_lo
	v_cmp_eq_u32_e32 vcc_lo, 4, v0
	s_delay_alu instid0(VALU_DEP_2) | instskip(SKIP_1) | instid1(VALU_DEP_2)
	v_cndmask_b32_e32 v19, v19, v6, vcc_lo
	v_cmp_eq_u32_e32 vcc_lo, 5, v0
	;; [unrolled: 5-line block ×7, first 2 shown]
	v_cndmask_b32_e32 v19, v19, v17, vcc_lo
	v_cmp_eq_u32_e32 vcc_lo, 16, v0
	s_delay_alu instid0(VALU_DEP_2) | instskip(SKIP_1) | instid1(VALU_DEP_1)
	v_cndmask_b32_e32 v19, v19, v18, vcc_lo
	s_wait_dscnt 0x0
	v_mul_f32_e32 v19, v19, v20
	s_cbranch_execz .LBB16_368
	s_branch .LBB16_369
.LBB16_367:
                                        ; implicit-def: $vgpr19
.LBB16_368:
	ds_load_b32 v19, v103
.LBB16_369:
	s_mov_b32 s1, exec_lo
	v_cmpx_ne_u32_e32 12, v0
	s_cbranch_execz .LBB16_373
; %bb.370:
	v_mov_b64_e32 v[20:21], v[0:1]
	v_lshl_add_u32 v22, v0, 2, 0x54
	s_mov_b32 s2, 0
.LBB16_371:                             ; =>This Inner Loop Header: Depth=1
	s_delay_alu instid0(VALU_DEP_2)
	v_add_nc_u64_e32 v[20:21], 1, v[20:21]
	ds_load_b32 v24, v22
	v_add_nc_u32_e32 v22, 4, v22
	v_cmp_eq_u32_e32 vcc_lo, 1, v20
	v_cndmask_b32_e32 v23, v2, v3, vcc_lo
	v_cmp_eq_u32_e32 vcc_lo, 2, v20
	s_delay_alu instid0(VALU_DEP_2) | instskip(SKIP_1) | instid1(VALU_DEP_2)
	v_cndmask_b32_e32 v23, v23, v4, vcc_lo
	v_cmp_eq_u32_e32 vcc_lo, 3, v20
	v_cndmask_b32_e32 v23, v23, v5, vcc_lo
	v_cmp_eq_u32_e32 vcc_lo, 4, v20
	s_delay_alu instid0(VALU_DEP_2) | instskip(SKIP_1) | instid1(VALU_DEP_2)
	v_cndmask_b32_e32 v23, v23, v6, vcc_lo
	;; [unrolled: 5-line block ×7, first 2 shown]
	v_cmp_eq_u32_e32 vcc_lo, 15, v20
	v_cndmask_b32_e32 v23, v23, v17, vcc_lo
	v_cmp_eq_u32_e32 vcc_lo, 16, v20
	s_delay_alu instid0(VALU_DEP_2) | instskip(SKIP_2) | instid1(VALU_DEP_2)
	v_cndmask_b32_e32 v23, v23, v18, vcc_lo
	v_cmp_lt_u32_e32 vcc_lo, 11, v20
	s_wait_dscnt 0x0
	v_fmac_f32_e32 v19, v23, v24
	s_or_b32 s2, vcc_lo, s2
	s_delay_alu instid0(SALU_CYCLE_1)
	s_and_not1_b32 exec_lo, exec_lo, s2
	s_cbranch_execnz .LBB16_371
; %bb.372:
	s_or_b32 exec_lo, exec_lo, s2
.LBB16_373:
	s_delay_alu instid0(SALU_CYCLE_1)
	s_or_b32 exec_lo, exec_lo, s1
	v_mov_b32_e32 v15, 0
	ds_load_b32 v15, v15 offset:52
	s_wait_dscnt 0x0
	v_mul_f32_e32 v15, v19, v15
.LBB16_374:
	s_or_b32 exec_lo, exec_lo, s0
	s_delay_alu instid0(SALU_CYCLE_1)
	s_mov_b32 s0, exec_lo
	ds_store_b32 v103, v16
	s_wait_dscnt 0x0
	s_barrier_signal -1
	s_barrier_wait -1
	v_cmpx_gt_u32_e32 14, v0
	s_cbranch_execz .LBB16_384
; %bb.375:
	v_cmp_ne_u32_e32 vcc_lo, 1, v34
	s_cbranch_vccnz .LBB16_377
; %bb.376:
	v_cmp_eq_u32_e32 vcc_lo, 1, v0
	ds_load_b32 v20, v103
	v_cndmask_b32_e32 v19, v2, v3, vcc_lo
	v_cmp_eq_u32_e32 vcc_lo, 2, v0
	s_delay_alu instid0(VALU_DEP_2) | instskip(SKIP_1) | instid1(VALU_DEP_2)
	v_cndmask_b32_e32 v19, v19, v4, vcc_lo
	v_cmp_eq_u32_e32 vcc_lo, 3, v0
	v_cndmask_b32_e32 v19, v19, v5, vcc_lo
	v_cmp_eq_u32_e32 vcc_lo, 4, v0
	s_delay_alu instid0(VALU_DEP_2) | instskip(SKIP_1) | instid1(VALU_DEP_2)
	v_cndmask_b32_e32 v19, v19, v6, vcc_lo
	v_cmp_eq_u32_e32 vcc_lo, 5, v0
	;; [unrolled: 5-line block ×7, first 2 shown]
	v_cndmask_b32_e32 v19, v19, v17, vcc_lo
	v_cmp_eq_u32_e32 vcc_lo, 16, v0
	s_delay_alu instid0(VALU_DEP_2) | instskip(SKIP_1) | instid1(VALU_DEP_1)
	v_cndmask_b32_e32 v19, v19, v18, vcc_lo
	s_wait_dscnt 0x0
	v_mul_f32_e32 v19, v19, v20
	s_cbranch_execz .LBB16_378
	s_branch .LBB16_379
.LBB16_377:
                                        ; implicit-def: $vgpr19
.LBB16_378:
	ds_load_b32 v19, v103
.LBB16_379:
	s_mov_b32 s1, exec_lo
	v_cmpx_ne_u32_e32 13, v0
	s_cbranch_execz .LBB16_383
; %bb.380:
	v_mov_b64_e32 v[20:21], v[0:1]
	v_lshl_add_u32 v22, v0, 2, 0x54
	s_mov_b32 s2, 0
.LBB16_381:                             ; =>This Inner Loop Header: Depth=1
	s_delay_alu instid0(VALU_DEP_2)
	v_add_nc_u64_e32 v[20:21], 1, v[20:21]
	ds_load_b32 v24, v22
	v_add_nc_u32_e32 v22, 4, v22
	v_cmp_eq_u32_e32 vcc_lo, 1, v20
	v_cndmask_b32_e32 v23, v2, v3, vcc_lo
	v_cmp_eq_u32_e32 vcc_lo, 2, v20
	s_delay_alu instid0(VALU_DEP_2) | instskip(SKIP_1) | instid1(VALU_DEP_2)
	v_cndmask_b32_e32 v23, v23, v4, vcc_lo
	v_cmp_eq_u32_e32 vcc_lo, 3, v20
	v_cndmask_b32_e32 v23, v23, v5, vcc_lo
	v_cmp_eq_u32_e32 vcc_lo, 4, v20
	s_delay_alu instid0(VALU_DEP_2) | instskip(SKIP_1) | instid1(VALU_DEP_2)
	v_cndmask_b32_e32 v23, v23, v6, vcc_lo
	;; [unrolled: 5-line block ×7, first 2 shown]
	v_cmp_eq_u32_e32 vcc_lo, 15, v20
	v_cndmask_b32_e32 v23, v23, v17, vcc_lo
	v_cmp_eq_u32_e32 vcc_lo, 16, v20
	s_delay_alu instid0(VALU_DEP_2) | instskip(SKIP_2) | instid1(VALU_DEP_2)
	v_cndmask_b32_e32 v23, v23, v18, vcc_lo
	v_cmp_lt_u32_e32 vcc_lo, 12, v20
	s_wait_dscnt 0x0
	v_fmac_f32_e32 v19, v23, v24
	s_or_b32 s2, vcc_lo, s2
	s_delay_alu instid0(SALU_CYCLE_1)
	s_and_not1_b32 exec_lo, exec_lo, s2
	s_cbranch_execnz .LBB16_381
; %bb.382:
	s_or_b32 exec_lo, exec_lo, s2
.LBB16_383:
	s_delay_alu instid0(SALU_CYCLE_1)
	s_or_b32 exec_lo, exec_lo, s1
	v_mov_b32_e32 v16, 0
	ds_load_b32 v16, v16 offset:56
	s_wait_dscnt 0x0
	v_mul_f32_e32 v16, v19, v16
.LBB16_384:
	s_or_b32 exec_lo, exec_lo, s0
	v_cmp_gt_u32_e64 s0, 15, v0
	ds_store_b32 v103, v17
	s_wait_dscnt 0x0
	s_barrier_signal -1
	s_barrier_wait -1
	s_and_saveexec_b32 s1, s0
	s_cbranch_execz .LBB16_394
; %bb.385:
	v_cmp_ne_u32_e32 vcc_lo, 1, v34
	s_cbranch_vccnz .LBB16_387
; %bb.386:
	v_cmp_eq_u32_e32 vcc_lo, 1, v0
	ds_load_b32 v20, v103
	v_cndmask_b32_e32 v19, v2, v3, vcc_lo
	v_cmp_eq_u32_e32 vcc_lo, 2, v0
	s_delay_alu instid0(VALU_DEP_2) | instskip(SKIP_1) | instid1(VALU_DEP_2)
	v_cndmask_b32_e32 v19, v19, v4, vcc_lo
	v_cmp_eq_u32_e32 vcc_lo, 3, v0
	v_cndmask_b32_e32 v19, v19, v5, vcc_lo
	v_cmp_eq_u32_e32 vcc_lo, 4, v0
	s_delay_alu instid0(VALU_DEP_2) | instskip(SKIP_1) | instid1(VALU_DEP_2)
	v_cndmask_b32_e32 v19, v19, v6, vcc_lo
	v_cmp_eq_u32_e32 vcc_lo, 5, v0
	;; [unrolled: 5-line block ×7, first 2 shown]
	v_cndmask_b32_e32 v19, v19, v17, vcc_lo
	v_cmp_eq_u32_e32 vcc_lo, 16, v0
	s_delay_alu instid0(VALU_DEP_2) | instskip(SKIP_1) | instid1(VALU_DEP_1)
	v_cndmask_b32_e32 v19, v19, v18, vcc_lo
	s_wait_dscnt 0x0
	v_mul_f32_e32 v19, v19, v20
	s_cbranch_execz .LBB16_388
	s_branch .LBB16_389
.LBB16_387:
                                        ; implicit-def: $vgpr19
.LBB16_388:
	ds_load_b32 v19, v103
.LBB16_389:
	s_mov_b32 s2, exec_lo
	v_cmpx_ne_u32_e32 14, v0
	s_cbranch_execz .LBB16_393
; %bb.390:
	v_mov_b64_e32 v[20:21], v[0:1]
	v_lshl_add_u32 v22, v0, 2, 0x54
	s_mov_b32 s3, 0
.LBB16_391:                             ; =>This Inner Loop Header: Depth=1
	s_delay_alu instid0(VALU_DEP_2)
	v_add_nc_u64_e32 v[20:21], 1, v[20:21]
	ds_load_b32 v24, v22
	v_add_nc_u32_e32 v22, 4, v22
	v_cmp_eq_u32_e32 vcc_lo, 1, v20
	v_cndmask_b32_e32 v23, v2, v3, vcc_lo
	v_cmp_eq_u32_e32 vcc_lo, 2, v20
	s_delay_alu instid0(VALU_DEP_2) | instskip(SKIP_1) | instid1(VALU_DEP_2)
	v_cndmask_b32_e32 v23, v23, v4, vcc_lo
	v_cmp_eq_u32_e32 vcc_lo, 3, v20
	v_cndmask_b32_e32 v23, v23, v5, vcc_lo
	v_cmp_eq_u32_e32 vcc_lo, 4, v20
	s_delay_alu instid0(VALU_DEP_2) | instskip(SKIP_1) | instid1(VALU_DEP_2)
	v_cndmask_b32_e32 v23, v23, v6, vcc_lo
	;; [unrolled: 5-line block ×7, first 2 shown]
	v_cmp_eq_u32_e32 vcc_lo, 15, v20
	v_cndmask_b32_e32 v23, v23, v17, vcc_lo
	v_cmp_eq_u32_e32 vcc_lo, 16, v20
	s_delay_alu instid0(VALU_DEP_2) | instskip(SKIP_2) | instid1(VALU_DEP_2)
	v_cndmask_b32_e32 v23, v23, v18, vcc_lo
	v_cmp_lt_u32_e32 vcc_lo, 13, v20
	s_wait_dscnt 0x0
	v_fmac_f32_e32 v19, v23, v24
	s_or_b32 s3, vcc_lo, s3
	s_delay_alu instid0(SALU_CYCLE_1)
	s_and_not1_b32 exec_lo, exec_lo, s3
	s_cbranch_execnz .LBB16_391
; %bb.392:
	s_or_b32 exec_lo, exec_lo, s3
.LBB16_393:
	s_delay_alu instid0(SALU_CYCLE_1)
	s_or_b32 exec_lo, exec_lo, s2
	v_mov_b32_e32 v17, 0
	ds_load_b32 v17, v17 offset:60
	s_wait_dscnt 0x0
	v_mul_f32_e32 v17, v19, v17
.LBB16_394:
	s_or_b32 exec_lo, exec_lo, s1
	s_delay_alu instid0(SALU_CYCLE_1)
	s_mov_b32 s1, exec_lo
	ds_store_b32 v103, v18
	s_wait_dscnt 0x0
	s_barrier_signal -1
	s_barrier_wait -1
	v_cmpx_ne_u32_e32 16, v0
	s_cbranch_execz .LBB16_404
; %bb.395:
	v_cmp_ne_u32_e32 vcc_lo, 1, v34
	s_cbranch_vccnz .LBB16_397
; %bb.396:
	v_cmp_eq_u32_e32 vcc_lo, 1, v0
	ds_load_b32 v20, v103
	v_cndmask_b32_e32 v19, v2, v3, vcc_lo
	v_cmp_eq_u32_e32 vcc_lo, 2, v0
	s_delay_alu instid0(VALU_DEP_2) | instskip(SKIP_1) | instid1(VALU_DEP_2)
	v_cndmask_b32_e32 v19, v19, v4, vcc_lo
	v_cmp_eq_u32_e32 vcc_lo, 3, v0
	v_cndmask_b32_e32 v19, v19, v5, vcc_lo
	v_cmp_eq_u32_e32 vcc_lo, 4, v0
	s_delay_alu instid0(VALU_DEP_2) | instskip(SKIP_1) | instid1(VALU_DEP_2)
	v_cndmask_b32_e32 v19, v19, v6, vcc_lo
	v_cmp_eq_u32_e32 vcc_lo, 5, v0
	;; [unrolled: 5-line block ×7, first 2 shown]
	v_cndmask_b32_e32 v19, v19, v17, vcc_lo
	v_cmp_eq_u32_e32 vcc_lo, 16, v0
	s_delay_alu instid0(VALU_DEP_2) | instskip(SKIP_1) | instid1(VALU_DEP_1)
	v_cndmask_b32_e32 v19, v19, v18, vcc_lo
	s_wait_dscnt 0x0
	v_mul_f32_e32 v19, v19, v20
	s_cbranch_execz .LBB16_398
	s_branch .LBB16_399
.LBB16_397:
                                        ; implicit-def: $vgpr19
.LBB16_398:
	ds_load_b32 v19, v103
.LBB16_399:
	s_and_saveexec_b32 s2, s0
	s_cbranch_execz .LBB16_403
; %bb.400:
	v_lshl_add_u32 v20, v0, 2, 0x54
	s_mov_b32 s0, 0
.LBB16_401:                             ; =>This Inner Loop Header: Depth=1
	v_add_nc_u64_e32 v[0:1], 1, v[0:1]
	ds_load_b32 v22, v20
	v_add_nc_u32_e32 v20, 4, v20
	v_cmp_eq_u32_e32 vcc_lo, 1, v0
	v_cndmask_b32_e32 v21, v2, v3, vcc_lo
	v_cmp_eq_u32_e32 vcc_lo, 2, v0
	s_delay_alu instid0(VALU_DEP_2) | instskip(SKIP_1) | instid1(VALU_DEP_2)
	v_cndmask_b32_e32 v21, v21, v4, vcc_lo
	v_cmp_eq_u32_e32 vcc_lo, 3, v0
	v_cndmask_b32_e32 v21, v21, v5, vcc_lo
	v_cmp_eq_u32_e32 vcc_lo, 4, v0
	s_delay_alu instid0(VALU_DEP_2) | instskip(SKIP_1) | instid1(VALU_DEP_2)
	v_cndmask_b32_e32 v21, v21, v6, vcc_lo
	v_cmp_eq_u32_e32 vcc_lo, 5, v0
	v_cndmask_b32_e32 v21, v21, v7, vcc_lo
	v_cmp_eq_u32_e32 vcc_lo, 6, v0
	s_delay_alu instid0(VALU_DEP_2) | instskip(SKIP_1) | instid1(VALU_DEP_2)
	v_cndmask_b32_e32 v21, v21, v8, vcc_lo
	v_cmp_eq_u32_e32 vcc_lo, 7, v0
	v_cndmask_b32_e32 v21, v21, v9, vcc_lo
	v_cmp_eq_u32_e32 vcc_lo, 8, v0
	s_delay_alu instid0(VALU_DEP_2) | instskip(SKIP_1) | instid1(VALU_DEP_2)
	v_cndmask_b32_e32 v21, v21, v10, vcc_lo
	v_cmp_eq_u32_e32 vcc_lo, 9, v0
	v_cndmask_b32_e32 v21, v21, v11, vcc_lo
	v_cmp_eq_u32_e32 vcc_lo, 10, v0
	s_delay_alu instid0(VALU_DEP_2) | instskip(SKIP_1) | instid1(VALU_DEP_2)
	v_cndmask_b32_e32 v21, v21, v12, vcc_lo
	v_cmp_eq_u32_e32 vcc_lo, 11, v0
	v_cndmask_b32_e32 v21, v21, v13, vcc_lo
	v_cmp_eq_u32_e32 vcc_lo, 12, v0
	s_delay_alu instid0(VALU_DEP_2) | instskip(SKIP_1) | instid1(VALU_DEP_2)
	v_cndmask_b32_e32 v21, v21, v14, vcc_lo
	v_cmp_eq_u32_e32 vcc_lo, 13, v0
	v_cndmask_b32_e32 v21, v21, v15, vcc_lo
	v_cmp_eq_u32_e32 vcc_lo, 14, v0
	s_delay_alu instid0(VALU_DEP_2) | instskip(SKIP_1) | instid1(VALU_DEP_2)
	v_cndmask_b32_e32 v21, v21, v16, vcc_lo
	v_cmp_eq_u32_e32 vcc_lo, 15, v0
	v_cndmask_b32_e32 v21, v21, v17, vcc_lo
	v_cmp_eq_u32_e32 vcc_lo, 16, v0
	s_delay_alu instid0(VALU_DEP_2) | instskip(SKIP_2) | instid1(VALU_DEP_2)
	v_cndmask_b32_e32 v21, v21, v18, vcc_lo
	v_cmp_lt_u32_e32 vcc_lo, 14, v0
	s_wait_dscnt 0x0
	v_fmac_f32_e32 v19, v21, v22
	s_or_b32 s0, vcc_lo, s0
	s_delay_alu instid0(SALU_CYCLE_1)
	s_and_not1_b32 exec_lo, exec_lo, s0
	s_cbranch_execnz .LBB16_401
; %bb.402:
	s_or_b32 exec_lo, exec_lo, s0
.LBB16_403:
	s_delay_alu instid0(SALU_CYCLE_1)
	s_or_b32 exec_lo, exec_lo, s2
	v_mov_b32_e32 v0, 0
	ds_load_b32 v0, v0 offset:64
	s_wait_dscnt 0x0
	v_mul_f32_e32 v18, v19, v0
.LBB16_404:
	s_or_b32 exec_lo, exec_lo, s1
	v_mov_b64_e32 v[64:65], v[32:33]
	s_delay_alu instid0(VALU_DEP_2)
	v_mov_b64_e32 v[50:51], v[18:19]
	v_mov_b64_e32 v[48:49], v[16:17]
	;; [unrolled: 1-line block ×15, first 2 shown]
.LBB16_405:
	s_wait_xcnt 0x10
	v_lshl_add_u64 v[0:1], v[66:67], 2, s[18:19]
	s_wait_loadcnt 0xf
	v_lshl_add_u64 v[2:3], v[68:69], 2, s[18:19]
	s_wait_loadcnt 0xd
	;; [unrolled: 2-line block ×9, first 2 shown]
	v_lshl_add_u64 v[18:19], v[84:85], 2, s[18:19]
	v_lshl_add_u64 v[20:21], v[88:89], 2, s[18:19]
	;; [unrolled: 1-line block ×6, first 2 shown]
	s_clause 0x10
	global_store_b32 v[86:87], v34, off
	global_store_b32 v[90:91], v35, off
	;; [unrolled: 1-line block ×17, first 2 shown]
.LBB16_406:
	s_sendmsg sendmsg(MSG_DEALLOC_VGPRS)
	s_endpgm
	.section	.rodata,"a",@progbits
	.p2align	6, 0x0
	.amdhsa_kernel _ZN9rocsolver6v33100L18trti2_kernel_smallILi17EfPfEEv13rocblas_fill_17rocblas_diagonal_T1_iil
		.amdhsa_group_segment_fixed_size 148
		.amdhsa_private_segment_fixed_size 0
		.amdhsa_kernarg_size 32
		.amdhsa_user_sgpr_count 2
		.amdhsa_user_sgpr_dispatch_ptr 0
		.amdhsa_user_sgpr_queue_ptr 0
		.amdhsa_user_sgpr_kernarg_segment_ptr 1
		.amdhsa_user_sgpr_dispatch_id 0
		.amdhsa_user_sgpr_kernarg_preload_length 0
		.amdhsa_user_sgpr_kernarg_preload_offset 0
		.amdhsa_user_sgpr_private_segment_size 0
		.amdhsa_wavefront_size32 1
		.amdhsa_uses_dynamic_stack 0
		.amdhsa_enable_private_segment 0
		.amdhsa_system_sgpr_workgroup_id_x 1
		.amdhsa_system_sgpr_workgroup_id_y 0
		.amdhsa_system_sgpr_workgroup_id_z 0
		.amdhsa_system_sgpr_workgroup_info 0
		.amdhsa_system_vgpr_workitem_id 0
		.amdhsa_next_free_vgpr 115
		.amdhsa_next_free_sgpr 28
		.amdhsa_named_barrier_count 0
		.amdhsa_reserve_vcc 1
		.amdhsa_float_round_mode_32 0
		.amdhsa_float_round_mode_16_64 0
		.amdhsa_float_denorm_mode_32 3
		.amdhsa_float_denorm_mode_16_64 3
		.amdhsa_fp16_overflow 0
		.amdhsa_memory_ordered 1
		.amdhsa_forward_progress 1
		.amdhsa_inst_pref_size 174
		.amdhsa_round_robin_scheduling 0
		.amdhsa_exception_fp_ieee_invalid_op 0
		.amdhsa_exception_fp_denorm_src 0
		.amdhsa_exception_fp_ieee_div_zero 0
		.amdhsa_exception_fp_ieee_overflow 0
		.amdhsa_exception_fp_ieee_underflow 0
		.amdhsa_exception_fp_ieee_inexact 0
		.amdhsa_exception_int_div_zero 0
	.end_amdhsa_kernel
	.section	.text._ZN9rocsolver6v33100L18trti2_kernel_smallILi17EfPfEEv13rocblas_fill_17rocblas_diagonal_T1_iil,"axG",@progbits,_ZN9rocsolver6v33100L18trti2_kernel_smallILi17EfPfEEv13rocblas_fill_17rocblas_diagonal_T1_iil,comdat
.Lfunc_end16:
	.size	_ZN9rocsolver6v33100L18trti2_kernel_smallILi17EfPfEEv13rocblas_fill_17rocblas_diagonal_T1_iil, .Lfunc_end16-_ZN9rocsolver6v33100L18trti2_kernel_smallILi17EfPfEEv13rocblas_fill_17rocblas_diagonal_T1_iil
                                        ; -- End function
	.set _ZN9rocsolver6v33100L18trti2_kernel_smallILi17EfPfEEv13rocblas_fill_17rocblas_diagonal_T1_iil.num_vgpr, 115
	.set _ZN9rocsolver6v33100L18trti2_kernel_smallILi17EfPfEEv13rocblas_fill_17rocblas_diagonal_T1_iil.num_agpr, 0
	.set _ZN9rocsolver6v33100L18trti2_kernel_smallILi17EfPfEEv13rocblas_fill_17rocblas_diagonal_T1_iil.numbered_sgpr, 28
	.set _ZN9rocsolver6v33100L18trti2_kernel_smallILi17EfPfEEv13rocblas_fill_17rocblas_diagonal_T1_iil.num_named_barrier, 0
	.set _ZN9rocsolver6v33100L18trti2_kernel_smallILi17EfPfEEv13rocblas_fill_17rocblas_diagonal_T1_iil.private_seg_size, 0
	.set _ZN9rocsolver6v33100L18trti2_kernel_smallILi17EfPfEEv13rocblas_fill_17rocblas_diagonal_T1_iil.uses_vcc, 1
	.set _ZN9rocsolver6v33100L18trti2_kernel_smallILi17EfPfEEv13rocblas_fill_17rocblas_diagonal_T1_iil.uses_flat_scratch, 0
	.set _ZN9rocsolver6v33100L18trti2_kernel_smallILi17EfPfEEv13rocblas_fill_17rocblas_diagonal_T1_iil.has_dyn_sized_stack, 0
	.set _ZN9rocsolver6v33100L18trti2_kernel_smallILi17EfPfEEv13rocblas_fill_17rocblas_diagonal_T1_iil.has_recursion, 0
	.set _ZN9rocsolver6v33100L18trti2_kernel_smallILi17EfPfEEv13rocblas_fill_17rocblas_diagonal_T1_iil.has_indirect_call, 0
	.section	.AMDGPU.csdata,"",@progbits
; Kernel info:
; codeLenInByte = 22272
; TotalNumSgprs: 30
; NumVgprs: 115
; ScratchSize: 0
; MemoryBound: 0
; FloatMode: 240
; IeeeMode: 1
; LDSByteSize: 148 bytes/workgroup (compile time only)
; SGPRBlocks: 0
; VGPRBlocks: 7
; NumSGPRsForWavesPerEU: 30
; NumVGPRsForWavesPerEU: 115
; NamedBarCnt: 0
; Occupancy: 8
; WaveLimiterHint : 0
; COMPUTE_PGM_RSRC2:SCRATCH_EN: 0
; COMPUTE_PGM_RSRC2:USER_SGPR: 2
; COMPUTE_PGM_RSRC2:TRAP_HANDLER: 0
; COMPUTE_PGM_RSRC2:TGID_X_EN: 1
; COMPUTE_PGM_RSRC2:TGID_Y_EN: 0
; COMPUTE_PGM_RSRC2:TGID_Z_EN: 0
; COMPUTE_PGM_RSRC2:TIDIG_COMP_CNT: 0
	.section	.text._ZN9rocsolver6v33100L18trti2_kernel_smallILi18EfPfEEv13rocblas_fill_17rocblas_diagonal_T1_iil,"axG",@progbits,_ZN9rocsolver6v33100L18trti2_kernel_smallILi18EfPfEEv13rocblas_fill_17rocblas_diagonal_T1_iil,comdat
	.globl	_ZN9rocsolver6v33100L18trti2_kernel_smallILi18EfPfEEv13rocblas_fill_17rocblas_diagonal_T1_iil ; -- Begin function _ZN9rocsolver6v33100L18trti2_kernel_smallILi18EfPfEEv13rocblas_fill_17rocblas_diagonal_T1_iil
	.p2align	8
	.type	_ZN9rocsolver6v33100L18trti2_kernel_smallILi18EfPfEEv13rocblas_fill_17rocblas_diagonal_T1_iil,@function
_ZN9rocsolver6v33100L18trti2_kernel_smallILi18EfPfEEv13rocblas_fill_17rocblas_diagonal_T1_iil: ; @_ZN9rocsolver6v33100L18trti2_kernel_smallILi18EfPfEEv13rocblas_fill_17rocblas_diagonal_T1_iil
; %bb.0:
	s_mov_b32 s2, exec_lo
	v_cmpx_gt_u32_e32 18, v0
	s_cbranch_execz .LBB17_432
; %bb.1:
	s_load_b256 s[20:27], s[0:1], 0x0
	s_wait_xcnt 0x0
	s_bfe_u32 s0, ttmp6, 0x4000c
	s_and_b32 s1, ttmp6, 15
	s_add_co_i32 s0, s0, 1
	s_getreg_b32 s2, hwreg(HW_REG_IB_STS2, 6, 4)
	s_mul_i32 s0, ttmp9, s0
	v_mov_b32_e32 v1, 0
	s_add_co_i32 s0, s1, s0
	s_delay_alu instid0(VALU_DEP_1)
	v_dual_mov_b32 v35, v1 :: v_dual_lshlrev_b32 v34, 2, v0
	s_wait_kmcnt 0x0
	v_add3_u32 v66, s25, s25, v0
	s_ashr_i32 s1, s24, 31
	s_cmp_eq_u32 s2, 0
	s_cselect_b32 s2, ttmp9, s0
	s_delay_alu instid0(VALU_DEP_1)
	v_add_nc_u32_e32 v68, s25, v66
	s_ashr_i32 s3, s2, 31
	s_mov_b32 s0, s24
	s_mul_u64 s[2:3], s[26:27], s[2:3]
	s_lshl_b64 s[0:1], s[0:1], 2
	v_add_nc_u32_e32 v70, s25, v68
	s_lshl_b64 s[2:3], s[2:3], 2
	s_delay_alu instid0(SALU_CYCLE_1) | instskip(NEXT) | instid1(VALU_DEP_1)
	s_add_nc_u64 s[2:3], s[22:23], s[2:3]
	v_add_nc_u32_e32 v72, s25, v70
	s_add_nc_u64 s[18:19], s[2:3], s[0:1]
	s_mov_b32 s0, s25
	s_ashr_i32 s1, s25, 31
	s_cmp_lg_u32 s21, 0x84
	v_add_nc_u32_e32 v74, s25, v72
	s_cselect_b32 s22, -1, 0
	s_cmp_eq_u32 s21, 0x84
	v_add_nc_u64_e32 v[86:87], s[18:19], v[34:35]
	s_delay_alu instid0(VALU_DEP_2) | instskip(NEXT) | instid1(VALU_DEP_1)
	v_dual_mov_b32 v35, -1.0 :: v_dual_add_nc_u32 v76, s25, v74
	v_add_nc_u32_e32 v78, s25, v76
	s_delay_alu instid0(VALU_DEP_3)
	v_lshl_add_u64 v[92:93], s[0:1], 2, v[86:87]
	s_clause 0x7
	global_load_b32 v3, v[92:93], off
	global_load_b32 v4, v66, s[18:19] scale_offset
	global_load_b32 v5, v68, s[18:19] scale_offset
	;; [unrolled: 1-line block ×7, first 2 shown]
	v_add_nc_u32_e32 v80, s25, v78
	v_cmp_eq_u32_e64 s0, 0, v0
	s_delay_alu instid0(VALU_DEP_2) | instskip(NEXT) | instid1(VALU_DEP_1)
	v_add_nc_u32_e32 v82, s25, v80
	v_add_nc_u32_e32 v84, s25, v82
	s_delay_alu instid0(VALU_DEP_1) | instskip(NEXT) | instid1(VALU_DEP_1)
	v_add_nc_u32_e32 v88, s25, v84
	v_add_nc_u32_e32 v90, s25, v88
	s_delay_alu instid0(VALU_DEP_1) | instskip(NEXT) | instid1(VALU_DEP_1)
	;; [unrolled: 3-line block ×3, first 2 shown]
	v_add_nc_u32_e32 v98, s25, v96
	v_add_nc_u32_e32 v100, s25, v98
	s_clause 0x9
	global_load_b32 v11, v80, s[18:19] scale_offset
	global_load_b32 v12, v82, s[18:19] scale_offset
	;; [unrolled: 1-line block ×10, first 2 shown]
	s_cbranch_scc1 .LBB17_3
; %bb.2:
	v_cmp_eq_u32_e64 s1, 1, v0
	v_cmp_eq_u32_e64 s2, 2, v0
	v_cmp_eq_u32_e64 s3, 3, v0
	v_cmp_eq_u32_e64 s4, 4, v0
	v_cmp_eq_u32_e64 s5, 5, v0
	s_wait_loadcnt 0x1
	v_cndmask_b32_e64 v20, v2, v3, s1
	v_cmp_eq_u32_e64 s6, 6, v0
	v_cmp_eq_u32_e64 s7, 7, v0
	v_cmp_eq_u32_e64 s8, 8, v0
	v_cmp_eq_u32_e64 s9, 9, v0
	v_cndmask_b32_e64 v20, v20, v4, s2
	v_cmp_eq_u32_e64 s10, 10, v0
	v_cmp_eq_u32_e64 s11, 11, v0
	v_cmp_eq_u32_e64 s12, 12, v0
	v_cmp_eq_u32_e64 s13, 13, v0
	v_cndmask_b32_e64 v20, v20, v5, s3
	v_cmp_eq_u32_e64 s14, 14, v0
	v_cmp_eq_u32_e64 s15, 15, v0
	v_cmp_eq_u32_e64 s16, 16, v0
	v_cmp_eq_u32_e64 s17, 17, v0
	v_cndmask_b32_e64 v20, v20, v6, s4
	s_delay_alu instid0(VALU_DEP_1) | instskip(NEXT) | instid1(VALU_DEP_1)
	v_cndmask_b32_e64 v20, v20, v7, s5
	v_cndmask_b32_e64 v20, v20, v8, s6
	s_delay_alu instid0(VALU_DEP_1) | instskip(NEXT) | instid1(VALU_DEP_1)
	v_cndmask_b32_e64 v20, v20, v9, s7
	;; [unrolled: 3-line block ×6, first 2 shown]
	v_cndmask_b32_e64 v20, v20, v18, s16
	s_wait_loadcnt 0x0
	s_delay_alu instid0(VALU_DEP_1) | instskip(NEXT) | instid1(VALU_DEP_1)
	v_cndmask_b32_e64 v20, v20, v19, s17
	v_div_scale_f32 v21, null, v20, v20, 1.0
	v_div_scale_f32 v24, vcc_lo, 1.0, v20, 1.0
	s_delay_alu instid0(VALU_DEP_2) | instskip(SKIP_1) | instid1(TRANS32_DEP_1)
	v_rcp_f32_e32 v22, v21
	v_nop
	v_fma_f32 v23, -v21, v22, 1.0
	s_delay_alu instid0(VALU_DEP_1) | instskip(NEXT) | instid1(VALU_DEP_1)
	v_fmac_f32_e32 v22, v23, v22
	v_mul_f32_e32 v23, v24, v22
	s_delay_alu instid0(VALU_DEP_1) | instskip(NEXT) | instid1(VALU_DEP_1)
	v_fma_f32 v25, -v21, v23, v24
	v_fmac_f32_e32 v23, v25, v22
	s_delay_alu instid0(VALU_DEP_1) | instskip(NEXT) | instid1(VALU_DEP_1)
	v_fma_f32 v21, -v21, v23, v24
	v_div_fmas_f32 v21, v21, v22, v23
	s_delay_alu instid0(VALU_DEP_1) | instskip(NEXT) | instid1(VALU_DEP_1)
	v_div_fixup_f32 v20, v21, v20, 1.0
	v_dual_cndmask_b32 v19, v19, v20, s17 :: v_dual_cndmask_b32 v18, v18, v20, s16
	v_dual_cndmask_b32 v17, v17, v20, s15 :: v_dual_cndmask_b32 v16, v16, v20, s14
	;; [unrolled: 1-line block ×9, first 2 shown]
	v_xor_b32_e32 v35, 0x80000000, v20
.LBB17_3:
	v_dual_ashrrev_i32 v67, 31, v66 :: v_dual_ashrrev_i32 v69, 31, v68
	v_dual_ashrrev_i32 v71, 31, v70 :: v_dual_ashrrev_i32 v73, 31, v72
	v_dual_ashrrev_i32 v75, 31, v74 :: v_dual_ashrrev_i32 v77, 31, v76
	v_dual_ashrrev_i32 v79, 31, v78 :: v_dual_ashrrev_i32 v81, 31, v80
	v_dual_ashrrev_i32 v83, 31, v82 :: v_dual_ashrrev_i32 v85, 31, v84
	v_dual_ashrrev_i32 v89, 31, v88 :: v_dual_ashrrev_i32 v91, 31, v90
	v_dual_ashrrev_i32 v95, 31, v94 :: v_dual_ashrrev_i32 v97, 31, v96
	v_dual_ashrrev_i32 v99, 31, v98 :: v_dual_ashrrev_i32 v101, 31, v100
	v_add_nc_u32_e32 v105, 0x50, v34
	s_cmp_eq_u32 s20, 0x79
	ds_store_b32 v34, v35
	s_cbranch_scc1 .LBB17_7
; %bb.4:
	s_wait_loadcnt 0x0
	v_mov_b64_e32 v[64:65], v[32:33]
	v_mov_b64_e32 v[62:63], v[30:31]
	;; [unrolled: 1-line block ×16, first 2 shown]
	v_cmp_eq_u32_e64 s0, 17, v0
	ds_store_b32 v105, v18
	s_wait_dscnt 0x0
	s_barrier_signal -1
	s_barrier_wait -1
	s_and_saveexec_b32 s1, s0
	s_cbranch_execz .LBB17_11
; %bb.5:
	s_and_b32 vcc_lo, exec_lo, s22
	s_cbranch_vccz .LBB17_8
; %bb.6:
	v_cmp_eq_u32_e32 vcc_lo, 1, v0
	ds_load_b32 v35, v105
	v_cndmask_b32_e32 v34, v2, v3, vcc_lo
	v_cmp_eq_u32_e32 vcc_lo, 2, v0
	s_delay_alu instid0(VALU_DEP_2) | instskip(SKIP_1) | instid1(VALU_DEP_2)
	v_cndmask_b32_e32 v34, v34, v4, vcc_lo
	v_cmp_eq_u32_e32 vcc_lo, 3, v0
	v_cndmask_b32_e32 v34, v34, v5, vcc_lo
	v_cmp_eq_u32_e32 vcc_lo, 4, v0
	s_delay_alu instid0(VALU_DEP_2) | instskip(SKIP_1) | instid1(VALU_DEP_2)
	v_cndmask_b32_e32 v34, v34, v6, vcc_lo
	v_cmp_eq_u32_e32 vcc_lo, 5, v0
	;; [unrolled: 5-line block ×8, first 2 shown]
	v_cndmask_b32_e32 v34, v34, v19, vcc_lo
	s_wait_dscnt 0x0
	s_delay_alu instid0(VALU_DEP_1)
	v_mul_f32_e32 v50, v34, v35
	s_cbranch_execz .LBB17_9
	s_branch .LBB17_10
.LBB17_7:
                                        ; implicit-def: $vgpr34_vgpr35_vgpr36_vgpr37_vgpr38_vgpr39_vgpr40_vgpr41_vgpr42_vgpr43_vgpr44_vgpr45_vgpr46_vgpr47_vgpr48_vgpr49_vgpr50_vgpr51_vgpr52_vgpr53_vgpr54_vgpr55_vgpr56_vgpr57_vgpr58_vgpr59_vgpr60_vgpr61_vgpr62_vgpr63_vgpr64_vgpr65
	s_cbranch_execnz .LBB17_258
	s_branch .LBB17_431
.LBB17_8:
                                        ; implicit-def: $vgpr50
.LBB17_9:
	ds_load_b32 v50, v105
.LBB17_10:
	v_dual_mov_b32 v34, 0 :: v_dual_mov_b32 v35, v3
	v_dual_mov_b32 v37, v5 :: v_dual_mov_b32 v38, v6
	;; [unrolled: 1-line block ×3, first 2 shown]
	ds_load_b32 v51, v34 offset:64
	v_dual_mov_b32 v34, v2 :: v_dual_mov_b32 v36, v4
	v_dual_mov_b32 v41, v9 :: v_dual_mov_b32 v42, v10
	;; [unrolled: 1-line block ×5, first 2 shown]
	s_wait_dscnt 0x0
	v_dual_mov_b32 v49, v17 :: v_dual_mul_f32 v50, v50, v51
	v_mov_b32_e32 v51, v19
.LBB17_11:
	s_or_b32 exec_lo, exec_lo, s1
	v_cmp_lt_u32_e64 s1, 15, v0
	ds_store_b32 v105, v49
	s_wait_dscnt 0x0
	s_barrier_signal -1
	s_barrier_wait -1
	s_and_saveexec_b32 s2, s1
	s_cbranch_execz .LBB17_17
; %bb.12:
	s_and_not1_b32 vcc_lo, exec_lo, s22
	s_cbranch_vccnz .LBB17_14
; %bb.13:
	v_cmp_eq_u32_e32 vcc_lo, 1, v0
	ds_load_b32 v53, v105
	v_cndmask_b32_e32 v52, v34, v35, vcc_lo
	v_cmp_eq_u32_e32 vcc_lo, 2, v0
	s_delay_alu instid0(VALU_DEP_2) | instskip(SKIP_1) | instid1(VALU_DEP_2)
	v_cndmask_b32_e32 v52, v52, v36, vcc_lo
	v_cmp_eq_u32_e32 vcc_lo, 3, v0
	v_cndmask_b32_e32 v52, v52, v37, vcc_lo
	v_cmp_eq_u32_e32 vcc_lo, 4, v0
	s_delay_alu instid0(VALU_DEP_2) | instskip(SKIP_1) | instid1(VALU_DEP_2)
	v_cndmask_b32_e32 v52, v52, v38, vcc_lo
	v_cmp_eq_u32_e32 vcc_lo, 5, v0
	;; [unrolled: 5-line block ×8, first 2 shown]
	v_cndmask_b32_e32 v49, v49, v51, vcc_lo
	s_wait_dscnt 0x0
	s_delay_alu instid0(VALU_DEP_1)
	v_mul_f32_e32 v49, v49, v53
	s_cbranch_execz .LBB17_15
	s_branch .LBB17_16
.LBB17_14:
                                        ; implicit-def: $vgpr49
.LBB17_15:
	ds_load_b32 v49, v105
.LBB17_16:
	v_mov_b32_e32 v52, 0
	ds_load_2addr_b32 v[52:53], v52 offset0:15 offset1:36
	s_wait_dscnt 0x0
	v_fma_f32 v53, v50, v53, v49
	s_delay_alu instid0(VALU_DEP_1) | instskip(NEXT) | instid1(VALU_DEP_1)
	v_cndmask_b32_e64 v49, v49, v53, s0
	v_mul_f32_e32 v49, v49, v52
.LBB17_17:
	s_or_b32 exec_lo, exec_lo, s2
	v_cmp_lt_u32_e64 s0, 14, v0
	ds_store_b32 v105, v48
	s_wait_dscnt 0x0
	s_barrier_signal -1
	s_barrier_wait -1
	s_and_saveexec_b32 s4, s0
	s_cbranch_execz .LBB17_33
; %bb.18:
	s_and_not1_b32 vcc_lo, exec_lo, s22
	s_cbranch_vccnz .LBB17_20
; %bb.19:
	v_cmp_eq_u32_e32 vcc_lo, 1, v0
	ds_load_b32 v103, v105
	v_cndmask_b32_e32 v102, v34, v35, vcc_lo
	v_cmp_eq_u32_e32 vcc_lo, 2, v0
	s_delay_alu instid0(VALU_DEP_2) | instskip(SKIP_1) | instid1(VALU_DEP_2)
	v_cndmask_b32_e32 v102, v102, v36, vcc_lo
	v_cmp_eq_u32_e32 vcc_lo, 3, v0
	v_cndmask_b32_e32 v102, v102, v37, vcc_lo
	v_cmp_eq_u32_e32 vcc_lo, 4, v0
	s_delay_alu instid0(VALU_DEP_2) | instskip(SKIP_1) | instid1(VALU_DEP_2)
	v_cndmask_b32_e32 v102, v102, v38, vcc_lo
	v_cmp_eq_u32_e32 vcc_lo, 5, v0
	;; [unrolled: 5-line block ×8, first 2 shown]
	v_cndmask_b32_e32 v102, v102, v51, vcc_lo
	s_wait_dscnt 0x0
	s_delay_alu instid0(VALU_DEP_1)
	v_mul_f32_e32 v106, v102, v103
	s_cbranch_execz .LBB17_21
	s_branch .LBB17_22
.LBB17_20:
                                        ; implicit-def: $vgpr106
.LBB17_21:
	ds_load_b32 v106, v105
.LBB17_22:
	s_and_saveexec_b32 s5, s1
	s_cbranch_execz .LBB17_32
; %bb.23:
	v_dual_add_nc_u32 v102, -16, v0 :: v_dual_add_nc_u32 v103, -15, v0
	s_delay_alu instid0(VALU_DEP_1)
	v_cmp_lt_u32_e32 vcc_lo, 6, v102
	v_mov_b32_e32 v102, 15
	s_and_saveexec_b32 s1, vcc_lo
	s_cbranch_execz .LBB17_27
; %bb.24:
	v_and_b32_e32 v102, -8, v103
	s_mov_b32 s6, 0
	s_mov_b64 s[2:3], 22
	s_movk_i32 s7, 0x8c
	s_delay_alu instid0(VALU_DEP_1)
	v_sub_nc_u32_e32 v104, 0, v102
.LBB17_25:                              ; =>This Inner Loop Header: Depth=1
	s_add_co_i32 m0, s2, -7
	v_movrels_b32_e32 v102, v34
	v_mov_b32_e32 v107, s7
	s_add_co_i32 m0, s2, -6
	s_add_co_i32 s7, s7, 32
	ds_load_2addr_b32 v[108:109], v107 offset1:1
	s_wait_dscnt 0x0
	v_fmac_f32_e32 v106, v102, v108
	v_movrels_b32_e32 v102, v34
	s_add_co_i32 m0, s2, -5
	s_delay_alu instid0(VALU_DEP_1) | instskip(SKIP_4) | instid1(VALU_DEP_1)
	v_fmac_f32_e32 v106, v102, v109
	ds_load_2addr_b32 v[108:109], v107 offset0:2 offset1:3
	v_movrels_b32_e32 v102, v34
	s_add_co_i32 m0, s2, -4
	s_wait_dscnt 0x0
	v_fmac_f32_e32 v106, v102, v108
	v_movrels_b32_e32 v102, v34
	s_add_co_i32 m0, s2, -3
	s_delay_alu instid0(VALU_DEP_1) | instskip(SKIP_4) | instid1(VALU_DEP_1)
	v_fmac_f32_e32 v106, v102, v109
	ds_load_2addr_b32 v[108:109], v107 offset0:4 offset1:5
	v_movrels_b32_e32 v102, v34
	s_add_co_i32 m0, s2, -2
	s_wait_dscnt 0x0
	v_fmac_f32_e32 v106, v102, v108
	v_movrels_b32_e32 v102, v34
	s_add_co_i32 m0, s2, -1
	s_delay_alu instid0(VALU_DEP_1) | instskip(SKIP_4) | instid1(SALU_CYCLE_1)
	v_fmac_f32_e32 v106, v102, v109
	ds_load_2addr_b32 v[108:109], v107 offset0:6 offset1:7
	v_movrels_b32_e32 v102, v34
	s_mov_b32 m0, s2
	s_add_nc_u64 s[2:3], s[2:3], 8
	s_add_co_i32 s8, s2, -7
	s_wait_dscnt 0x0
	v_fmac_f32_e32 v106, v102, v108
	v_movrels_b32_e32 v102, v34
	s_delay_alu instid0(VALU_DEP_1) | instskip(NEXT) | instid1(VALU_DEP_1)
	v_dual_fmac_f32 v106, v102, v109 :: v_dual_add_nc_u32 v102, s2, v104
	v_cmp_eq_u32_e32 vcc_lo, 22, v102
	v_mov_b32_e32 v102, s8
	s_or_b32 s6, vcc_lo, s6
	s_delay_alu instid0(SALU_CYCLE_1)
	s_and_not1_b32 exec_lo, exec_lo, s6
	s_cbranch_execnz .LBB17_25
; %bb.26:
	s_or_b32 exec_lo, exec_lo, s6
.LBB17_27:
	s_delay_alu instid0(SALU_CYCLE_1) | instskip(SKIP_3) | instid1(VALU_DEP_1)
	s_or_b32 exec_lo, exec_lo, s1
	v_and_b32_e32 v52, 7, v103
	s_mov_b32 s2, 0
	s_mov_b32 s1, exec_lo
	v_cmpx_ne_u32_e32 0, v52
	s_cbranch_execz .LBB17_31
; %bb.28:
	v_lshl_add_u32 v53, v102, 2, 0x50
	v_mov_b32_e32 v103, 0
.LBB17_29:                              ; =>This Inner Loop Header: Depth=1
	v_cmp_eq_u32_e32 vcc_lo, 1, v102
	ds_load_b32 v55, v53
	v_dual_add_nc_u32 v52, -1, v52 :: v_dual_add_nc_u32 v53, 4, v53
	v_cndmask_b32_e32 v54, v34, v35, vcc_lo
	v_cmp_eq_u32_e32 vcc_lo, 2, v102
	s_delay_alu instid0(VALU_DEP_2) | instskip(SKIP_1) | instid1(VALU_DEP_2)
	v_cndmask_b32_e32 v54, v54, v36, vcc_lo
	v_cmp_eq_u32_e32 vcc_lo, 3, v102
	v_cndmask_b32_e32 v54, v54, v37, vcc_lo
	v_cmp_eq_u32_e32 vcc_lo, 4, v102
	s_delay_alu instid0(VALU_DEP_2) | instskip(SKIP_1) | instid1(VALU_DEP_2)
	v_cndmask_b32_e32 v54, v54, v38, vcc_lo
	v_cmp_eq_u32_e32 vcc_lo, 5, v102
	v_cndmask_b32_e32 v54, v54, v39, vcc_lo
	v_cmp_eq_u32_e32 vcc_lo, 6, v102
	s_delay_alu instid0(VALU_DEP_2) | instskip(SKIP_1) | instid1(VALU_DEP_2)
	v_cndmask_b32_e32 v54, v54, v40, vcc_lo
	v_cmp_eq_u32_e32 vcc_lo, 7, v102
	v_cndmask_b32_e32 v54, v54, v41, vcc_lo
	v_cmp_eq_u32_e32 vcc_lo, 8, v102
	s_delay_alu instid0(VALU_DEP_2) | instskip(SKIP_1) | instid1(VALU_DEP_2)
	v_cndmask_b32_e32 v54, v54, v42, vcc_lo
	v_cmp_eq_u32_e32 vcc_lo, 9, v102
	v_cndmask_b32_e32 v54, v54, v43, vcc_lo
	v_cmp_eq_u32_e32 vcc_lo, 10, v102
	s_delay_alu instid0(VALU_DEP_2) | instskip(SKIP_1) | instid1(VALU_DEP_2)
	v_cndmask_b32_e32 v54, v54, v44, vcc_lo
	v_cmp_eq_u32_e32 vcc_lo, 11, v102
	v_cndmask_b32_e32 v54, v54, v45, vcc_lo
	v_cmp_eq_u32_e32 vcc_lo, 12, v102
	s_delay_alu instid0(VALU_DEP_2) | instskip(SKIP_1) | instid1(VALU_DEP_2)
	v_cndmask_b32_e32 v54, v54, v46, vcc_lo
	v_cmp_eq_u32_e32 vcc_lo, 13, v102
	v_cndmask_b32_e32 v54, v54, v47, vcc_lo
	v_cmp_eq_u32_e32 vcc_lo, 14, v102
	s_delay_alu instid0(VALU_DEP_2) | instskip(SKIP_1) | instid1(VALU_DEP_2)
	v_cndmask_b32_e32 v54, v54, v48, vcc_lo
	v_cmp_eq_u32_e32 vcc_lo, 15, v102
	v_cndmask_b32_e32 v54, v54, v49, vcc_lo
	v_cmp_eq_u32_e32 vcc_lo, 16, v102
	s_delay_alu instid0(VALU_DEP_2) | instskip(SKIP_2) | instid1(VALU_DEP_3)
	v_cndmask_b32_e32 v54, v54, v50, vcc_lo
	v_cmp_eq_u32_e32 vcc_lo, 17, v102
	v_add_nc_u64_e32 v[102:103], 1, v[102:103]
	v_cndmask_b32_e32 v54, v54, v51, vcc_lo
	v_cmp_eq_u32_e32 vcc_lo, 0, v52
	s_wait_dscnt 0x0
	s_delay_alu instid0(VALU_DEP_2) | instskip(SKIP_1) | instid1(SALU_CYCLE_1)
	v_fmac_f32_e32 v106, v54, v55
	s_or_b32 s2, vcc_lo, s2
	s_and_not1_b32 exec_lo, exec_lo, s2
	s_cbranch_execnz .LBB17_29
; %bb.30:
	s_or_b32 exec_lo, exec_lo, s2
.LBB17_31:
	s_delay_alu instid0(SALU_CYCLE_1)
	s_or_b32 exec_lo, exec_lo, s1
.LBB17_32:
	s_delay_alu instid0(SALU_CYCLE_1)
	s_or_b32 exec_lo, exec_lo, s5
	v_mov_b32_e32 v48, 0
	ds_load_b32 v48, v48 offset:56
	s_wait_dscnt 0x0
	v_mul_f32_e32 v48, v106, v48
.LBB17_33:
	s_or_b32 exec_lo, exec_lo, s4
	v_cmp_lt_u32_e64 s1, 13, v0
	ds_store_b32 v105, v47
	s_wait_dscnt 0x0
	s_barrier_signal -1
	s_barrier_wait -1
	s_and_saveexec_b32 s4, s1
	s_cbranch_execz .LBB17_49
; %bb.34:
	s_and_not1_b32 vcc_lo, exec_lo, s22
	s_cbranch_vccnz .LBB17_36
; %bb.35:
	v_cmp_eq_u32_e32 vcc_lo, 1, v0
	ds_load_b32 v103, v105
	v_cndmask_b32_e32 v102, v34, v35, vcc_lo
	v_cmp_eq_u32_e32 vcc_lo, 2, v0
	s_delay_alu instid0(VALU_DEP_2) | instskip(SKIP_1) | instid1(VALU_DEP_2)
	v_cndmask_b32_e32 v102, v102, v36, vcc_lo
	v_cmp_eq_u32_e32 vcc_lo, 3, v0
	v_cndmask_b32_e32 v102, v102, v37, vcc_lo
	v_cmp_eq_u32_e32 vcc_lo, 4, v0
	s_delay_alu instid0(VALU_DEP_2) | instskip(SKIP_1) | instid1(VALU_DEP_2)
	v_cndmask_b32_e32 v102, v102, v38, vcc_lo
	v_cmp_eq_u32_e32 vcc_lo, 5, v0
	;; [unrolled: 5-line block ×8, first 2 shown]
	v_cndmask_b32_e32 v102, v102, v51, vcc_lo
	s_wait_dscnt 0x0
	s_delay_alu instid0(VALU_DEP_1)
	v_mul_f32_e32 v106, v102, v103
	s_cbranch_execz .LBB17_37
	s_branch .LBB17_38
.LBB17_36:
                                        ; implicit-def: $vgpr106
.LBB17_37:
	ds_load_b32 v106, v105
.LBB17_38:
	s_and_saveexec_b32 s5, s0
	s_cbranch_execz .LBB17_48
; %bb.39:
	v_dual_add_nc_u32 v102, -15, v0 :: v_dual_add_nc_u32 v103, -14, v0
	s_delay_alu instid0(VALU_DEP_1)
	v_cmp_lt_u32_e32 vcc_lo, 6, v102
	v_mov_b32_e32 v102, 14
	s_and_saveexec_b32 s0, vcc_lo
	s_cbranch_execz .LBB17_43
; %bb.40:
	v_and_b32_e32 v102, -8, v103
	s_mov_b32 s6, 0
	s_mov_b64 s[2:3], 21
	s_movk_i32 s7, 0x88
	s_delay_alu instid0(VALU_DEP_1)
	v_sub_nc_u32_e32 v104, 0, v102
.LBB17_41:                              ; =>This Inner Loop Header: Depth=1
	s_add_co_i32 m0, s2, -7
	v_movrels_b32_e32 v102, v34
	v_mov_b32_e32 v107, s7
	s_add_co_i32 m0, s2, -6
	s_add_co_i32 s7, s7, 32
	ds_load_2addr_b64 v[108:111], v107 offset1:1
	s_wait_dscnt 0x0
	v_fmac_f32_e32 v106, v102, v108
	v_movrels_b32_e32 v102, v34
	s_add_co_i32 m0, s2, -5
	s_delay_alu instid0(VALU_DEP_1) | instskip(SKIP_2) | instid1(VALU_DEP_1)
	v_fmac_f32_e32 v106, v102, v109
	v_movrels_b32_e32 v102, v34
	s_add_co_i32 m0, s2, -4
	v_fmac_f32_e32 v106, v102, v110
	v_movrels_b32_e32 v102, v34
	s_add_co_i32 m0, s2, -3
	s_delay_alu instid0(VALU_DEP_1) | instskip(SKIP_4) | instid1(VALU_DEP_1)
	v_fmac_f32_e32 v106, v102, v111
	ds_load_2addr_b64 v[108:111], v107 offset0:2 offset1:3
	v_movrels_b32_e32 v102, v34
	s_add_co_i32 m0, s2, -2
	s_wait_dscnt 0x0
	v_fmac_f32_e32 v106, v102, v108
	v_movrels_b32_e32 v102, v34
	s_add_co_i32 m0, s2, -1
	s_delay_alu instid0(VALU_DEP_1) | instskip(SKIP_3) | instid1(SALU_CYCLE_1)
	v_fmac_f32_e32 v106, v102, v109
	v_movrels_b32_e32 v102, v34
	s_mov_b32 m0, s2
	s_add_nc_u64 s[2:3], s[2:3], 8
	s_add_co_i32 s8, s2, -7
	s_delay_alu instid0(VALU_DEP_1) | instskip(SKIP_1) | instid1(VALU_DEP_1)
	v_fmac_f32_e32 v106, v102, v110
	v_movrels_b32_e32 v102, v34
	v_dual_fmac_f32 v106, v102, v111 :: v_dual_add_nc_u32 v102, s2, v104
	s_delay_alu instid0(VALU_DEP_1) | instskip(SKIP_2) | instid1(SALU_CYCLE_1)
	v_cmp_eq_u32_e32 vcc_lo, 21, v102
	v_mov_b32_e32 v102, s8
	s_or_b32 s6, vcc_lo, s6
	s_and_not1_b32 exec_lo, exec_lo, s6
	s_cbranch_execnz .LBB17_41
; %bb.42:
	s_or_b32 exec_lo, exec_lo, s6
.LBB17_43:
	s_delay_alu instid0(SALU_CYCLE_1) | instskip(SKIP_3) | instid1(VALU_DEP_1)
	s_or_b32 exec_lo, exec_lo, s0
	v_and_b32_e32 v52, 7, v103
	s_mov_b32 s2, 0
	s_mov_b32 s0, exec_lo
	v_cmpx_ne_u32_e32 0, v52
	s_cbranch_execz .LBB17_47
; %bb.44:
	v_lshl_add_u32 v53, v102, 2, 0x50
	v_mov_b32_e32 v103, 0
.LBB17_45:                              ; =>This Inner Loop Header: Depth=1
	v_cmp_eq_u32_e32 vcc_lo, 1, v102
	ds_load_b32 v55, v53
	v_dual_add_nc_u32 v52, -1, v52 :: v_dual_add_nc_u32 v53, 4, v53
	v_cndmask_b32_e32 v54, v34, v35, vcc_lo
	v_cmp_eq_u32_e32 vcc_lo, 2, v102
	s_delay_alu instid0(VALU_DEP_2) | instskip(SKIP_1) | instid1(VALU_DEP_2)
	v_cndmask_b32_e32 v54, v54, v36, vcc_lo
	v_cmp_eq_u32_e32 vcc_lo, 3, v102
	v_cndmask_b32_e32 v54, v54, v37, vcc_lo
	v_cmp_eq_u32_e32 vcc_lo, 4, v102
	s_delay_alu instid0(VALU_DEP_2) | instskip(SKIP_1) | instid1(VALU_DEP_2)
	v_cndmask_b32_e32 v54, v54, v38, vcc_lo
	v_cmp_eq_u32_e32 vcc_lo, 5, v102
	;; [unrolled: 5-line block ×7, first 2 shown]
	v_cndmask_b32_e32 v54, v54, v49, vcc_lo
	v_cmp_eq_u32_e32 vcc_lo, 16, v102
	s_delay_alu instid0(VALU_DEP_2) | instskip(SKIP_2) | instid1(VALU_DEP_3)
	v_cndmask_b32_e32 v54, v54, v50, vcc_lo
	v_cmp_eq_u32_e32 vcc_lo, 17, v102
	v_add_nc_u64_e32 v[102:103], 1, v[102:103]
	v_cndmask_b32_e32 v54, v54, v51, vcc_lo
	v_cmp_eq_u32_e32 vcc_lo, 0, v52
	s_wait_dscnt 0x0
	s_delay_alu instid0(VALU_DEP_2) | instskip(SKIP_1) | instid1(SALU_CYCLE_1)
	v_fmac_f32_e32 v106, v54, v55
	s_or_b32 s2, vcc_lo, s2
	s_and_not1_b32 exec_lo, exec_lo, s2
	s_cbranch_execnz .LBB17_45
; %bb.46:
	s_or_b32 exec_lo, exec_lo, s2
.LBB17_47:
	s_delay_alu instid0(SALU_CYCLE_1)
	s_or_b32 exec_lo, exec_lo, s0
.LBB17_48:
	s_delay_alu instid0(SALU_CYCLE_1)
	s_or_b32 exec_lo, exec_lo, s5
	v_mov_b32_e32 v47, 0
	ds_load_b32 v47, v47 offset:52
	s_wait_dscnt 0x0
	v_mul_f32_e32 v47, v106, v47
.LBB17_49:
	s_or_b32 exec_lo, exec_lo, s4
	v_cmp_lt_u32_e64 s0, 12, v0
	ds_store_b32 v105, v46
	s_wait_dscnt 0x0
	s_barrier_signal -1
	s_barrier_wait -1
	s_and_saveexec_b32 s4, s0
	s_cbranch_execz .LBB17_65
; %bb.50:
	s_and_not1_b32 vcc_lo, exec_lo, s22
	s_cbranch_vccnz .LBB17_52
; %bb.51:
	v_cmp_eq_u32_e32 vcc_lo, 1, v0
	ds_load_b32 v103, v105
	v_cndmask_b32_e32 v102, v34, v35, vcc_lo
	v_cmp_eq_u32_e32 vcc_lo, 2, v0
	s_delay_alu instid0(VALU_DEP_2) | instskip(SKIP_1) | instid1(VALU_DEP_2)
	v_cndmask_b32_e32 v102, v102, v36, vcc_lo
	v_cmp_eq_u32_e32 vcc_lo, 3, v0
	v_cndmask_b32_e32 v102, v102, v37, vcc_lo
	v_cmp_eq_u32_e32 vcc_lo, 4, v0
	s_delay_alu instid0(VALU_DEP_2) | instskip(SKIP_1) | instid1(VALU_DEP_2)
	v_cndmask_b32_e32 v102, v102, v38, vcc_lo
	v_cmp_eq_u32_e32 vcc_lo, 5, v0
	;; [unrolled: 5-line block ×8, first 2 shown]
	v_cndmask_b32_e32 v102, v102, v51, vcc_lo
	s_wait_dscnt 0x0
	s_delay_alu instid0(VALU_DEP_1)
	v_mul_f32_e32 v106, v102, v103
	s_cbranch_execz .LBB17_53
	s_branch .LBB17_54
.LBB17_52:
                                        ; implicit-def: $vgpr106
.LBB17_53:
	ds_load_b32 v106, v105
.LBB17_54:
	s_and_saveexec_b32 s5, s1
	s_cbranch_execz .LBB17_64
; %bb.55:
	v_dual_add_nc_u32 v102, -14, v0 :: v_dual_add_nc_u32 v103, -13, v0
	s_delay_alu instid0(VALU_DEP_1)
	v_cmp_lt_u32_e32 vcc_lo, 6, v102
	v_mov_b32_e32 v102, 13
	s_and_saveexec_b32 s1, vcc_lo
	s_cbranch_execz .LBB17_59
; %bb.56:
	v_and_b32_e32 v102, -8, v103
	s_mov_b32 s6, 0
	s_mov_b64 s[2:3], 20
	s_movk_i32 s7, 0x84
	s_delay_alu instid0(VALU_DEP_1)
	v_sub_nc_u32_e32 v104, 0, v102
.LBB17_57:                              ; =>This Inner Loop Header: Depth=1
	s_add_co_i32 m0, s2, -7
	v_movrels_b32_e32 v102, v34
	v_mov_b32_e32 v107, s7
	s_add_co_i32 m0, s2, -6
	s_add_co_i32 s7, s7, 32
	ds_load_2addr_b32 v[108:109], v107 offset1:1
	s_wait_dscnt 0x0
	v_fmac_f32_e32 v106, v102, v108
	v_movrels_b32_e32 v102, v34
	s_add_co_i32 m0, s2, -5
	s_delay_alu instid0(VALU_DEP_1) | instskip(SKIP_4) | instid1(VALU_DEP_1)
	v_fmac_f32_e32 v106, v102, v109
	ds_load_2addr_b32 v[108:109], v107 offset0:2 offset1:3
	v_movrels_b32_e32 v102, v34
	s_add_co_i32 m0, s2, -4
	s_wait_dscnt 0x0
	v_fmac_f32_e32 v106, v102, v108
	v_movrels_b32_e32 v102, v34
	s_add_co_i32 m0, s2, -3
	s_delay_alu instid0(VALU_DEP_1) | instskip(SKIP_4) | instid1(VALU_DEP_1)
	v_fmac_f32_e32 v106, v102, v109
	ds_load_2addr_b32 v[108:109], v107 offset0:4 offset1:5
	v_movrels_b32_e32 v102, v34
	s_add_co_i32 m0, s2, -2
	s_wait_dscnt 0x0
	v_fmac_f32_e32 v106, v102, v108
	v_movrels_b32_e32 v102, v34
	s_add_co_i32 m0, s2, -1
	s_delay_alu instid0(VALU_DEP_1) | instskip(SKIP_4) | instid1(SALU_CYCLE_1)
	v_fmac_f32_e32 v106, v102, v109
	ds_load_2addr_b32 v[108:109], v107 offset0:6 offset1:7
	v_movrels_b32_e32 v102, v34
	s_mov_b32 m0, s2
	s_add_nc_u64 s[2:3], s[2:3], 8
	s_add_co_i32 s8, s2, -7
	s_wait_dscnt 0x0
	v_fmac_f32_e32 v106, v102, v108
	v_movrels_b32_e32 v102, v34
	s_delay_alu instid0(VALU_DEP_1) | instskip(NEXT) | instid1(VALU_DEP_1)
	v_dual_fmac_f32 v106, v102, v109 :: v_dual_add_nc_u32 v102, s2, v104
	v_cmp_eq_u32_e32 vcc_lo, 20, v102
	v_mov_b32_e32 v102, s8
	s_or_b32 s6, vcc_lo, s6
	s_delay_alu instid0(SALU_CYCLE_1)
	s_and_not1_b32 exec_lo, exec_lo, s6
	s_cbranch_execnz .LBB17_57
; %bb.58:
	s_or_b32 exec_lo, exec_lo, s6
.LBB17_59:
	s_delay_alu instid0(SALU_CYCLE_1) | instskip(SKIP_3) | instid1(VALU_DEP_1)
	s_or_b32 exec_lo, exec_lo, s1
	v_and_b32_e32 v52, 7, v103
	s_mov_b32 s2, 0
	s_mov_b32 s1, exec_lo
	v_cmpx_ne_u32_e32 0, v52
	s_cbranch_execz .LBB17_63
; %bb.60:
	v_lshl_add_u32 v53, v102, 2, 0x50
	v_mov_b32_e32 v103, 0
.LBB17_61:                              ; =>This Inner Loop Header: Depth=1
	v_cmp_eq_u32_e32 vcc_lo, 1, v102
	ds_load_b32 v55, v53
	v_dual_add_nc_u32 v52, -1, v52 :: v_dual_add_nc_u32 v53, 4, v53
	v_cndmask_b32_e32 v54, v34, v35, vcc_lo
	v_cmp_eq_u32_e32 vcc_lo, 2, v102
	s_delay_alu instid0(VALU_DEP_2) | instskip(SKIP_1) | instid1(VALU_DEP_2)
	v_cndmask_b32_e32 v54, v54, v36, vcc_lo
	v_cmp_eq_u32_e32 vcc_lo, 3, v102
	v_cndmask_b32_e32 v54, v54, v37, vcc_lo
	v_cmp_eq_u32_e32 vcc_lo, 4, v102
	s_delay_alu instid0(VALU_DEP_2) | instskip(SKIP_1) | instid1(VALU_DEP_2)
	v_cndmask_b32_e32 v54, v54, v38, vcc_lo
	v_cmp_eq_u32_e32 vcc_lo, 5, v102
	;; [unrolled: 5-line block ×7, first 2 shown]
	v_cndmask_b32_e32 v54, v54, v49, vcc_lo
	v_cmp_eq_u32_e32 vcc_lo, 16, v102
	s_delay_alu instid0(VALU_DEP_2) | instskip(SKIP_2) | instid1(VALU_DEP_3)
	v_cndmask_b32_e32 v54, v54, v50, vcc_lo
	v_cmp_eq_u32_e32 vcc_lo, 17, v102
	v_add_nc_u64_e32 v[102:103], 1, v[102:103]
	v_cndmask_b32_e32 v54, v54, v51, vcc_lo
	v_cmp_eq_u32_e32 vcc_lo, 0, v52
	s_wait_dscnt 0x0
	s_delay_alu instid0(VALU_DEP_2) | instskip(SKIP_1) | instid1(SALU_CYCLE_1)
	v_fmac_f32_e32 v106, v54, v55
	s_or_b32 s2, vcc_lo, s2
	s_and_not1_b32 exec_lo, exec_lo, s2
	s_cbranch_execnz .LBB17_61
; %bb.62:
	s_or_b32 exec_lo, exec_lo, s2
.LBB17_63:
	s_delay_alu instid0(SALU_CYCLE_1)
	s_or_b32 exec_lo, exec_lo, s1
.LBB17_64:
	s_delay_alu instid0(SALU_CYCLE_1)
	s_or_b32 exec_lo, exec_lo, s5
	v_mov_b32_e32 v46, 0
	ds_load_b32 v46, v46 offset:48
	s_wait_dscnt 0x0
	v_mul_f32_e32 v46, v106, v46
.LBB17_65:
	s_or_b32 exec_lo, exec_lo, s4
	v_cmp_lt_u32_e64 s1, 11, v0
	ds_store_b32 v105, v45
	s_wait_dscnt 0x0
	s_barrier_signal -1
	s_barrier_wait -1
	s_and_saveexec_b32 s4, s1
	s_cbranch_execz .LBB17_81
; %bb.66:
	s_and_not1_b32 vcc_lo, exec_lo, s22
	s_cbranch_vccnz .LBB17_68
; %bb.67:
	v_cmp_eq_u32_e32 vcc_lo, 1, v0
	ds_load_b32 v103, v105
	v_cndmask_b32_e32 v102, v34, v35, vcc_lo
	v_cmp_eq_u32_e32 vcc_lo, 2, v0
	s_delay_alu instid0(VALU_DEP_2) | instskip(SKIP_1) | instid1(VALU_DEP_2)
	v_cndmask_b32_e32 v102, v102, v36, vcc_lo
	v_cmp_eq_u32_e32 vcc_lo, 3, v0
	v_cndmask_b32_e32 v102, v102, v37, vcc_lo
	v_cmp_eq_u32_e32 vcc_lo, 4, v0
	s_delay_alu instid0(VALU_DEP_2) | instskip(SKIP_1) | instid1(VALU_DEP_2)
	v_cndmask_b32_e32 v102, v102, v38, vcc_lo
	v_cmp_eq_u32_e32 vcc_lo, 5, v0
	;; [unrolled: 5-line block ×8, first 2 shown]
	v_cndmask_b32_e32 v102, v102, v51, vcc_lo
	s_wait_dscnt 0x0
	s_delay_alu instid0(VALU_DEP_1)
	v_mul_f32_e32 v106, v102, v103
	s_cbranch_execz .LBB17_69
	s_branch .LBB17_70
.LBB17_68:
                                        ; implicit-def: $vgpr106
.LBB17_69:
	ds_load_b32 v106, v105
.LBB17_70:
	s_and_saveexec_b32 s5, s0
	s_cbranch_execz .LBB17_80
; %bb.71:
	v_dual_add_nc_u32 v102, -13, v0 :: v_dual_add_nc_u32 v103, -12, v0
	s_delay_alu instid0(VALU_DEP_1)
	v_cmp_lt_u32_e32 vcc_lo, 6, v102
	v_mov_b32_e32 v102, 12
	s_and_saveexec_b32 s0, vcc_lo
	s_cbranch_execz .LBB17_75
; %bb.72:
	v_and_b32_e32 v102, -8, v103
	s_mov_b32 s6, 0
	s_mov_b64 s[2:3], 19
	s_movk_i32 s7, 0x80
	s_delay_alu instid0(VALU_DEP_1)
	v_sub_nc_u32_e32 v104, 0, v102
.LBB17_73:                              ; =>This Inner Loop Header: Depth=1
	s_add_co_i32 m0, s2, -7
	v_movrels_b32_e32 v107, v34
	v_mov_b32_e32 v102, s7
	s_add_co_i32 m0, s2, -6
	s_add_co_i32 s7, s7, 32
	v_movrels_b32_e32 v116, v34
	s_add_co_i32 m0, s2, -5
	ds_load_b128 v[108:111], v102
	ds_load_b128 v[112:115], v102 offset:16
	v_movrels_b32_e32 v102, v34
	s_add_co_i32 m0, s2, -4
	s_wait_dscnt 0x1
	v_fmac_f32_e32 v106, v107, v108
	v_movrels_b32_e32 v107, v34
	s_add_co_i32 m0, s2, -3
	s_delay_alu instid0(VALU_DEP_2) | instskip(NEXT) | instid1(VALU_DEP_1)
	v_fmac_f32_e32 v106, v116, v109
	v_fmac_f32_e32 v106, v102, v110
	v_movrels_b32_e32 v102, v34
	s_add_co_i32 m0, s2, -2
	s_delay_alu instid0(VALU_DEP_2) | instskip(SKIP_3) | instid1(VALU_DEP_2)
	v_fmac_f32_e32 v106, v107, v111
	v_movrels_b32_e32 v107, v34
	s_add_co_i32 m0, s2, -1
	s_wait_dscnt 0x0
	v_fmac_f32_e32 v106, v102, v112
	v_movrels_b32_e32 v102, v34
	s_mov_b32 m0, s2
	s_add_nc_u64 s[2:3], s[2:3], 8
	v_movrels_b32_e32 v108, v34
	v_dual_fmac_f32 v106, v107, v113 :: v_dual_add_nc_u32 v107, s2, v104
	s_add_co_i32 s8, s2, -7
	s_delay_alu instid0(VALU_DEP_1) | instskip(NEXT) | instid1(VALU_DEP_2)
	v_fmac_f32_e32 v106, v102, v114
	v_cmp_eq_u32_e32 vcc_lo, 19, v107
	s_delay_alu instid0(VALU_DEP_2) | instskip(SKIP_1) | instid1(SALU_CYCLE_1)
	v_dual_mov_b32 v102, s8 :: v_dual_fmac_f32 v106, v108, v115
	s_or_b32 s6, vcc_lo, s6
	s_and_not1_b32 exec_lo, exec_lo, s6
	s_cbranch_execnz .LBB17_73
; %bb.74:
	s_or_b32 exec_lo, exec_lo, s6
.LBB17_75:
	s_delay_alu instid0(SALU_CYCLE_1) | instskip(SKIP_3) | instid1(VALU_DEP_1)
	s_or_b32 exec_lo, exec_lo, s0
	v_and_b32_e32 v52, 7, v103
	s_mov_b32 s2, 0
	s_mov_b32 s0, exec_lo
	v_cmpx_ne_u32_e32 0, v52
	s_cbranch_execz .LBB17_79
; %bb.76:
	v_lshl_add_u32 v53, v102, 2, 0x50
	v_mov_b32_e32 v103, 0
.LBB17_77:                              ; =>This Inner Loop Header: Depth=1
	v_cmp_eq_u32_e32 vcc_lo, 1, v102
	ds_load_b32 v55, v53
	v_dual_add_nc_u32 v52, -1, v52 :: v_dual_add_nc_u32 v53, 4, v53
	v_cndmask_b32_e32 v54, v34, v35, vcc_lo
	v_cmp_eq_u32_e32 vcc_lo, 2, v102
	s_delay_alu instid0(VALU_DEP_2) | instskip(SKIP_1) | instid1(VALU_DEP_2)
	v_cndmask_b32_e32 v54, v54, v36, vcc_lo
	v_cmp_eq_u32_e32 vcc_lo, 3, v102
	v_cndmask_b32_e32 v54, v54, v37, vcc_lo
	v_cmp_eq_u32_e32 vcc_lo, 4, v102
	s_delay_alu instid0(VALU_DEP_2) | instskip(SKIP_1) | instid1(VALU_DEP_2)
	v_cndmask_b32_e32 v54, v54, v38, vcc_lo
	v_cmp_eq_u32_e32 vcc_lo, 5, v102
	;; [unrolled: 5-line block ×7, first 2 shown]
	v_cndmask_b32_e32 v54, v54, v49, vcc_lo
	v_cmp_eq_u32_e32 vcc_lo, 16, v102
	s_delay_alu instid0(VALU_DEP_2) | instskip(SKIP_2) | instid1(VALU_DEP_3)
	v_cndmask_b32_e32 v54, v54, v50, vcc_lo
	v_cmp_eq_u32_e32 vcc_lo, 17, v102
	v_add_nc_u64_e32 v[102:103], 1, v[102:103]
	v_cndmask_b32_e32 v54, v54, v51, vcc_lo
	v_cmp_eq_u32_e32 vcc_lo, 0, v52
	s_wait_dscnt 0x0
	s_delay_alu instid0(VALU_DEP_2) | instskip(SKIP_1) | instid1(SALU_CYCLE_1)
	v_fmac_f32_e32 v106, v54, v55
	s_or_b32 s2, vcc_lo, s2
	s_and_not1_b32 exec_lo, exec_lo, s2
	s_cbranch_execnz .LBB17_77
; %bb.78:
	s_or_b32 exec_lo, exec_lo, s2
.LBB17_79:
	s_delay_alu instid0(SALU_CYCLE_1)
	s_or_b32 exec_lo, exec_lo, s0
.LBB17_80:
	s_delay_alu instid0(SALU_CYCLE_1)
	s_or_b32 exec_lo, exec_lo, s5
	v_mov_b32_e32 v45, 0
	ds_load_b32 v45, v45 offset:44
	s_wait_dscnt 0x0
	v_mul_f32_e32 v45, v106, v45
.LBB17_81:
	s_or_b32 exec_lo, exec_lo, s4
	v_cmp_lt_u32_e64 s0, 10, v0
	ds_store_b32 v105, v44
	s_wait_dscnt 0x0
	s_barrier_signal -1
	s_barrier_wait -1
	s_and_saveexec_b32 s4, s0
	s_cbranch_execz .LBB17_97
; %bb.82:
	s_and_not1_b32 vcc_lo, exec_lo, s22
	s_cbranch_vccnz .LBB17_84
; %bb.83:
	v_cmp_eq_u32_e32 vcc_lo, 1, v0
	ds_load_b32 v103, v105
	v_cndmask_b32_e32 v102, v34, v35, vcc_lo
	v_cmp_eq_u32_e32 vcc_lo, 2, v0
	s_delay_alu instid0(VALU_DEP_2) | instskip(SKIP_1) | instid1(VALU_DEP_2)
	v_cndmask_b32_e32 v102, v102, v36, vcc_lo
	v_cmp_eq_u32_e32 vcc_lo, 3, v0
	v_cndmask_b32_e32 v102, v102, v37, vcc_lo
	v_cmp_eq_u32_e32 vcc_lo, 4, v0
	s_delay_alu instid0(VALU_DEP_2) | instskip(SKIP_1) | instid1(VALU_DEP_2)
	v_cndmask_b32_e32 v102, v102, v38, vcc_lo
	v_cmp_eq_u32_e32 vcc_lo, 5, v0
	;; [unrolled: 5-line block ×8, first 2 shown]
	v_cndmask_b32_e32 v102, v102, v51, vcc_lo
	s_wait_dscnt 0x0
	s_delay_alu instid0(VALU_DEP_1)
	v_mul_f32_e32 v106, v102, v103
	s_cbranch_execz .LBB17_85
	s_branch .LBB17_86
.LBB17_84:
                                        ; implicit-def: $vgpr106
.LBB17_85:
	ds_load_b32 v106, v105
.LBB17_86:
	s_and_saveexec_b32 s5, s1
	s_cbranch_execz .LBB17_96
; %bb.87:
	v_dual_add_nc_u32 v102, -12, v0 :: v_dual_add_nc_u32 v103, -11, v0
	s_delay_alu instid0(VALU_DEP_1)
	v_cmp_lt_u32_e32 vcc_lo, 6, v102
	v_mov_b32_e32 v102, 11
	s_and_saveexec_b32 s1, vcc_lo
	s_cbranch_execz .LBB17_91
; %bb.88:
	v_and_b32_e32 v102, -8, v103
	s_mov_b32 s6, 0
	s_mov_b64 s[2:3], 18
	s_movk_i32 s7, 0x7c
	s_delay_alu instid0(VALU_DEP_1)
	v_sub_nc_u32_e32 v104, 0, v102
.LBB17_89:                              ; =>This Inner Loop Header: Depth=1
	s_add_co_i32 m0, s2, -7
	v_movrels_b32_e32 v107, v34
	v_mov_b32_e32 v102, s7
	s_add_co_i32 m0, s2, -6
	s_add_co_i32 s7, s7, 32
	v_movrels_b32_e32 v116, v34
	ds_load_2addr_b32 v[108:109], v102 offset1:1
	ds_load_2addr_b32 v[110:111], v102 offset0:2 offset1:3
	s_add_co_i32 m0, s2, -5
	s_wait_dscnt 0x1
	v_fmac_f32_e32 v106, v107, v108
	ds_load_2addr_b32 v[112:113], v102 offset0:4 offset1:5
	ds_load_2addr_b32 v[114:115], v102 offset0:6 offset1:7
	v_movrels_b32_e32 v102, v34
	s_add_co_i32 m0, s2, -4
	v_fmac_f32_e32 v106, v116, v109
	v_movrels_b32_e32 v107, v34
	s_add_co_i32 m0, s2, -3
	s_wait_dscnt 0x2
	s_delay_alu instid0(VALU_DEP_2) | instskip(SKIP_2) | instid1(VALU_DEP_2)
	v_fmac_f32_e32 v106, v102, v110
	v_movrels_b32_e32 v102, v34
	s_add_co_i32 m0, s2, -2
	v_fmac_f32_e32 v106, v107, v111
	v_movrels_b32_e32 v107, v34
	s_add_co_i32 m0, s2, -1
	s_wait_dscnt 0x1
	s_delay_alu instid0(VALU_DEP_2)
	v_fmac_f32_e32 v106, v102, v112
	v_movrels_b32_e32 v102, v34
	s_mov_b32 m0, s2
	s_add_nc_u64 s[2:3], s[2:3], 8
	v_movrels_b32_e32 v108, v34
	v_dual_fmac_f32 v106, v107, v113 :: v_dual_add_nc_u32 v107, s2, v104
	s_add_co_i32 s8, s2, -7
	s_wait_dscnt 0x0
	s_delay_alu instid0(VALU_DEP_1) | instskip(NEXT) | instid1(VALU_DEP_2)
	v_fmac_f32_e32 v106, v102, v114
	v_cmp_eq_u32_e32 vcc_lo, 18, v107
	s_delay_alu instid0(VALU_DEP_2) | instskip(SKIP_1) | instid1(SALU_CYCLE_1)
	v_dual_mov_b32 v102, s8 :: v_dual_fmac_f32 v106, v108, v115
	s_or_b32 s6, vcc_lo, s6
	s_and_not1_b32 exec_lo, exec_lo, s6
	s_cbranch_execnz .LBB17_89
; %bb.90:
	s_or_b32 exec_lo, exec_lo, s6
.LBB17_91:
	s_delay_alu instid0(SALU_CYCLE_1) | instskip(SKIP_3) | instid1(VALU_DEP_1)
	s_or_b32 exec_lo, exec_lo, s1
	v_and_b32_e32 v52, 7, v103
	s_mov_b32 s2, 0
	s_mov_b32 s1, exec_lo
	v_cmpx_ne_u32_e32 0, v52
	s_cbranch_execz .LBB17_95
; %bb.92:
	v_lshl_add_u32 v53, v102, 2, 0x50
	v_mov_b32_e32 v103, 0
.LBB17_93:                              ; =>This Inner Loop Header: Depth=1
	v_cmp_eq_u32_e32 vcc_lo, 1, v102
	ds_load_b32 v55, v53
	v_dual_add_nc_u32 v52, -1, v52 :: v_dual_add_nc_u32 v53, 4, v53
	v_cndmask_b32_e32 v54, v34, v35, vcc_lo
	v_cmp_eq_u32_e32 vcc_lo, 2, v102
	s_delay_alu instid0(VALU_DEP_2) | instskip(SKIP_1) | instid1(VALU_DEP_2)
	v_cndmask_b32_e32 v54, v54, v36, vcc_lo
	v_cmp_eq_u32_e32 vcc_lo, 3, v102
	v_cndmask_b32_e32 v54, v54, v37, vcc_lo
	v_cmp_eq_u32_e32 vcc_lo, 4, v102
	s_delay_alu instid0(VALU_DEP_2) | instskip(SKIP_1) | instid1(VALU_DEP_2)
	v_cndmask_b32_e32 v54, v54, v38, vcc_lo
	v_cmp_eq_u32_e32 vcc_lo, 5, v102
	;; [unrolled: 5-line block ×7, first 2 shown]
	v_cndmask_b32_e32 v54, v54, v49, vcc_lo
	v_cmp_eq_u32_e32 vcc_lo, 16, v102
	s_delay_alu instid0(VALU_DEP_2) | instskip(SKIP_2) | instid1(VALU_DEP_3)
	v_cndmask_b32_e32 v54, v54, v50, vcc_lo
	v_cmp_eq_u32_e32 vcc_lo, 17, v102
	v_add_nc_u64_e32 v[102:103], 1, v[102:103]
	v_cndmask_b32_e32 v54, v54, v51, vcc_lo
	v_cmp_eq_u32_e32 vcc_lo, 0, v52
	s_wait_dscnt 0x0
	s_delay_alu instid0(VALU_DEP_2) | instskip(SKIP_1) | instid1(SALU_CYCLE_1)
	v_fmac_f32_e32 v106, v54, v55
	s_or_b32 s2, vcc_lo, s2
	s_and_not1_b32 exec_lo, exec_lo, s2
	s_cbranch_execnz .LBB17_93
; %bb.94:
	s_or_b32 exec_lo, exec_lo, s2
.LBB17_95:
	s_delay_alu instid0(SALU_CYCLE_1)
	s_or_b32 exec_lo, exec_lo, s1
.LBB17_96:
	s_delay_alu instid0(SALU_CYCLE_1)
	s_or_b32 exec_lo, exec_lo, s5
	v_mov_b32_e32 v44, 0
	ds_load_b32 v44, v44 offset:40
	s_wait_dscnt 0x0
	v_mul_f32_e32 v44, v106, v44
.LBB17_97:
	s_or_b32 exec_lo, exec_lo, s4
	v_cmp_lt_u32_e64 s1, 9, v0
	ds_store_b32 v105, v43
	s_wait_dscnt 0x0
	s_barrier_signal -1
	s_barrier_wait -1
	s_and_saveexec_b32 s4, s1
	s_cbranch_execz .LBB17_113
; %bb.98:
	s_and_not1_b32 vcc_lo, exec_lo, s22
	s_cbranch_vccnz .LBB17_100
; %bb.99:
	v_cmp_eq_u32_e32 vcc_lo, 1, v0
	ds_load_b32 v103, v105
	v_cndmask_b32_e32 v102, v34, v35, vcc_lo
	v_cmp_eq_u32_e32 vcc_lo, 2, v0
	s_delay_alu instid0(VALU_DEP_2) | instskip(SKIP_1) | instid1(VALU_DEP_2)
	v_cndmask_b32_e32 v102, v102, v36, vcc_lo
	v_cmp_eq_u32_e32 vcc_lo, 3, v0
	v_cndmask_b32_e32 v102, v102, v37, vcc_lo
	v_cmp_eq_u32_e32 vcc_lo, 4, v0
	s_delay_alu instid0(VALU_DEP_2) | instskip(SKIP_1) | instid1(VALU_DEP_2)
	v_cndmask_b32_e32 v102, v102, v38, vcc_lo
	v_cmp_eq_u32_e32 vcc_lo, 5, v0
	v_cndmask_b32_e32 v102, v102, v39, vcc_lo
	v_cmp_eq_u32_e32 vcc_lo, 6, v0
	s_delay_alu instid0(VALU_DEP_2) | instskip(SKIP_1) | instid1(VALU_DEP_2)
	v_cndmask_b32_e32 v102, v102, v40, vcc_lo
	v_cmp_eq_u32_e32 vcc_lo, 7, v0
	v_cndmask_b32_e32 v102, v102, v41, vcc_lo
	v_cmp_eq_u32_e32 vcc_lo, 8, v0
	s_delay_alu instid0(VALU_DEP_2) | instskip(SKIP_1) | instid1(VALU_DEP_2)
	v_cndmask_b32_e32 v102, v102, v42, vcc_lo
	v_cmp_eq_u32_e32 vcc_lo, 9, v0
	v_cndmask_b32_e32 v102, v102, v43, vcc_lo
	v_cmp_eq_u32_e32 vcc_lo, 10, v0
	s_delay_alu instid0(VALU_DEP_2) | instskip(SKIP_1) | instid1(VALU_DEP_2)
	v_cndmask_b32_e32 v102, v102, v44, vcc_lo
	v_cmp_eq_u32_e32 vcc_lo, 11, v0
	v_cndmask_b32_e32 v102, v102, v45, vcc_lo
	v_cmp_eq_u32_e32 vcc_lo, 12, v0
	s_delay_alu instid0(VALU_DEP_2) | instskip(SKIP_1) | instid1(VALU_DEP_2)
	v_cndmask_b32_e32 v102, v102, v46, vcc_lo
	v_cmp_eq_u32_e32 vcc_lo, 13, v0
	v_cndmask_b32_e32 v102, v102, v47, vcc_lo
	v_cmp_eq_u32_e32 vcc_lo, 14, v0
	s_delay_alu instid0(VALU_DEP_2) | instskip(SKIP_1) | instid1(VALU_DEP_2)
	v_cndmask_b32_e32 v102, v102, v48, vcc_lo
	v_cmp_eq_u32_e32 vcc_lo, 15, v0
	v_cndmask_b32_e32 v102, v102, v49, vcc_lo
	v_cmp_eq_u32_e32 vcc_lo, 16, v0
	s_delay_alu instid0(VALU_DEP_2) | instskip(SKIP_1) | instid1(VALU_DEP_2)
	v_cndmask_b32_e32 v102, v102, v50, vcc_lo
	v_cmp_eq_u32_e32 vcc_lo, 17, v0
	v_cndmask_b32_e32 v102, v102, v51, vcc_lo
	s_wait_dscnt 0x0
	s_delay_alu instid0(VALU_DEP_1)
	v_mul_f32_e32 v106, v102, v103
	s_cbranch_execz .LBB17_101
	s_branch .LBB17_102
.LBB17_100:
                                        ; implicit-def: $vgpr106
.LBB17_101:
	ds_load_b32 v106, v105
.LBB17_102:
	s_and_saveexec_b32 s5, s0
	s_cbranch_execz .LBB17_112
; %bb.103:
	v_dual_add_nc_u32 v102, -11, v0 :: v_dual_add_nc_u32 v103, -10, v0
	s_delay_alu instid0(VALU_DEP_1)
	v_cmp_lt_u32_e32 vcc_lo, 6, v102
	v_mov_b32_e32 v102, 10
	s_and_saveexec_b32 s0, vcc_lo
	s_cbranch_execz .LBB17_107
; %bb.104:
	v_and_b32_e32 v102, -8, v103
	s_mov_b32 s6, 0
	s_mov_b64 s[2:3], 17
	s_movk_i32 s7, 0x78
	s_delay_alu instid0(VALU_DEP_1)
	v_sub_nc_u32_e32 v104, 0, v102
.LBB17_105:                             ; =>This Inner Loop Header: Depth=1
	s_add_co_i32 m0, s2, -7
	v_movrels_b32_e32 v107, v34
	v_mov_b32_e32 v102, s7
	s_add_co_i32 m0, s2, -6
	s_add_co_i32 s7, s7, 32
	v_movrels_b32_e32 v116, v34
	s_add_co_i32 m0, s2, -5
	ds_load_2addr_b64 v[108:111], v102 offset1:1
	ds_load_2addr_b64 v[112:115], v102 offset0:2 offset1:3
	v_movrels_b32_e32 v102, v34
	s_add_co_i32 m0, s2, -4
	s_wait_dscnt 0x1
	v_fmac_f32_e32 v106, v107, v108
	v_movrels_b32_e32 v107, v34
	s_add_co_i32 m0, s2, -3
	s_delay_alu instid0(VALU_DEP_2) | instskip(NEXT) | instid1(VALU_DEP_1)
	v_fmac_f32_e32 v106, v116, v109
	v_fmac_f32_e32 v106, v102, v110
	v_movrels_b32_e32 v102, v34
	s_add_co_i32 m0, s2, -2
	s_delay_alu instid0(VALU_DEP_2) | instskip(SKIP_3) | instid1(VALU_DEP_2)
	v_fmac_f32_e32 v106, v107, v111
	v_movrels_b32_e32 v107, v34
	s_add_co_i32 m0, s2, -1
	s_wait_dscnt 0x0
	v_fmac_f32_e32 v106, v102, v112
	v_movrels_b32_e32 v102, v34
	s_mov_b32 m0, s2
	s_add_nc_u64 s[2:3], s[2:3], 8
	v_movrels_b32_e32 v108, v34
	v_dual_fmac_f32 v106, v107, v113 :: v_dual_add_nc_u32 v107, s2, v104
	s_add_co_i32 s8, s2, -7
	s_delay_alu instid0(VALU_DEP_1) | instskip(NEXT) | instid1(VALU_DEP_2)
	v_fmac_f32_e32 v106, v102, v114
	v_cmp_eq_u32_e32 vcc_lo, 17, v107
	s_delay_alu instid0(VALU_DEP_2) | instskip(SKIP_1) | instid1(SALU_CYCLE_1)
	v_dual_mov_b32 v102, s8 :: v_dual_fmac_f32 v106, v108, v115
	s_or_b32 s6, vcc_lo, s6
	s_and_not1_b32 exec_lo, exec_lo, s6
	s_cbranch_execnz .LBB17_105
; %bb.106:
	s_or_b32 exec_lo, exec_lo, s6
.LBB17_107:
	s_delay_alu instid0(SALU_CYCLE_1) | instskip(SKIP_3) | instid1(VALU_DEP_1)
	s_or_b32 exec_lo, exec_lo, s0
	v_and_b32_e32 v52, 7, v103
	s_mov_b32 s2, 0
	s_mov_b32 s0, exec_lo
	v_cmpx_ne_u32_e32 0, v52
	s_cbranch_execz .LBB17_111
; %bb.108:
	v_lshl_add_u32 v53, v102, 2, 0x50
	v_mov_b32_e32 v103, 0
.LBB17_109:                             ; =>This Inner Loop Header: Depth=1
	v_cmp_eq_u32_e32 vcc_lo, 1, v102
	ds_load_b32 v55, v53
	v_dual_add_nc_u32 v52, -1, v52 :: v_dual_add_nc_u32 v53, 4, v53
	v_cndmask_b32_e32 v54, v34, v35, vcc_lo
	v_cmp_eq_u32_e32 vcc_lo, 2, v102
	s_delay_alu instid0(VALU_DEP_2) | instskip(SKIP_1) | instid1(VALU_DEP_2)
	v_cndmask_b32_e32 v54, v54, v36, vcc_lo
	v_cmp_eq_u32_e32 vcc_lo, 3, v102
	v_cndmask_b32_e32 v54, v54, v37, vcc_lo
	v_cmp_eq_u32_e32 vcc_lo, 4, v102
	s_delay_alu instid0(VALU_DEP_2) | instskip(SKIP_1) | instid1(VALU_DEP_2)
	v_cndmask_b32_e32 v54, v54, v38, vcc_lo
	v_cmp_eq_u32_e32 vcc_lo, 5, v102
	v_cndmask_b32_e32 v54, v54, v39, vcc_lo
	v_cmp_eq_u32_e32 vcc_lo, 6, v102
	s_delay_alu instid0(VALU_DEP_2) | instskip(SKIP_1) | instid1(VALU_DEP_2)
	v_cndmask_b32_e32 v54, v54, v40, vcc_lo
	v_cmp_eq_u32_e32 vcc_lo, 7, v102
	v_cndmask_b32_e32 v54, v54, v41, vcc_lo
	v_cmp_eq_u32_e32 vcc_lo, 8, v102
	s_delay_alu instid0(VALU_DEP_2) | instskip(SKIP_1) | instid1(VALU_DEP_2)
	v_cndmask_b32_e32 v54, v54, v42, vcc_lo
	v_cmp_eq_u32_e32 vcc_lo, 9, v102
	v_cndmask_b32_e32 v54, v54, v43, vcc_lo
	v_cmp_eq_u32_e32 vcc_lo, 10, v102
	s_delay_alu instid0(VALU_DEP_2) | instskip(SKIP_1) | instid1(VALU_DEP_2)
	v_cndmask_b32_e32 v54, v54, v44, vcc_lo
	v_cmp_eq_u32_e32 vcc_lo, 11, v102
	v_cndmask_b32_e32 v54, v54, v45, vcc_lo
	v_cmp_eq_u32_e32 vcc_lo, 12, v102
	s_delay_alu instid0(VALU_DEP_2) | instskip(SKIP_1) | instid1(VALU_DEP_2)
	v_cndmask_b32_e32 v54, v54, v46, vcc_lo
	v_cmp_eq_u32_e32 vcc_lo, 13, v102
	v_cndmask_b32_e32 v54, v54, v47, vcc_lo
	v_cmp_eq_u32_e32 vcc_lo, 14, v102
	s_delay_alu instid0(VALU_DEP_2) | instskip(SKIP_1) | instid1(VALU_DEP_2)
	v_cndmask_b32_e32 v54, v54, v48, vcc_lo
	v_cmp_eq_u32_e32 vcc_lo, 15, v102
	v_cndmask_b32_e32 v54, v54, v49, vcc_lo
	v_cmp_eq_u32_e32 vcc_lo, 16, v102
	s_delay_alu instid0(VALU_DEP_2) | instskip(SKIP_2) | instid1(VALU_DEP_3)
	v_cndmask_b32_e32 v54, v54, v50, vcc_lo
	v_cmp_eq_u32_e32 vcc_lo, 17, v102
	v_add_nc_u64_e32 v[102:103], 1, v[102:103]
	v_cndmask_b32_e32 v54, v54, v51, vcc_lo
	v_cmp_eq_u32_e32 vcc_lo, 0, v52
	s_wait_dscnt 0x0
	s_delay_alu instid0(VALU_DEP_2) | instskip(SKIP_1) | instid1(SALU_CYCLE_1)
	v_fmac_f32_e32 v106, v54, v55
	s_or_b32 s2, vcc_lo, s2
	s_and_not1_b32 exec_lo, exec_lo, s2
	s_cbranch_execnz .LBB17_109
; %bb.110:
	s_or_b32 exec_lo, exec_lo, s2
.LBB17_111:
	s_delay_alu instid0(SALU_CYCLE_1)
	s_or_b32 exec_lo, exec_lo, s0
.LBB17_112:
	s_delay_alu instid0(SALU_CYCLE_1)
	s_or_b32 exec_lo, exec_lo, s5
	v_mov_b32_e32 v43, 0
	ds_load_b32 v43, v43 offset:36
	s_wait_dscnt 0x0
	v_mul_f32_e32 v43, v106, v43
.LBB17_113:
	s_or_b32 exec_lo, exec_lo, s4
	v_cmp_lt_u32_e64 s0, 8, v0
	ds_store_b32 v105, v42
	s_wait_dscnt 0x0
	s_barrier_signal -1
	s_barrier_wait -1
	s_and_saveexec_b32 s4, s0
	s_cbranch_execz .LBB17_129
; %bb.114:
	s_and_not1_b32 vcc_lo, exec_lo, s22
	s_cbranch_vccnz .LBB17_116
; %bb.115:
	v_cmp_eq_u32_e32 vcc_lo, 1, v0
	ds_load_b32 v103, v105
	v_cndmask_b32_e32 v102, v34, v35, vcc_lo
	v_cmp_eq_u32_e32 vcc_lo, 2, v0
	s_delay_alu instid0(VALU_DEP_2) | instskip(SKIP_1) | instid1(VALU_DEP_2)
	v_cndmask_b32_e32 v102, v102, v36, vcc_lo
	v_cmp_eq_u32_e32 vcc_lo, 3, v0
	v_cndmask_b32_e32 v102, v102, v37, vcc_lo
	v_cmp_eq_u32_e32 vcc_lo, 4, v0
	s_delay_alu instid0(VALU_DEP_2) | instskip(SKIP_1) | instid1(VALU_DEP_2)
	v_cndmask_b32_e32 v102, v102, v38, vcc_lo
	v_cmp_eq_u32_e32 vcc_lo, 5, v0
	;; [unrolled: 5-line block ×8, first 2 shown]
	v_cndmask_b32_e32 v102, v102, v51, vcc_lo
	s_wait_dscnt 0x0
	s_delay_alu instid0(VALU_DEP_1)
	v_mul_f32_e32 v106, v102, v103
	s_cbranch_execz .LBB17_117
	s_branch .LBB17_118
.LBB17_116:
                                        ; implicit-def: $vgpr106
.LBB17_117:
	ds_load_b32 v106, v105
.LBB17_118:
	s_and_saveexec_b32 s5, s1
	s_cbranch_execz .LBB17_128
; %bb.119:
	v_dual_add_nc_u32 v102, -10, v0 :: v_dual_add_nc_u32 v103, -9, v0
	s_delay_alu instid0(VALU_DEP_1)
	v_cmp_lt_u32_e32 vcc_lo, 6, v102
	v_mov_b32_e32 v102, 9
	s_and_saveexec_b32 s1, vcc_lo
	s_cbranch_execz .LBB17_123
; %bb.120:
	v_and_b32_e32 v102, -8, v103
	s_mov_b32 s6, 0
	s_mov_b64 s[2:3], 16
	s_movk_i32 s7, 0x74
	s_delay_alu instid0(VALU_DEP_1)
	v_sub_nc_u32_e32 v104, 0, v102
.LBB17_121:                             ; =>This Inner Loop Header: Depth=1
	s_add_co_i32 m0, s2, -7
	v_movrels_b32_e32 v107, v34
	v_mov_b32_e32 v102, s7
	s_add_co_i32 m0, s2, -6
	s_add_co_i32 s7, s7, 32
	v_movrels_b32_e32 v116, v34
	ds_load_2addr_b32 v[108:109], v102 offset1:1
	ds_load_2addr_b32 v[110:111], v102 offset0:2 offset1:3
	s_add_co_i32 m0, s2, -5
	s_wait_dscnt 0x1
	v_fmac_f32_e32 v106, v107, v108
	ds_load_2addr_b32 v[112:113], v102 offset0:4 offset1:5
	ds_load_2addr_b32 v[114:115], v102 offset0:6 offset1:7
	v_movrels_b32_e32 v102, v34
	s_add_co_i32 m0, s2, -4
	v_fmac_f32_e32 v106, v116, v109
	v_movrels_b32_e32 v107, v34
	s_add_co_i32 m0, s2, -3
	s_wait_dscnt 0x2
	s_delay_alu instid0(VALU_DEP_2) | instskip(SKIP_2) | instid1(VALU_DEP_2)
	v_fmac_f32_e32 v106, v102, v110
	v_movrels_b32_e32 v102, v34
	s_add_co_i32 m0, s2, -2
	v_fmac_f32_e32 v106, v107, v111
	v_movrels_b32_e32 v107, v34
	s_add_co_i32 m0, s2, -1
	s_wait_dscnt 0x1
	s_delay_alu instid0(VALU_DEP_2)
	v_fmac_f32_e32 v106, v102, v112
	v_movrels_b32_e32 v102, v34
	s_mov_b32 m0, s2
	s_add_nc_u64 s[2:3], s[2:3], 8
	v_movrels_b32_e32 v108, v34
	v_dual_fmac_f32 v106, v107, v113 :: v_dual_add_nc_u32 v107, s2, v104
	s_add_co_i32 s8, s2, -7
	s_wait_dscnt 0x0
	s_delay_alu instid0(VALU_DEP_1) | instskip(NEXT) | instid1(VALU_DEP_2)
	v_fmac_f32_e32 v106, v102, v114
	v_cmp_eq_u32_e32 vcc_lo, 16, v107
	s_delay_alu instid0(VALU_DEP_2) | instskip(SKIP_1) | instid1(SALU_CYCLE_1)
	v_dual_mov_b32 v102, s8 :: v_dual_fmac_f32 v106, v108, v115
	s_or_b32 s6, vcc_lo, s6
	s_and_not1_b32 exec_lo, exec_lo, s6
	s_cbranch_execnz .LBB17_121
; %bb.122:
	s_or_b32 exec_lo, exec_lo, s6
.LBB17_123:
	s_delay_alu instid0(SALU_CYCLE_1) | instskip(SKIP_3) | instid1(VALU_DEP_1)
	s_or_b32 exec_lo, exec_lo, s1
	v_and_b32_e32 v52, 7, v103
	s_mov_b32 s2, 0
	s_mov_b32 s1, exec_lo
	v_cmpx_ne_u32_e32 0, v52
	s_cbranch_execz .LBB17_127
; %bb.124:
	v_lshl_add_u32 v53, v102, 2, 0x50
	v_mov_b32_e32 v103, 0
.LBB17_125:                             ; =>This Inner Loop Header: Depth=1
	v_cmp_eq_u32_e32 vcc_lo, 1, v102
	ds_load_b32 v55, v53
	v_dual_add_nc_u32 v52, -1, v52 :: v_dual_add_nc_u32 v53, 4, v53
	v_cndmask_b32_e32 v54, v34, v35, vcc_lo
	v_cmp_eq_u32_e32 vcc_lo, 2, v102
	s_delay_alu instid0(VALU_DEP_2) | instskip(SKIP_1) | instid1(VALU_DEP_2)
	v_cndmask_b32_e32 v54, v54, v36, vcc_lo
	v_cmp_eq_u32_e32 vcc_lo, 3, v102
	v_cndmask_b32_e32 v54, v54, v37, vcc_lo
	v_cmp_eq_u32_e32 vcc_lo, 4, v102
	s_delay_alu instid0(VALU_DEP_2) | instskip(SKIP_1) | instid1(VALU_DEP_2)
	v_cndmask_b32_e32 v54, v54, v38, vcc_lo
	v_cmp_eq_u32_e32 vcc_lo, 5, v102
	v_cndmask_b32_e32 v54, v54, v39, vcc_lo
	v_cmp_eq_u32_e32 vcc_lo, 6, v102
	s_delay_alu instid0(VALU_DEP_2) | instskip(SKIP_1) | instid1(VALU_DEP_2)
	v_cndmask_b32_e32 v54, v54, v40, vcc_lo
	v_cmp_eq_u32_e32 vcc_lo, 7, v102
	v_cndmask_b32_e32 v54, v54, v41, vcc_lo
	v_cmp_eq_u32_e32 vcc_lo, 8, v102
	s_delay_alu instid0(VALU_DEP_2) | instskip(SKIP_1) | instid1(VALU_DEP_2)
	v_cndmask_b32_e32 v54, v54, v42, vcc_lo
	v_cmp_eq_u32_e32 vcc_lo, 9, v102
	v_cndmask_b32_e32 v54, v54, v43, vcc_lo
	v_cmp_eq_u32_e32 vcc_lo, 10, v102
	s_delay_alu instid0(VALU_DEP_2) | instskip(SKIP_1) | instid1(VALU_DEP_2)
	v_cndmask_b32_e32 v54, v54, v44, vcc_lo
	v_cmp_eq_u32_e32 vcc_lo, 11, v102
	v_cndmask_b32_e32 v54, v54, v45, vcc_lo
	v_cmp_eq_u32_e32 vcc_lo, 12, v102
	s_delay_alu instid0(VALU_DEP_2) | instskip(SKIP_1) | instid1(VALU_DEP_2)
	v_cndmask_b32_e32 v54, v54, v46, vcc_lo
	v_cmp_eq_u32_e32 vcc_lo, 13, v102
	v_cndmask_b32_e32 v54, v54, v47, vcc_lo
	v_cmp_eq_u32_e32 vcc_lo, 14, v102
	s_delay_alu instid0(VALU_DEP_2) | instskip(SKIP_1) | instid1(VALU_DEP_2)
	v_cndmask_b32_e32 v54, v54, v48, vcc_lo
	v_cmp_eq_u32_e32 vcc_lo, 15, v102
	v_cndmask_b32_e32 v54, v54, v49, vcc_lo
	v_cmp_eq_u32_e32 vcc_lo, 16, v102
	s_delay_alu instid0(VALU_DEP_2) | instskip(SKIP_2) | instid1(VALU_DEP_3)
	v_cndmask_b32_e32 v54, v54, v50, vcc_lo
	v_cmp_eq_u32_e32 vcc_lo, 17, v102
	v_add_nc_u64_e32 v[102:103], 1, v[102:103]
	v_cndmask_b32_e32 v54, v54, v51, vcc_lo
	v_cmp_eq_u32_e32 vcc_lo, 0, v52
	s_wait_dscnt 0x0
	s_delay_alu instid0(VALU_DEP_2) | instskip(SKIP_1) | instid1(SALU_CYCLE_1)
	v_fmac_f32_e32 v106, v54, v55
	s_or_b32 s2, vcc_lo, s2
	s_and_not1_b32 exec_lo, exec_lo, s2
	s_cbranch_execnz .LBB17_125
; %bb.126:
	s_or_b32 exec_lo, exec_lo, s2
.LBB17_127:
	s_delay_alu instid0(SALU_CYCLE_1)
	s_or_b32 exec_lo, exec_lo, s1
.LBB17_128:
	s_delay_alu instid0(SALU_CYCLE_1)
	s_or_b32 exec_lo, exec_lo, s5
	v_mov_b32_e32 v42, 0
	ds_load_b32 v42, v42 offset:32
	s_wait_dscnt 0x0
	v_mul_f32_e32 v42, v106, v42
.LBB17_129:
	s_or_b32 exec_lo, exec_lo, s4
	v_cmp_lt_u32_e64 s1, 7, v0
	ds_store_b32 v105, v41
	s_wait_dscnt 0x0
	s_barrier_signal -1
	s_barrier_wait -1
	s_and_saveexec_b32 s4, s1
	s_cbranch_execz .LBB17_145
; %bb.130:
	s_and_not1_b32 vcc_lo, exec_lo, s22
	s_cbranch_vccnz .LBB17_132
; %bb.131:
	v_cmp_eq_u32_e32 vcc_lo, 1, v0
	ds_load_b32 v103, v105
	v_cndmask_b32_e32 v102, v34, v35, vcc_lo
	v_cmp_eq_u32_e32 vcc_lo, 2, v0
	s_delay_alu instid0(VALU_DEP_2) | instskip(SKIP_1) | instid1(VALU_DEP_2)
	v_cndmask_b32_e32 v102, v102, v36, vcc_lo
	v_cmp_eq_u32_e32 vcc_lo, 3, v0
	v_cndmask_b32_e32 v102, v102, v37, vcc_lo
	v_cmp_eq_u32_e32 vcc_lo, 4, v0
	s_delay_alu instid0(VALU_DEP_2) | instskip(SKIP_1) | instid1(VALU_DEP_2)
	v_cndmask_b32_e32 v102, v102, v38, vcc_lo
	v_cmp_eq_u32_e32 vcc_lo, 5, v0
	;; [unrolled: 5-line block ×8, first 2 shown]
	v_cndmask_b32_e32 v102, v102, v51, vcc_lo
	s_wait_dscnt 0x0
	s_delay_alu instid0(VALU_DEP_1)
	v_mul_f32_e32 v106, v102, v103
	s_cbranch_execz .LBB17_133
	s_branch .LBB17_134
.LBB17_132:
                                        ; implicit-def: $vgpr106
.LBB17_133:
	ds_load_b32 v106, v105
.LBB17_134:
	s_and_saveexec_b32 s5, s0
	s_cbranch_execz .LBB17_144
; %bb.135:
	v_add_nc_u32_e32 v102, -9, v0
	s_delay_alu instid0(VALU_DEP_1)
	v_cmp_lt_u32_e32 vcc_lo, 6, v102
	v_mov_b32_e32 v102, 8
	s_and_saveexec_b32 s0, vcc_lo
	s_cbranch_execz .LBB17_139
; %bb.136:
	v_and_b32_e32 v102, 24, v0
	s_mov_b32 s6, 0
	s_mov_b64 s[2:3], 15
	s_movk_i32 s7, 0x70
	s_delay_alu instid0(VALU_DEP_1)
	v_sub_nc_u32_e32 v104, 0, v102
.LBB17_137:                             ; =>This Inner Loop Header: Depth=1
	s_add_co_i32 m0, s2, -7
	v_movrels_b32_e32 v103, v34
	v_mov_b32_e32 v102, s7
	s_add_co_i32 m0, s2, -6
	s_add_co_i32 s7, s7, 32
	v_movrels_b32_e32 v107, v34
	s_add_co_i32 m0, s2, -5
	ds_load_b128 v[108:111], v102
	ds_load_b128 v[112:115], v102 offset:16
	v_movrels_b32_e32 v102, v34
	s_add_co_i32 m0, s2, -4
	s_wait_dscnt 0x1
	v_fmac_f32_e32 v106, v103, v108
	v_movrels_b32_e32 v103, v34
	s_add_co_i32 m0, s2, -3
	s_delay_alu instid0(VALU_DEP_2) | instskip(NEXT) | instid1(VALU_DEP_1)
	v_fmac_f32_e32 v106, v107, v109
	v_fmac_f32_e32 v106, v102, v110
	v_movrels_b32_e32 v102, v34
	s_add_co_i32 m0, s2, -2
	s_delay_alu instid0(VALU_DEP_2) | instskip(SKIP_3) | instid1(VALU_DEP_2)
	v_fmac_f32_e32 v106, v103, v111
	v_movrels_b32_e32 v103, v34
	s_add_co_i32 m0, s2, -1
	s_wait_dscnt 0x0
	v_fmac_f32_e32 v106, v102, v112
	v_movrels_b32_e32 v102, v34
	s_mov_b32 m0, s2
	s_add_nc_u64 s[2:3], s[2:3], 8
	v_movrels_b32_e32 v107, v34
	v_dual_fmac_f32 v106, v103, v113 :: v_dual_add_nc_u32 v103, s2, v104
	s_add_co_i32 s8, s2, -7
	s_delay_alu instid0(VALU_DEP_1) | instskip(NEXT) | instid1(VALU_DEP_2)
	v_fmac_f32_e32 v106, v102, v114
	v_cmp_eq_u32_e32 vcc_lo, 7, v103
	s_delay_alu instid0(VALU_DEP_2) | instskip(SKIP_1) | instid1(SALU_CYCLE_1)
	v_dual_mov_b32 v102, s8 :: v_dual_fmac_f32 v106, v107, v115
	s_or_b32 s6, vcc_lo, s6
	s_and_not1_b32 exec_lo, exec_lo, s6
	s_cbranch_execnz .LBB17_137
; %bb.138:
	s_or_b32 exec_lo, exec_lo, s6
.LBB17_139:
	s_delay_alu instid0(SALU_CYCLE_1) | instskip(SKIP_3) | instid1(VALU_DEP_1)
	s_or_b32 exec_lo, exec_lo, s0
	v_and_b32_e32 v52, 7, v0
	s_mov_b32 s2, 0
	s_mov_b32 s0, exec_lo
	v_cmpx_ne_u32_e32 0, v52
	s_cbranch_execz .LBB17_143
; %bb.140:
	v_lshl_add_u32 v53, v102, 2, 0x50
	v_mov_b32_e32 v103, 0
.LBB17_141:                             ; =>This Inner Loop Header: Depth=1
	v_cmp_eq_u32_e32 vcc_lo, 1, v102
	ds_load_b32 v55, v53
	v_dual_add_nc_u32 v52, -1, v52 :: v_dual_add_nc_u32 v53, 4, v53
	v_cndmask_b32_e32 v54, v34, v35, vcc_lo
	v_cmp_eq_u32_e32 vcc_lo, 2, v102
	s_delay_alu instid0(VALU_DEP_2) | instskip(SKIP_1) | instid1(VALU_DEP_2)
	v_cndmask_b32_e32 v54, v54, v36, vcc_lo
	v_cmp_eq_u32_e32 vcc_lo, 3, v102
	v_cndmask_b32_e32 v54, v54, v37, vcc_lo
	v_cmp_eq_u32_e32 vcc_lo, 4, v102
	s_delay_alu instid0(VALU_DEP_2) | instskip(SKIP_1) | instid1(VALU_DEP_2)
	v_cndmask_b32_e32 v54, v54, v38, vcc_lo
	v_cmp_eq_u32_e32 vcc_lo, 5, v102
	;; [unrolled: 5-line block ×7, first 2 shown]
	v_cndmask_b32_e32 v54, v54, v49, vcc_lo
	v_cmp_eq_u32_e32 vcc_lo, 16, v102
	s_delay_alu instid0(VALU_DEP_2) | instskip(SKIP_2) | instid1(VALU_DEP_3)
	v_cndmask_b32_e32 v54, v54, v50, vcc_lo
	v_cmp_eq_u32_e32 vcc_lo, 17, v102
	v_add_nc_u64_e32 v[102:103], 1, v[102:103]
	v_cndmask_b32_e32 v54, v54, v51, vcc_lo
	v_cmp_eq_u32_e32 vcc_lo, 0, v52
	s_wait_dscnt 0x0
	s_delay_alu instid0(VALU_DEP_2) | instskip(SKIP_1) | instid1(SALU_CYCLE_1)
	v_fmac_f32_e32 v106, v54, v55
	s_or_b32 s2, vcc_lo, s2
	s_and_not1_b32 exec_lo, exec_lo, s2
	s_cbranch_execnz .LBB17_141
; %bb.142:
	s_or_b32 exec_lo, exec_lo, s2
.LBB17_143:
	s_delay_alu instid0(SALU_CYCLE_1)
	s_or_b32 exec_lo, exec_lo, s0
.LBB17_144:
	s_delay_alu instid0(SALU_CYCLE_1)
	s_or_b32 exec_lo, exec_lo, s5
	v_mov_b32_e32 v41, 0
	ds_load_b32 v41, v41 offset:28
	s_wait_dscnt 0x0
	v_mul_f32_e32 v41, v106, v41
.LBB17_145:
	s_or_b32 exec_lo, exec_lo, s4
	v_cmp_lt_u32_e64 s0, 6, v0
	ds_store_b32 v105, v40
	s_wait_dscnt 0x0
	s_barrier_signal -1
	s_barrier_wait -1
	s_and_saveexec_b32 s4, s0
	s_cbranch_execz .LBB17_161
; %bb.146:
	s_and_not1_b32 vcc_lo, exec_lo, s22
	s_cbranch_vccnz .LBB17_148
; %bb.147:
	v_cmp_eq_u32_e32 vcc_lo, 1, v0
	ds_load_b32 v103, v105
	v_cndmask_b32_e32 v102, v34, v35, vcc_lo
	v_cmp_eq_u32_e32 vcc_lo, 2, v0
	s_delay_alu instid0(VALU_DEP_2) | instskip(SKIP_1) | instid1(VALU_DEP_2)
	v_cndmask_b32_e32 v102, v102, v36, vcc_lo
	v_cmp_eq_u32_e32 vcc_lo, 3, v0
	v_cndmask_b32_e32 v102, v102, v37, vcc_lo
	v_cmp_eq_u32_e32 vcc_lo, 4, v0
	s_delay_alu instid0(VALU_DEP_2) | instskip(SKIP_1) | instid1(VALU_DEP_2)
	v_cndmask_b32_e32 v102, v102, v38, vcc_lo
	v_cmp_eq_u32_e32 vcc_lo, 5, v0
	;; [unrolled: 5-line block ×8, first 2 shown]
	v_cndmask_b32_e32 v102, v102, v51, vcc_lo
	s_wait_dscnt 0x0
	s_delay_alu instid0(VALU_DEP_1)
	v_mul_f32_e32 v106, v102, v103
	s_cbranch_execz .LBB17_149
	s_branch .LBB17_150
.LBB17_148:
                                        ; implicit-def: $vgpr106
.LBB17_149:
	ds_load_b32 v106, v105
.LBB17_150:
	s_and_saveexec_b32 s5, s1
	s_cbranch_execz .LBB17_160
; %bb.151:
	v_dual_add_nc_u32 v102, -8, v0 :: v_dual_add_nc_u32 v103, -7, v0
	s_delay_alu instid0(VALU_DEP_1)
	v_cmp_lt_u32_e32 vcc_lo, 6, v102
	v_mov_b32_e32 v102, 7
	s_and_saveexec_b32 s1, vcc_lo
	s_cbranch_execz .LBB17_155
; %bb.152:
	v_and_b32_e32 v102, -8, v103
	s_mov_b32 s6, 0
	s_mov_b64 s[2:3], 14
	s_movk_i32 s7, 0x6c
	s_delay_alu instid0(VALU_DEP_1)
	v_sub_nc_u32_e32 v104, 0, v102
.LBB17_153:                             ; =>This Inner Loop Header: Depth=1
	s_add_co_i32 m0, s2, -7
	v_movrels_b32_e32 v107, v34
	v_mov_b32_e32 v102, s7
	s_add_co_i32 m0, s2, -6
	s_add_co_i32 s7, s7, 32
	v_movrels_b32_e32 v116, v34
	ds_load_2addr_b32 v[108:109], v102 offset1:1
	ds_load_2addr_b32 v[110:111], v102 offset0:2 offset1:3
	s_add_co_i32 m0, s2, -5
	s_wait_dscnt 0x1
	v_fmac_f32_e32 v106, v107, v108
	ds_load_2addr_b32 v[112:113], v102 offset0:4 offset1:5
	ds_load_2addr_b32 v[114:115], v102 offset0:6 offset1:7
	v_movrels_b32_e32 v102, v34
	s_add_co_i32 m0, s2, -4
	v_fmac_f32_e32 v106, v116, v109
	v_movrels_b32_e32 v107, v34
	s_add_co_i32 m0, s2, -3
	s_wait_dscnt 0x2
	s_delay_alu instid0(VALU_DEP_2) | instskip(SKIP_2) | instid1(VALU_DEP_2)
	v_fmac_f32_e32 v106, v102, v110
	v_movrels_b32_e32 v102, v34
	s_add_co_i32 m0, s2, -2
	v_fmac_f32_e32 v106, v107, v111
	v_movrels_b32_e32 v107, v34
	s_add_co_i32 m0, s2, -1
	s_wait_dscnt 0x1
	s_delay_alu instid0(VALU_DEP_2)
	v_fmac_f32_e32 v106, v102, v112
	v_movrels_b32_e32 v102, v34
	s_mov_b32 m0, s2
	s_add_nc_u64 s[2:3], s[2:3], 8
	v_movrels_b32_e32 v108, v34
	v_dual_fmac_f32 v106, v107, v113 :: v_dual_add_nc_u32 v107, s2, v104
	s_add_co_i32 s8, s2, -7
	s_wait_dscnt 0x0
	s_delay_alu instid0(VALU_DEP_1) | instskip(NEXT) | instid1(VALU_DEP_2)
	v_fmac_f32_e32 v106, v102, v114
	v_cmp_eq_u32_e32 vcc_lo, 14, v107
	s_delay_alu instid0(VALU_DEP_2) | instskip(SKIP_1) | instid1(SALU_CYCLE_1)
	v_dual_mov_b32 v102, s8 :: v_dual_fmac_f32 v106, v108, v115
	s_or_b32 s6, vcc_lo, s6
	s_and_not1_b32 exec_lo, exec_lo, s6
	s_cbranch_execnz .LBB17_153
; %bb.154:
	s_or_b32 exec_lo, exec_lo, s6
.LBB17_155:
	s_delay_alu instid0(SALU_CYCLE_1) | instskip(SKIP_3) | instid1(VALU_DEP_1)
	s_or_b32 exec_lo, exec_lo, s1
	v_and_b32_e32 v52, 7, v103
	s_mov_b32 s2, 0
	s_mov_b32 s1, exec_lo
	v_cmpx_ne_u32_e32 0, v52
	s_cbranch_execz .LBB17_159
; %bb.156:
	v_lshl_add_u32 v53, v102, 2, 0x50
	v_mov_b32_e32 v103, 0
.LBB17_157:                             ; =>This Inner Loop Header: Depth=1
	v_cmp_eq_u32_e32 vcc_lo, 1, v102
	ds_load_b32 v55, v53
	v_dual_add_nc_u32 v52, -1, v52 :: v_dual_add_nc_u32 v53, 4, v53
	v_cndmask_b32_e32 v54, v34, v35, vcc_lo
	v_cmp_eq_u32_e32 vcc_lo, 2, v102
	s_delay_alu instid0(VALU_DEP_2) | instskip(SKIP_1) | instid1(VALU_DEP_2)
	v_cndmask_b32_e32 v54, v54, v36, vcc_lo
	v_cmp_eq_u32_e32 vcc_lo, 3, v102
	v_cndmask_b32_e32 v54, v54, v37, vcc_lo
	v_cmp_eq_u32_e32 vcc_lo, 4, v102
	s_delay_alu instid0(VALU_DEP_2) | instskip(SKIP_1) | instid1(VALU_DEP_2)
	v_cndmask_b32_e32 v54, v54, v38, vcc_lo
	v_cmp_eq_u32_e32 vcc_lo, 5, v102
	;; [unrolled: 5-line block ×7, first 2 shown]
	v_cndmask_b32_e32 v54, v54, v49, vcc_lo
	v_cmp_eq_u32_e32 vcc_lo, 16, v102
	s_delay_alu instid0(VALU_DEP_2) | instskip(SKIP_2) | instid1(VALU_DEP_3)
	v_cndmask_b32_e32 v54, v54, v50, vcc_lo
	v_cmp_eq_u32_e32 vcc_lo, 17, v102
	v_add_nc_u64_e32 v[102:103], 1, v[102:103]
	v_cndmask_b32_e32 v54, v54, v51, vcc_lo
	v_cmp_eq_u32_e32 vcc_lo, 0, v52
	s_wait_dscnt 0x0
	s_delay_alu instid0(VALU_DEP_2) | instskip(SKIP_1) | instid1(SALU_CYCLE_1)
	v_fmac_f32_e32 v106, v54, v55
	s_or_b32 s2, vcc_lo, s2
	s_and_not1_b32 exec_lo, exec_lo, s2
	s_cbranch_execnz .LBB17_157
; %bb.158:
	s_or_b32 exec_lo, exec_lo, s2
.LBB17_159:
	s_delay_alu instid0(SALU_CYCLE_1)
	s_or_b32 exec_lo, exec_lo, s1
.LBB17_160:
	s_delay_alu instid0(SALU_CYCLE_1)
	s_or_b32 exec_lo, exec_lo, s5
	v_mov_b32_e32 v40, 0
	ds_load_b32 v40, v40 offset:24
	s_wait_dscnt 0x0
	v_mul_f32_e32 v40, v106, v40
.LBB17_161:
	s_or_b32 exec_lo, exec_lo, s4
	v_cmp_lt_u32_e64 s1, 5, v0
	ds_store_b32 v105, v39
	s_wait_dscnt 0x0
	s_barrier_signal -1
	s_barrier_wait -1
	s_and_saveexec_b32 s4, s1
	s_cbranch_execz .LBB17_177
; %bb.162:
	s_and_not1_b32 vcc_lo, exec_lo, s22
	s_cbranch_vccnz .LBB17_164
; %bb.163:
	v_cmp_eq_u32_e32 vcc_lo, 1, v0
	ds_load_b32 v103, v105
	v_cndmask_b32_e32 v102, v34, v35, vcc_lo
	v_cmp_eq_u32_e32 vcc_lo, 2, v0
	s_delay_alu instid0(VALU_DEP_2) | instskip(SKIP_1) | instid1(VALU_DEP_2)
	v_cndmask_b32_e32 v102, v102, v36, vcc_lo
	v_cmp_eq_u32_e32 vcc_lo, 3, v0
	v_cndmask_b32_e32 v102, v102, v37, vcc_lo
	v_cmp_eq_u32_e32 vcc_lo, 4, v0
	s_delay_alu instid0(VALU_DEP_2) | instskip(SKIP_1) | instid1(VALU_DEP_2)
	v_cndmask_b32_e32 v102, v102, v38, vcc_lo
	v_cmp_eq_u32_e32 vcc_lo, 5, v0
	;; [unrolled: 5-line block ×8, first 2 shown]
	v_cndmask_b32_e32 v102, v102, v51, vcc_lo
	s_wait_dscnt 0x0
	s_delay_alu instid0(VALU_DEP_1)
	v_mul_f32_e32 v106, v102, v103
	s_cbranch_execz .LBB17_165
	s_branch .LBB17_166
.LBB17_164:
                                        ; implicit-def: $vgpr106
.LBB17_165:
	ds_load_b32 v106, v105
.LBB17_166:
	s_and_saveexec_b32 s5, s0
	s_cbranch_execz .LBB17_176
; %bb.167:
	v_dual_add_nc_u32 v104, -7, v0 :: v_dual_add_nc_u32 v103, -6, v0
	v_mov_b32_e32 v102, 6
	s_mov_b32 s0, exec_lo
	s_delay_alu instid0(VALU_DEP_2)
	v_cmpx_lt_u32_e32 6, v104
	s_cbranch_execz .LBB17_171
; %bb.168:
	v_and_b32_e32 v102, -8, v103
	s_mov_b32 s6, 0
	s_mov_b64 s[2:3], 13
	s_movk_i32 s7, 0x68
	s_delay_alu instid0(VALU_DEP_1)
	v_sub_nc_u32_e32 v104, 0, v102
.LBB17_169:                             ; =>This Inner Loop Header: Depth=1
	s_add_co_i32 m0, s2, -7
	v_movrels_b32_e32 v107, v34
	v_mov_b32_e32 v102, s7
	s_add_co_i32 m0, s2, -6
	s_add_co_i32 s7, s7, 32
	v_movrels_b32_e32 v116, v34
	s_add_co_i32 m0, s2, -5
	ds_load_2addr_b64 v[108:111], v102 offset1:1
	ds_load_2addr_b64 v[112:115], v102 offset0:2 offset1:3
	v_movrels_b32_e32 v102, v34
	s_add_co_i32 m0, s2, -4
	s_wait_dscnt 0x1
	v_fmac_f32_e32 v106, v107, v108
	v_movrels_b32_e32 v107, v34
	s_add_co_i32 m0, s2, -3
	s_delay_alu instid0(VALU_DEP_2) | instskip(NEXT) | instid1(VALU_DEP_1)
	v_fmac_f32_e32 v106, v116, v109
	v_fmac_f32_e32 v106, v102, v110
	v_movrels_b32_e32 v102, v34
	s_add_co_i32 m0, s2, -2
	s_delay_alu instid0(VALU_DEP_2) | instskip(SKIP_3) | instid1(VALU_DEP_2)
	v_fmac_f32_e32 v106, v107, v111
	v_movrels_b32_e32 v107, v34
	s_add_co_i32 m0, s2, -1
	s_wait_dscnt 0x0
	v_fmac_f32_e32 v106, v102, v112
	v_movrels_b32_e32 v102, v34
	s_mov_b32 m0, s2
	s_add_nc_u64 s[2:3], s[2:3], 8
	v_movrels_b32_e32 v108, v34
	v_dual_fmac_f32 v106, v107, v113 :: v_dual_add_nc_u32 v107, s2, v104
	s_add_co_i32 s8, s2, -7
	s_delay_alu instid0(VALU_DEP_1) | instskip(NEXT) | instid1(VALU_DEP_2)
	v_fmac_f32_e32 v106, v102, v114
	v_cmp_eq_u32_e32 vcc_lo, 13, v107
	s_delay_alu instid0(VALU_DEP_2) | instskip(SKIP_1) | instid1(SALU_CYCLE_1)
	v_dual_mov_b32 v102, s8 :: v_dual_fmac_f32 v106, v108, v115
	s_or_b32 s6, vcc_lo, s6
	s_and_not1_b32 exec_lo, exec_lo, s6
	s_cbranch_execnz .LBB17_169
; %bb.170:
	s_or_b32 exec_lo, exec_lo, s6
.LBB17_171:
	s_delay_alu instid0(SALU_CYCLE_1) | instskip(SKIP_3) | instid1(VALU_DEP_1)
	s_or_b32 exec_lo, exec_lo, s0
	v_and_b32_e32 v52, 7, v103
	s_mov_b32 s2, 0
	s_mov_b32 s0, exec_lo
	v_cmpx_ne_u32_e32 0, v52
	s_cbranch_execz .LBB17_175
; %bb.172:
	v_lshl_add_u32 v53, v102, 2, 0x50
	v_mov_b32_e32 v103, 0
.LBB17_173:                             ; =>This Inner Loop Header: Depth=1
	v_cmp_eq_u32_e32 vcc_lo, 1, v102
	ds_load_b32 v55, v53
	v_dual_add_nc_u32 v52, -1, v52 :: v_dual_add_nc_u32 v53, 4, v53
	v_cndmask_b32_e32 v54, v34, v35, vcc_lo
	v_cmp_eq_u32_e32 vcc_lo, 2, v102
	s_delay_alu instid0(VALU_DEP_2) | instskip(SKIP_1) | instid1(VALU_DEP_2)
	v_cndmask_b32_e32 v54, v54, v36, vcc_lo
	v_cmp_eq_u32_e32 vcc_lo, 3, v102
	v_cndmask_b32_e32 v54, v54, v37, vcc_lo
	v_cmp_eq_u32_e32 vcc_lo, 4, v102
	s_delay_alu instid0(VALU_DEP_2) | instskip(SKIP_1) | instid1(VALU_DEP_2)
	v_cndmask_b32_e32 v54, v54, v38, vcc_lo
	v_cmp_eq_u32_e32 vcc_lo, 5, v102
	;; [unrolled: 5-line block ×7, first 2 shown]
	v_cndmask_b32_e32 v54, v54, v49, vcc_lo
	v_cmp_eq_u32_e32 vcc_lo, 16, v102
	s_delay_alu instid0(VALU_DEP_2) | instskip(SKIP_2) | instid1(VALU_DEP_3)
	v_cndmask_b32_e32 v54, v54, v50, vcc_lo
	v_cmp_eq_u32_e32 vcc_lo, 17, v102
	v_add_nc_u64_e32 v[102:103], 1, v[102:103]
	v_cndmask_b32_e32 v54, v54, v51, vcc_lo
	v_cmp_eq_u32_e32 vcc_lo, 0, v52
	s_wait_dscnt 0x0
	s_delay_alu instid0(VALU_DEP_2) | instskip(SKIP_1) | instid1(SALU_CYCLE_1)
	v_fmac_f32_e32 v106, v54, v55
	s_or_b32 s2, vcc_lo, s2
	s_and_not1_b32 exec_lo, exec_lo, s2
	s_cbranch_execnz .LBB17_173
; %bb.174:
	s_or_b32 exec_lo, exec_lo, s2
.LBB17_175:
	s_delay_alu instid0(SALU_CYCLE_1)
	s_or_b32 exec_lo, exec_lo, s0
.LBB17_176:
	s_delay_alu instid0(SALU_CYCLE_1)
	s_or_b32 exec_lo, exec_lo, s5
	v_mov_b32_e32 v39, 0
	ds_load_b32 v39, v39 offset:20
	s_wait_dscnt 0x0
	v_mul_f32_e32 v39, v106, v39
.LBB17_177:
	s_or_b32 exec_lo, exec_lo, s4
	v_cmp_lt_u32_e64 s0, 4, v0
	ds_store_b32 v105, v38
	s_wait_dscnt 0x0
	s_barrier_signal -1
	s_barrier_wait -1
	s_and_saveexec_b32 s4, s0
	s_cbranch_execz .LBB17_193
; %bb.178:
	s_and_not1_b32 vcc_lo, exec_lo, s22
	s_cbranch_vccnz .LBB17_180
; %bb.179:
	v_cmp_eq_u32_e32 vcc_lo, 1, v0
	ds_load_b32 v103, v105
	v_cndmask_b32_e32 v102, v34, v35, vcc_lo
	v_cmp_eq_u32_e32 vcc_lo, 2, v0
	s_delay_alu instid0(VALU_DEP_2) | instskip(SKIP_1) | instid1(VALU_DEP_2)
	v_cndmask_b32_e32 v102, v102, v36, vcc_lo
	v_cmp_eq_u32_e32 vcc_lo, 3, v0
	v_cndmask_b32_e32 v102, v102, v37, vcc_lo
	v_cmp_eq_u32_e32 vcc_lo, 4, v0
	s_delay_alu instid0(VALU_DEP_2) | instskip(SKIP_1) | instid1(VALU_DEP_2)
	v_cndmask_b32_e32 v102, v102, v38, vcc_lo
	v_cmp_eq_u32_e32 vcc_lo, 5, v0
	;; [unrolled: 5-line block ×8, first 2 shown]
	v_cndmask_b32_e32 v102, v102, v51, vcc_lo
	s_wait_dscnt 0x0
	s_delay_alu instid0(VALU_DEP_1)
	v_mul_f32_e32 v106, v102, v103
	s_cbranch_execz .LBB17_181
	s_branch .LBB17_182
.LBB17_180:
                                        ; implicit-def: $vgpr106
.LBB17_181:
	ds_load_b32 v106, v105
.LBB17_182:
	s_and_saveexec_b32 s5, s1
	s_cbranch_execz .LBB17_192
; %bb.183:
	v_dual_add_nc_u32 v102, -6, v0 :: v_dual_add_nc_u32 v103, -5, v0
	s_delay_alu instid0(VALU_DEP_1)
	v_cmp_lt_u32_e32 vcc_lo, 6, v102
	v_mov_b32_e32 v102, 5
	s_and_saveexec_b32 s1, vcc_lo
	s_cbranch_execz .LBB17_187
; %bb.184:
	v_and_b32_e32 v102, -8, v103
	s_mov_b32 s6, 0
	s_mov_b64 s[2:3], 12
	s_movk_i32 s7, 0x64
	s_delay_alu instid0(VALU_DEP_1)
	v_sub_nc_u32_e32 v104, 0, v102
.LBB17_185:                             ; =>This Inner Loop Header: Depth=1
	s_add_co_i32 m0, s2, -7
	v_movrels_b32_e32 v107, v34
	v_mov_b32_e32 v102, s7
	s_add_co_i32 m0, s2, -6
	s_add_co_i32 s7, s7, 32
	v_movrels_b32_e32 v116, v34
	ds_load_2addr_b32 v[108:109], v102 offset1:1
	ds_load_2addr_b32 v[110:111], v102 offset0:2 offset1:3
	s_add_co_i32 m0, s2, -5
	s_wait_dscnt 0x1
	v_fmac_f32_e32 v106, v107, v108
	ds_load_2addr_b32 v[112:113], v102 offset0:4 offset1:5
	ds_load_2addr_b32 v[114:115], v102 offset0:6 offset1:7
	v_movrels_b32_e32 v102, v34
	s_add_co_i32 m0, s2, -4
	v_fmac_f32_e32 v106, v116, v109
	v_movrels_b32_e32 v107, v34
	s_add_co_i32 m0, s2, -3
	s_wait_dscnt 0x2
	s_delay_alu instid0(VALU_DEP_2) | instskip(SKIP_2) | instid1(VALU_DEP_2)
	v_fmac_f32_e32 v106, v102, v110
	v_movrels_b32_e32 v102, v34
	s_add_co_i32 m0, s2, -2
	v_fmac_f32_e32 v106, v107, v111
	v_movrels_b32_e32 v107, v34
	s_add_co_i32 m0, s2, -1
	s_wait_dscnt 0x1
	s_delay_alu instid0(VALU_DEP_2)
	v_fmac_f32_e32 v106, v102, v112
	v_movrels_b32_e32 v102, v34
	s_mov_b32 m0, s2
	s_add_nc_u64 s[2:3], s[2:3], 8
	v_movrels_b32_e32 v108, v34
	v_dual_fmac_f32 v106, v107, v113 :: v_dual_add_nc_u32 v107, s2, v104
	s_add_co_i32 s8, s2, -7
	s_wait_dscnt 0x0
	s_delay_alu instid0(VALU_DEP_1) | instskip(NEXT) | instid1(VALU_DEP_2)
	v_fmac_f32_e32 v106, v102, v114
	v_cmp_eq_u32_e32 vcc_lo, 12, v107
	s_delay_alu instid0(VALU_DEP_2) | instskip(SKIP_1) | instid1(SALU_CYCLE_1)
	v_dual_mov_b32 v102, s8 :: v_dual_fmac_f32 v106, v108, v115
	s_or_b32 s6, vcc_lo, s6
	s_and_not1_b32 exec_lo, exec_lo, s6
	s_cbranch_execnz .LBB17_185
; %bb.186:
	s_or_b32 exec_lo, exec_lo, s6
.LBB17_187:
	s_delay_alu instid0(SALU_CYCLE_1) | instskip(SKIP_3) | instid1(VALU_DEP_1)
	s_or_b32 exec_lo, exec_lo, s1
	v_and_b32_e32 v52, 7, v103
	s_mov_b32 s2, 0
	s_mov_b32 s1, exec_lo
	v_cmpx_ne_u32_e32 0, v52
	s_cbranch_execz .LBB17_191
; %bb.188:
	v_lshl_add_u32 v53, v102, 2, 0x50
	v_mov_b32_e32 v103, 0
.LBB17_189:                             ; =>This Inner Loop Header: Depth=1
	v_cmp_eq_u32_e32 vcc_lo, 1, v102
	ds_load_b32 v55, v53
	v_dual_add_nc_u32 v52, -1, v52 :: v_dual_add_nc_u32 v53, 4, v53
	v_cndmask_b32_e32 v54, v34, v35, vcc_lo
	v_cmp_eq_u32_e32 vcc_lo, 2, v102
	s_delay_alu instid0(VALU_DEP_2) | instskip(SKIP_1) | instid1(VALU_DEP_2)
	v_cndmask_b32_e32 v54, v54, v36, vcc_lo
	v_cmp_eq_u32_e32 vcc_lo, 3, v102
	v_cndmask_b32_e32 v54, v54, v37, vcc_lo
	v_cmp_eq_u32_e32 vcc_lo, 4, v102
	s_delay_alu instid0(VALU_DEP_2) | instskip(SKIP_1) | instid1(VALU_DEP_2)
	v_cndmask_b32_e32 v54, v54, v38, vcc_lo
	v_cmp_eq_u32_e32 vcc_lo, 5, v102
	;; [unrolled: 5-line block ×7, first 2 shown]
	v_cndmask_b32_e32 v54, v54, v49, vcc_lo
	v_cmp_eq_u32_e32 vcc_lo, 16, v102
	s_delay_alu instid0(VALU_DEP_2) | instskip(SKIP_2) | instid1(VALU_DEP_3)
	v_cndmask_b32_e32 v54, v54, v50, vcc_lo
	v_cmp_eq_u32_e32 vcc_lo, 17, v102
	v_add_nc_u64_e32 v[102:103], 1, v[102:103]
	v_cndmask_b32_e32 v54, v54, v51, vcc_lo
	v_cmp_eq_u32_e32 vcc_lo, 0, v52
	s_wait_dscnt 0x0
	s_delay_alu instid0(VALU_DEP_2) | instskip(SKIP_1) | instid1(SALU_CYCLE_1)
	v_fmac_f32_e32 v106, v54, v55
	s_or_b32 s2, vcc_lo, s2
	s_and_not1_b32 exec_lo, exec_lo, s2
	s_cbranch_execnz .LBB17_189
; %bb.190:
	s_or_b32 exec_lo, exec_lo, s2
.LBB17_191:
	s_delay_alu instid0(SALU_CYCLE_1)
	s_or_b32 exec_lo, exec_lo, s1
.LBB17_192:
	s_delay_alu instid0(SALU_CYCLE_1)
	s_or_b32 exec_lo, exec_lo, s5
	v_mov_b32_e32 v38, 0
	ds_load_b32 v38, v38 offset:16
	s_wait_dscnt 0x0
	v_mul_f32_e32 v38, v106, v38
.LBB17_193:
	s_or_b32 exec_lo, exec_lo, s4
	v_cmp_lt_u32_e64 s1, 3, v0
	ds_store_b32 v105, v37
	s_wait_dscnt 0x0
	s_barrier_signal -1
	s_barrier_wait -1
	s_and_saveexec_b32 s4, s1
	s_cbranch_execz .LBB17_209
; %bb.194:
	s_and_not1_b32 vcc_lo, exec_lo, s22
	s_cbranch_vccnz .LBB17_196
; %bb.195:
	v_cmp_eq_u32_e32 vcc_lo, 1, v0
	ds_load_b32 v103, v105
	v_cndmask_b32_e32 v102, v34, v35, vcc_lo
	v_cmp_eq_u32_e32 vcc_lo, 2, v0
	s_delay_alu instid0(VALU_DEP_2) | instskip(SKIP_1) | instid1(VALU_DEP_2)
	v_cndmask_b32_e32 v102, v102, v36, vcc_lo
	v_cmp_eq_u32_e32 vcc_lo, 3, v0
	v_cndmask_b32_e32 v102, v102, v37, vcc_lo
	v_cmp_eq_u32_e32 vcc_lo, 4, v0
	s_delay_alu instid0(VALU_DEP_2) | instskip(SKIP_1) | instid1(VALU_DEP_2)
	v_cndmask_b32_e32 v102, v102, v38, vcc_lo
	v_cmp_eq_u32_e32 vcc_lo, 5, v0
	;; [unrolled: 5-line block ×8, first 2 shown]
	v_cndmask_b32_e32 v102, v102, v51, vcc_lo
	s_wait_dscnt 0x0
	s_delay_alu instid0(VALU_DEP_1)
	v_mul_f32_e32 v106, v102, v103
	s_cbranch_execz .LBB17_197
	s_branch .LBB17_198
.LBB17_196:
                                        ; implicit-def: $vgpr106
.LBB17_197:
	ds_load_b32 v106, v105
.LBB17_198:
	s_and_saveexec_b32 s5, s0
	s_cbranch_execz .LBB17_208
; %bb.199:
	v_dual_add_nc_u32 v102, -5, v0 :: v_dual_add_nc_u32 v103, -4, v0
	s_delay_alu instid0(VALU_DEP_1)
	v_cmp_lt_u32_e32 vcc_lo, 6, v102
	v_mov_b32_e32 v102, 4
	s_and_saveexec_b32 s0, vcc_lo
	s_cbranch_execz .LBB17_203
; %bb.200:
	v_and_b32_e32 v102, -8, v103
	s_mov_b32 s6, 0
	s_mov_b64 s[2:3], 5
	s_movk_i32 s7, 0x60
	s_delay_alu instid0(VALU_DEP_1)
	v_sub_nc_u32_e32 v104, 0, v102
.LBB17_201:                             ; =>This Inner Loop Header: Depth=1
	s_add_co_i32 m0, s2, -1
	v_movrels_b32_e32 v107, v34
	v_mov_b32_e32 v102, s7
	s_mov_b32 m0, s2
	s_add_co_i32 s7, s7, 32
	v_movrels_b32_e32 v116, v34
	s_add_co_i32 m0, s2, 1
	ds_load_b128 v[108:111], v102
	ds_load_b128 v[112:115], v102 offset:16
	v_movrels_b32_e32 v102, v34
	s_add_co_i32 m0, s2, 2
	s_wait_dscnt 0x1
	v_fmac_f32_e32 v106, v107, v108
	v_movrels_b32_e32 v107, v34
	s_add_co_i32 m0, s2, 3
	s_delay_alu instid0(VALU_DEP_2) | instskip(NEXT) | instid1(VALU_DEP_1)
	v_fmac_f32_e32 v106, v116, v109
	v_fmac_f32_e32 v106, v102, v110
	v_movrels_b32_e32 v102, v34
	s_add_co_i32 m0, s2, 4
	s_delay_alu instid0(VALU_DEP_2) | instskip(SKIP_3) | instid1(VALU_DEP_2)
	v_fmac_f32_e32 v106, v107, v111
	v_movrels_b32_e32 v107, v34
	s_add_co_i32 m0, s2, 5
	s_wait_dscnt 0x0
	v_fmac_f32_e32 v106, v102, v112
	v_movrels_b32_e32 v102, v34
	s_add_co_i32 m0, s2, 6
	s_add_nc_u64 s[2:3], s[2:3], 8
	v_movrels_b32_e32 v108, v34
	v_dual_fmac_f32 v106, v107, v113 :: v_dual_add_nc_u32 v107, s2, v104
	s_add_co_i32 s8, s2, -1
	s_delay_alu instid0(VALU_DEP_1) | instskip(NEXT) | instid1(VALU_DEP_2)
	v_fmac_f32_e32 v106, v102, v114
	v_cmp_eq_u32_e32 vcc_lo, 5, v107
	s_delay_alu instid0(VALU_DEP_2) | instskip(SKIP_1) | instid1(SALU_CYCLE_1)
	v_dual_mov_b32 v102, s8 :: v_dual_fmac_f32 v106, v108, v115
	s_or_b32 s6, vcc_lo, s6
	s_and_not1_b32 exec_lo, exec_lo, s6
	s_cbranch_execnz .LBB17_201
; %bb.202:
	s_or_b32 exec_lo, exec_lo, s6
.LBB17_203:
	s_delay_alu instid0(SALU_CYCLE_1) | instskip(SKIP_3) | instid1(VALU_DEP_1)
	s_or_b32 exec_lo, exec_lo, s0
	v_and_b32_e32 v52, 7, v103
	s_mov_b32 s2, 0
	s_mov_b32 s0, exec_lo
	v_cmpx_ne_u32_e32 0, v52
	s_cbranch_execz .LBB17_207
; %bb.204:
	v_lshl_add_u32 v53, v102, 2, 0x50
	v_mov_b32_e32 v103, 0
.LBB17_205:                             ; =>This Inner Loop Header: Depth=1
	v_cmp_eq_u32_e32 vcc_lo, 1, v102
	ds_load_b32 v55, v53
	v_dual_add_nc_u32 v52, -1, v52 :: v_dual_add_nc_u32 v53, 4, v53
	v_cndmask_b32_e32 v54, v34, v35, vcc_lo
	v_cmp_eq_u32_e32 vcc_lo, 2, v102
	s_delay_alu instid0(VALU_DEP_2) | instskip(SKIP_1) | instid1(VALU_DEP_2)
	v_cndmask_b32_e32 v54, v54, v36, vcc_lo
	v_cmp_eq_u32_e32 vcc_lo, 3, v102
	v_cndmask_b32_e32 v54, v54, v37, vcc_lo
	v_cmp_eq_u32_e32 vcc_lo, 4, v102
	s_delay_alu instid0(VALU_DEP_2) | instskip(SKIP_1) | instid1(VALU_DEP_2)
	v_cndmask_b32_e32 v54, v54, v38, vcc_lo
	v_cmp_eq_u32_e32 vcc_lo, 5, v102
	;; [unrolled: 5-line block ×7, first 2 shown]
	v_cndmask_b32_e32 v54, v54, v49, vcc_lo
	v_cmp_eq_u32_e32 vcc_lo, 16, v102
	s_delay_alu instid0(VALU_DEP_2) | instskip(SKIP_2) | instid1(VALU_DEP_3)
	v_cndmask_b32_e32 v54, v54, v50, vcc_lo
	v_cmp_eq_u32_e32 vcc_lo, 17, v102
	v_add_nc_u64_e32 v[102:103], 1, v[102:103]
	v_cndmask_b32_e32 v54, v54, v51, vcc_lo
	v_cmp_eq_u32_e32 vcc_lo, 0, v52
	s_wait_dscnt 0x0
	s_delay_alu instid0(VALU_DEP_2) | instskip(SKIP_1) | instid1(SALU_CYCLE_1)
	v_fmac_f32_e32 v106, v54, v55
	s_or_b32 s2, vcc_lo, s2
	s_and_not1_b32 exec_lo, exec_lo, s2
	s_cbranch_execnz .LBB17_205
; %bb.206:
	s_or_b32 exec_lo, exec_lo, s2
.LBB17_207:
	s_delay_alu instid0(SALU_CYCLE_1)
	s_or_b32 exec_lo, exec_lo, s0
.LBB17_208:
	s_delay_alu instid0(SALU_CYCLE_1)
	s_or_b32 exec_lo, exec_lo, s5
	v_mov_b32_e32 v37, 0
	ds_load_b32 v37, v37 offset:12
	s_wait_dscnt 0x0
	v_mul_f32_e32 v37, v106, v37
.LBB17_209:
	s_or_b32 exec_lo, exec_lo, s4
	v_cmp_lt_u32_e64 s0, 2, v0
	ds_store_b32 v105, v36
	s_wait_dscnt 0x0
	s_barrier_signal -1
	s_barrier_wait -1
	s_and_saveexec_b32 s4, s0
	s_cbranch_execz .LBB17_225
; %bb.210:
	s_and_not1_b32 vcc_lo, exec_lo, s22
	s_cbranch_vccnz .LBB17_212
; %bb.211:
	v_cmp_eq_u32_e32 vcc_lo, 1, v0
	ds_load_b32 v103, v105
	v_cndmask_b32_e32 v102, v34, v35, vcc_lo
	v_cmp_eq_u32_e32 vcc_lo, 2, v0
	s_delay_alu instid0(VALU_DEP_2) | instskip(SKIP_1) | instid1(VALU_DEP_2)
	v_cndmask_b32_e32 v102, v102, v36, vcc_lo
	v_cmp_eq_u32_e32 vcc_lo, 3, v0
	v_cndmask_b32_e32 v102, v102, v37, vcc_lo
	v_cmp_eq_u32_e32 vcc_lo, 4, v0
	s_delay_alu instid0(VALU_DEP_2) | instskip(SKIP_1) | instid1(VALU_DEP_2)
	v_cndmask_b32_e32 v102, v102, v38, vcc_lo
	v_cmp_eq_u32_e32 vcc_lo, 5, v0
	;; [unrolled: 5-line block ×8, first 2 shown]
	v_cndmask_b32_e32 v102, v102, v51, vcc_lo
	s_wait_dscnt 0x0
	s_delay_alu instid0(VALU_DEP_1)
	v_mul_f32_e32 v106, v102, v103
	s_cbranch_execz .LBB17_213
	s_branch .LBB17_214
.LBB17_212:
                                        ; implicit-def: $vgpr106
.LBB17_213:
	ds_load_b32 v106, v105
.LBB17_214:
	s_and_saveexec_b32 s5, s1
	s_cbranch_execz .LBB17_224
; %bb.215:
	v_dual_add_nc_u32 v102, -4, v0 :: v_dual_add_nc_u32 v103, -3, v0
	s_delay_alu instid0(VALU_DEP_1)
	v_cmp_lt_u32_e32 vcc_lo, 6, v102
	v_mov_b32_e32 v102, 3
	s_and_saveexec_b32 s1, vcc_lo
	s_cbranch_execz .LBB17_219
; %bb.216:
	v_and_b32_e32 v102, -8, v103
	s_mov_b32 s6, 0
	s_mov_b64 s[2:3], 10
	s_movk_i32 s7, 0x5c
	s_delay_alu instid0(VALU_DEP_1)
	v_sub_nc_u32_e32 v104, 0, v102
.LBB17_217:                             ; =>This Inner Loop Header: Depth=1
	s_add_co_i32 m0, s2, -7
	v_movrels_b32_e32 v107, v34
	v_mov_b32_e32 v102, s7
	s_add_co_i32 m0, s2, -6
	s_add_co_i32 s7, s7, 32
	v_movrels_b32_e32 v116, v34
	ds_load_2addr_b32 v[108:109], v102 offset1:1
	ds_load_2addr_b32 v[110:111], v102 offset0:2 offset1:3
	s_add_co_i32 m0, s2, -5
	s_wait_dscnt 0x1
	v_fmac_f32_e32 v106, v107, v108
	ds_load_2addr_b32 v[112:113], v102 offset0:4 offset1:5
	ds_load_2addr_b32 v[114:115], v102 offset0:6 offset1:7
	v_movrels_b32_e32 v102, v34
	s_add_co_i32 m0, s2, -4
	v_fmac_f32_e32 v106, v116, v109
	v_movrels_b32_e32 v107, v34
	s_add_co_i32 m0, s2, -3
	s_wait_dscnt 0x2
	s_delay_alu instid0(VALU_DEP_2) | instskip(SKIP_2) | instid1(VALU_DEP_2)
	v_fmac_f32_e32 v106, v102, v110
	v_movrels_b32_e32 v102, v34
	s_add_co_i32 m0, s2, -2
	v_fmac_f32_e32 v106, v107, v111
	v_movrels_b32_e32 v107, v34
	s_add_co_i32 m0, s2, -1
	s_wait_dscnt 0x1
	s_delay_alu instid0(VALU_DEP_2)
	v_fmac_f32_e32 v106, v102, v112
	v_movrels_b32_e32 v102, v34
	s_mov_b32 m0, s2
	s_add_nc_u64 s[2:3], s[2:3], 8
	v_movrels_b32_e32 v108, v34
	v_dual_fmac_f32 v106, v107, v113 :: v_dual_add_nc_u32 v107, s2, v104
	s_add_co_i32 s8, s2, -7
	s_wait_dscnt 0x0
	s_delay_alu instid0(VALU_DEP_1) | instskip(NEXT) | instid1(VALU_DEP_2)
	v_fmac_f32_e32 v106, v102, v114
	v_cmp_eq_u32_e32 vcc_lo, 10, v107
	s_delay_alu instid0(VALU_DEP_2) | instskip(SKIP_1) | instid1(SALU_CYCLE_1)
	v_dual_mov_b32 v102, s8 :: v_dual_fmac_f32 v106, v108, v115
	s_or_b32 s6, vcc_lo, s6
	s_and_not1_b32 exec_lo, exec_lo, s6
	s_cbranch_execnz .LBB17_217
; %bb.218:
	s_or_b32 exec_lo, exec_lo, s6
.LBB17_219:
	s_delay_alu instid0(SALU_CYCLE_1) | instskip(SKIP_3) | instid1(VALU_DEP_1)
	s_or_b32 exec_lo, exec_lo, s1
	v_and_b32_e32 v52, 7, v103
	s_mov_b32 s2, 0
	s_mov_b32 s1, exec_lo
	v_cmpx_ne_u32_e32 0, v52
	s_cbranch_execz .LBB17_223
; %bb.220:
	v_lshl_add_u32 v53, v102, 2, 0x50
	v_mov_b32_e32 v103, 0
.LBB17_221:                             ; =>This Inner Loop Header: Depth=1
	v_cmp_eq_u32_e32 vcc_lo, 1, v102
	ds_load_b32 v55, v53
	v_dual_add_nc_u32 v52, -1, v52 :: v_dual_add_nc_u32 v53, 4, v53
	v_cndmask_b32_e32 v54, v34, v35, vcc_lo
	v_cmp_eq_u32_e32 vcc_lo, 2, v102
	s_delay_alu instid0(VALU_DEP_2) | instskip(SKIP_1) | instid1(VALU_DEP_2)
	v_cndmask_b32_e32 v54, v54, v36, vcc_lo
	v_cmp_eq_u32_e32 vcc_lo, 3, v102
	v_cndmask_b32_e32 v54, v54, v37, vcc_lo
	v_cmp_eq_u32_e32 vcc_lo, 4, v102
	s_delay_alu instid0(VALU_DEP_2) | instskip(SKIP_1) | instid1(VALU_DEP_2)
	v_cndmask_b32_e32 v54, v54, v38, vcc_lo
	v_cmp_eq_u32_e32 vcc_lo, 5, v102
	v_cndmask_b32_e32 v54, v54, v39, vcc_lo
	v_cmp_eq_u32_e32 vcc_lo, 6, v102
	s_delay_alu instid0(VALU_DEP_2) | instskip(SKIP_1) | instid1(VALU_DEP_2)
	v_cndmask_b32_e32 v54, v54, v40, vcc_lo
	v_cmp_eq_u32_e32 vcc_lo, 7, v102
	v_cndmask_b32_e32 v54, v54, v41, vcc_lo
	v_cmp_eq_u32_e32 vcc_lo, 8, v102
	s_delay_alu instid0(VALU_DEP_2) | instskip(SKIP_1) | instid1(VALU_DEP_2)
	v_cndmask_b32_e32 v54, v54, v42, vcc_lo
	v_cmp_eq_u32_e32 vcc_lo, 9, v102
	v_cndmask_b32_e32 v54, v54, v43, vcc_lo
	v_cmp_eq_u32_e32 vcc_lo, 10, v102
	s_delay_alu instid0(VALU_DEP_2) | instskip(SKIP_1) | instid1(VALU_DEP_2)
	v_cndmask_b32_e32 v54, v54, v44, vcc_lo
	v_cmp_eq_u32_e32 vcc_lo, 11, v102
	v_cndmask_b32_e32 v54, v54, v45, vcc_lo
	v_cmp_eq_u32_e32 vcc_lo, 12, v102
	s_delay_alu instid0(VALU_DEP_2) | instskip(SKIP_1) | instid1(VALU_DEP_2)
	v_cndmask_b32_e32 v54, v54, v46, vcc_lo
	v_cmp_eq_u32_e32 vcc_lo, 13, v102
	v_cndmask_b32_e32 v54, v54, v47, vcc_lo
	v_cmp_eq_u32_e32 vcc_lo, 14, v102
	s_delay_alu instid0(VALU_DEP_2) | instskip(SKIP_1) | instid1(VALU_DEP_2)
	v_cndmask_b32_e32 v54, v54, v48, vcc_lo
	v_cmp_eq_u32_e32 vcc_lo, 15, v102
	v_cndmask_b32_e32 v54, v54, v49, vcc_lo
	v_cmp_eq_u32_e32 vcc_lo, 16, v102
	s_delay_alu instid0(VALU_DEP_2) | instskip(SKIP_2) | instid1(VALU_DEP_3)
	v_cndmask_b32_e32 v54, v54, v50, vcc_lo
	v_cmp_eq_u32_e32 vcc_lo, 17, v102
	v_add_nc_u64_e32 v[102:103], 1, v[102:103]
	v_cndmask_b32_e32 v54, v54, v51, vcc_lo
	v_cmp_eq_u32_e32 vcc_lo, 0, v52
	s_wait_dscnt 0x0
	s_delay_alu instid0(VALU_DEP_2) | instskip(SKIP_1) | instid1(SALU_CYCLE_1)
	v_fmac_f32_e32 v106, v54, v55
	s_or_b32 s2, vcc_lo, s2
	s_and_not1_b32 exec_lo, exec_lo, s2
	s_cbranch_execnz .LBB17_221
; %bb.222:
	s_or_b32 exec_lo, exec_lo, s2
.LBB17_223:
	s_delay_alu instid0(SALU_CYCLE_1)
	s_or_b32 exec_lo, exec_lo, s1
.LBB17_224:
	s_delay_alu instid0(SALU_CYCLE_1)
	s_or_b32 exec_lo, exec_lo, s5
	v_mov_b32_e32 v36, 0
	ds_load_b32 v36, v36 offset:8
	s_wait_dscnt 0x0
	v_mul_f32_e32 v36, v106, v36
.LBB17_225:
	s_or_b32 exec_lo, exec_lo, s4
	v_cmp_lt_u32_e64 s1, 1, v0
	ds_store_b32 v105, v35
	s_wait_dscnt 0x0
	s_barrier_signal -1
	s_barrier_wait -1
	s_and_saveexec_b32 s4, s1
	s_cbranch_execz .LBB17_241
; %bb.226:
	s_and_not1_b32 vcc_lo, exec_lo, s22
	s_cbranch_vccnz .LBB17_228
; %bb.227:
	v_cmp_eq_u32_e32 vcc_lo, 1, v0
	ds_load_b32 v103, v105
	v_cndmask_b32_e32 v102, v34, v35, vcc_lo
	v_cmp_eq_u32_e32 vcc_lo, 2, v0
	s_delay_alu instid0(VALU_DEP_2) | instskip(SKIP_1) | instid1(VALU_DEP_2)
	v_cndmask_b32_e32 v102, v102, v36, vcc_lo
	v_cmp_eq_u32_e32 vcc_lo, 3, v0
	v_cndmask_b32_e32 v102, v102, v37, vcc_lo
	v_cmp_eq_u32_e32 vcc_lo, 4, v0
	s_delay_alu instid0(VALU_DEP_2) | instskip(SKIP_1) | instid1(VALU_DEP_2)
	v_cndmask_b32_e32 v102, v102, v38, vcc_lo
	v_cmp_eq_u32_e32 vcc_lo, 5, v0
	v_cndmask_b32_e32 v102, v102, v39, vcc_lo
	v_cmp_eq_u32_e32 vcc_lo, 6, v0
	s_delay_alu instid0(VALU_DEP_2) | instskip(SKIP_1) | instid1(VALU_DEP_2)
	v_cndmask_b32_e32 v102, v102, v40, vcc_lo
	v_cmp_eq_u32_e32 vcc_lo, 7, v0
	v_cndmask_b32_e32 v102, v102, v41, vcc_lo
	v_cmp_eq_u32_e32 vcc_lo, 8, v0
	s_delay_alu instid0(VALU_DEP_2) | instskip(SKIP_1) | instid1(VALU_DEP_2)
	v_cndmask_b32_e32 v102, v102, v42, vcc_lo
	v_cmp_eq_u32_e32 vcc_lo, 9, v0
	v_cndmask_b32_e32 v102, v102, v43, vcc_lo
	v_cmp_eq_u32_e32 vcc_lo, 10, v0
	s_delay_alu instid0(VALU_DEP_2) | instskip(SKIP_1) | instid1(VALU_DEP_2)
	v_cndmask_b32_e32 v102, v102, v44, vcc_lo
	v_cmp_eq_u32_e32 vcc_lo, 11, v0
	v_cndmask_b32_e32 v102, v102, v45, vcc_lo
	v_cmp_eq_u32_e32 vcc_lo, 12, v0
	s_delay_alu instid0(VALU_DEP_2) | instskip(SKIP_1) | instid1(VALU_DEP_2)
	v_cndmask_b32_e32 v102, v102, v46, vcc_lo
	v_cmp_eq_u32_e32 vcc_lo, 13, v0
	v_cndmask_b32_e32 v102, v102, v47, vcc_lo
	v_cmp_eq_u32_e32 vcc_lo, 14, v0
	s_delay_alu instid0(VALU_DEP_2) | instskip(SKIP_1) | instid1(VALU_DEP_2)
	v_cndmask_b32_e32 v102, v102, v48, vcc_lo
	v_cmp_eq_u32_e32 vcc_lo, 15, v0
	v_cndmask_b32_e32 v102, v102, v49, vcc_lo
	v_cmp_eq_u32_e32 vcc_lo, 16, v0
	s_delay_alu instid0(VALU_DEP_2) | instskip(SKIP_1) | instid1(VALU_DEP_2)
	v_cndmask_b32_e32 v102, v102, v50, vcc_lo
	v_cmp_eq_u32_e32 vcc_lo, 17, v0
	v_cndmask_b32_e32 v102, v102, v51, vcc_lo
	s_wait_dscnt 0x0
	s_delay_alu instid0(VALU_DEP_1)
	v_mul_f32_e32 v106, v102, v103
	s_cbranch_execz .LBB17_229
	s_branch .LBB17_230
.LBB17_228:
                                        ; implicit-def: $vgpr106
.LBB17_229:
	ds_load_b32 v106, v105
.LBB17_230:
	s_and_saveexec_b32 s5, s0
	s_cbranch_execz .LBB17_240
; %bb.231:
	v_dual_add_nc_u32 v102, -3, v0 :: v_dual_add_nc_u32 v103, -2, v0
	s_delay_alu instid0(VALU_DEP_1)
	v_cmp_lt_u32_e32 vcc_lo, 6, v102
	v_mov_b32_e32 v102, 2
	s_and_saveexec_b32 s0, vcc_lo
	s_cbranch_execz .LBB17_235
; %bb.232:
	v_and_b32_e32 v102, -8, v103
	s_mov_b32 s6, 0
	s_mov_b64 s[2:3], 9
	s_movk_i32 s7, 0x58
	s_delay_alu instid0(VALU_DEP_1)
	v_sub_nc_u32_e32 v104, 0, v102
.LBB17_233:                             ; =>This Inner Loop Header: Depth=1
	s_add_co_i32 m0, s2, -7
	v_movrels_b32_e32 v107, v34
	v_mov_b32_e32 v102, s7
	s_add_co_i32 m0, s2, -6
	s_add_co_i32 s7, s7, 32
	v_movrels_b32_e32 v116, v34
	s_add_co_i32 m0, s2, -5
	ds_load_2addr_b64 v[108:111], v102 offset1:1
	ds_load_2addr_b64 v[112:115], v102 offset0:2 offset1:3
	v_movrels_b32_e32 v102, v34
	s_add_co_i32 m0, s2, -4
	s_wait_dscnt 0x1
	v_fmac_f32_e32 v106, v107, v108
	v_movrels_b32_e32 v107, v34
	s_add_co_i32 m0, s2, -3
	s_delay_alu instid0(VALU_DEP_2) | instskip(NEXT) | instid1(VALU_DEP_1)
	v_fmac_f32_e32 v106, v116, v109
	v_fmac_f32_e32 v106, v102, v110
	v_movrels_b32_e32 v102, v34
	s_add_co_i32 m0, s2, -2
	s_delay_alu instid0(VALU_DEP_2) | instskip(SKIP_3) | instid1(VALU_DEP_2)
	v_fmac_f32_e32 v106, v107, v111
	v_movrels_b32_e32 v107, v34
	s_add_co_i32 m0, s2, -1
	s_wait_dscnt 0x0
	v_fmac_f32_e32 v106, v102, v112
	v_movrels_b32_e32 v102, v34
	s_mov_b32 m0, s2
	s_add_nc_u64 s[2:3], s[2:3], 8
	v_movrels_b32_e32 v108, v34
	v_dual_fmac_f32 v106, v107, v113 :: v_dual_add_nc_u32 v107, s2, v104
	s_add_co_i32 s8, s2, -7
	s_delay_alu instid0(VALU_DEP_1) | instskip(NEXT) | instid1(VALU_DEP_2)
	v_fmac_f32_e32 v106, v102, v114
	v_cmp_eq_u32_e32 vcc_lo, 9, v107
	s_delay_alu instid0(VALU_DEP_2) | instskip(SKIP_1) | instid1(SALU_CYCLE_1)
	v_dual_mov_b32 v102, s8 :: v_dual_fmac_f32 v106, v108, v115
	s_or_b32 s6, vcc_lo, s6
	s_and_not1_b32 exec_lo, exec_lo, s6
	s_cbranch_execnz .LBB17_233
; %bb.234:
	s_or_b32 exec_lo, exec_lo, s6
.LBB17_235:
	s_delay_alu instid0(SALU_CYCLE_1) | instskip(SKIP_3) | instid1(VALU_DEP_1)
	s_or_b32 exec_lo, exec_lo, s0
	v_and_b32_e32 v52, 7, v103
	s_mov_b32 s2, 0
	s_mov_b32 s0, exec_lo
	v_cmpx_ne_u32_e32 0, v52
	s_cbranch_execz .LBB17_239
; %bb.236:
	v_lshl_add_u32 v53, v102, 2, 0x50
	v_mov_b32_e32 v103, 0
.LBB17_237:                             ; =>This Inner Loop Header: Depth=1
	v_cmp_eq_u32_e32 vcc_lo, 1, v102
	ds_load_b32 v55, v53
	v_dual_add_nc_u32 v52, -1, v52 :: v_dual_add_nc_u32 v53, 4, v53
	v_cndmask_b32_e32 v54, v34, v35, vcc_lo
	v_cmp_eq_u32_e32 vcc_lo, 2, v102
	s_delay_alu instid0(VALU_DEP_2) | instskip(SKIP_1) | instid1(VALU_DEP_2)
	v_cndmask_b32_e32 v54, v54, v36, vcc_lo
	v_cmp_eq_u32_e32 vcc_lo, 3, v102
	v_cndmask_b32_e32 v54, v54, v37, vcc_lo
	v_cmp_eq_u32_e32 vcc_lo, 4, v102
	s_delay_alu instid0(VALU_DEP_2) | instskip(SKIP_1) | instid1(VALU_DEP_2)
	v_cndmask_b32_e32 v54, v54, v38, vcc_lo
	v_cmp_eq_u32_e32 vcc_lo, 5, v102
	;; [unrolled: 5-line block ×7, first 2 shown]
	v_cndmask_b32_e32 v54, v54, v49, vcc_lo
	v_cmp_eq_u32_e32 vcc_lo, 16, v102
	s_delay_alu instid0(VALU_DEP_2) | instskip(SKIP_2) | instid1(VALU_DEP_3)
	v_cndmask_b32_e32 v54, v54, v50, vcc_lo
	v_cmp_eq_u32_e32 vcc_lo, 17, v102
	v_add_nc_u64_e32 v[102:103], 1, v[102:103]
	v_cndmask_b32_e32 v54, v54, v51, vcc_lo
	v_cmp_eq_u32_e32 vcc_lo, 0, v52
	s_wait_dscnt 0x0
	s_delay_alu instid0(VALU_DEP_2) | instskip(SKIP_1) | instid1(SALU_CYCLE_1)
	v_fmac_f32_e32 v106, v54, v55
	s_or_b32 s2, vcc_lo, s2
	s_and_not1_b32 exec_lo, exec_lo, s2
	s_cbranch_execnz .LBB17_237
; %bb.238:
	s_or_b32 exec_lo, exec_lo, s2
.LBB17_239:
	s_delay_alu instid0(SALU_CYCLE_1)
	s_or_b32 exec_lo, exec_lo, s0
.LBB17_240:
	s_delay_alu instid0(SALU_CYCLE_1)
	s_or_b32 exec_lo, exec_lo, s5
	v_mov_b32_e32 v35, 0
	ds_load_b32 v35, v35 offset:4
	s_wait_dscnt 0x0
	v_mul_f32_e32 v35, v106, v35
.LBB17_241:
	s_or_b32 exec_lo, exec_lo, s4
	s_mov_b32 s2, 0
	s_mov_b32 s3, exec_lo
	ds_store_b32 v105, v34
	s_wait_dscnt 0x0
	s_barrier_signal -1
	s_barrier_wait -1
	v_cmpx_ne_u32_e32 0, v0
	s_cbranch_execz .LBB17_257
; %bb.242:
	s_and_not1_b32 vcc_lo, exec_lo, s22
	s_cbranch_vccnz .LBB17_244
; %bb.243:
	v_cmp_eq_u32_e32 vcc_lo, 1, v0
	ds_load_b32 v103, v105
	v_cndmask_b32_e32 v102, v34, v35, vcc_lo
	v_cmp_eq_u32_e32 vcc_lo, 2, v0
	s_delay_alu instid0(VALU_DEP_2) | instskip(SKIP_1) | instid1(VALU_DEP_2)
	v_cndmask_b32_e32 v102, v102, v36, vcc_lo
	v_cmp_eq_u32_e32 vcc_lo, 3, v0
	v_cndmask_b32_e32 v102, v102, v37, vcc_lo
	v_cmp_eq_u32_e32 vcc_lo, 4, v0
	s_delay_alu instid0(VALU_DEP_2) | instskip(SKIP_1) | instid1(VALU_DEP_2)
	v_cndmask_b32_e32 v102, v102, v38, vcc_lo
	v_cmp_eq_u32_e32 vcc_lo, 5, v0
	;; [unrolled: 5-line block ×8, first 2 shown]
	v_cndmask_b32_e32 v102, v102, v51, vcc_lo
	s_wait_dscnt 0x0
	s_delay_alu instid0(VALU_DEP_1)
	v_mul_f32_e32 v106, v102, v103
	s_cbranch_execz .LBB17_245
	s_branch .LBB17_246
.LBB17_244:
                                        ; implicit-def: $vgpr106
.LBB17_245:
	ds_load_b32 v106, v105
.LBB17_246:
	s_and_saveexec_b32 s4, s1
	s_cbranch_execz .LBB17_256
; %bb.247:
	v_dual_add_nc_u32 v102, -2, v0 :: v_dual_add_nc_u32 v103, -1, v0
	s_delay_alu instid0(VALU_DEP_1)
	v_cmp_lt_u32_e32 vcc_lo, 6, v102
	v_mov_b32_e32 v102, 1
	s_and_saveexec_b32 s5, vcc_lo
	s_cbranch_execz .LBB17_251
; %bb.248:
	v_and_b32_e32 v102, -8, v103
	s_mov_b32 s6, 0
	s_mov_b64 s[0:1], 8
	s_movk_i32 s7, 0x54
	s_delay_alu instid0(VALU_DEP_1)
	v_sub_nc_u32_e32 v104, 0, v102
.LBB17_249:                             ; =>This Inner Loop Header: Depth=1
	s_add_co_i32 m0, s0, -7
	v_movrels_b32_e32 v107, v34
	v_mov_b32_e32 v102, s7
	s_add_co_i32 m0, s0, -6
	s_add_co_i32 s7, s7, 32
	v_movrels_b32_e32 v116, v34
	ds_load_2addr_b32 v[108:109], v102 offset1:1
	ds_load_2addr_b32 v[110:111], v102 offset0:2 offset1:3
	s_add_co_i32 m0, s0, -5
	s_wait_dscnt 0x1
	v_fmac_f32_e32 v106, v107, v108
	ds_load_2addr_b32 v[112:113], v102 offset0:4 offset1:5
	ds_load_2addr_b32 v[114:115], v102 offset0:6 offset1:7
	v_movrels_b32_e32 v102, v34
	s_add_co_i32 m0, s0, -4
	v_fmac_f32_e32 v106, v116, v109
	v_movrels_b32_e32 v107, v34
	s_add_co_i32 m0, s0, -3
	s_wait_dscnt 0x2
	s_delay_alu instid0(VALU_DEP_2) | instskip(SKIP_2) | instid1(VALU_DEP_2)
	v_fmac_f32_e32 v106, v102, v110
	v_movrels_b32_e32 v102, v34
	s_add_co_i32 m0, s0, -2
	v_fmac_f32_e32 v106, v107, v111
	v_movrels_b32_e32 v107, v34
	s_add_co_i32 m0, s0, -1
	s_wait_dscnt 0x1
	s_delay_alu instid0(VALU_DEP_2)
	v_fmac_f32_e32 v106, v102, v112
	v_movrels_b32_e32 v102, v34
	s_mov_b32 m0, s0
	s_add_nc_u64 s[0:1], s[0:1], 8
	v_movrels_b32_e32 v108, v34
	v_dual_fmac_f32 v106, v107, v113 :: v_dual_add_nc_u32 v107, s0, v104
	s_add_co_i32 s8, s0, -7
	s_wait_dscnt 0x0
	s_delay_alu instid0(VALU_DEP_1) | instskip(NEXT) | instid1(VALU_DEP_2)
	v_fmac_f32_e32 v106, v102, v114
	v_cmp_eq_u32_e32 vcc_lo, 8, v107
	s_delay_alu instid0(VALU_DEP_2) | instskip(SKIP_1) | instid1(SALU_CYCLE_1)
	v_dual_mov_b32 v102, s8 :: v_dual_fmac_f32 v106, v108, v115
	s_or_b32 s6, vcc_lo, s6
	s_and_not1_b32 exec_lo, exec_lo, s6
	s_cbranch_execnz .LBB17_249
; %bb.250:
	s_or_b32 exec_lo, exec_lo, s6
.LBB17_251:
	s_delay_alu instid0(SALU_CYCLE_1) | instskip(SKIP_3) | instid1(VALU_DEP_1)
	s_or_b32 exec_lo, exec_lo, s5
	v_and_b32_e32 v52, 7, v103
	s_mov_b32 s1, 0
	s_mov_b32 s0, exec_lo
	v_cmpx_ne_u32_e32 0, v52
	s_cbranch_execz .LBB17_255
; %bb.252:
	v_lshl_add_u32 v53, v102, 2, 0x50
	v_mov_b32_e32 v103, 0
.LBB17_253:                             ; =>This Inner Loop Header: Depth=1
	v_cmp_eq_u32_e32 vcc_lo, 1, v102
	ds_load_b32 v55, v53
	v_dual_add_nc_u32 v52, -1, v52 :: v_dual_add_nc_u32 v53, 4, v53
	v_cndmask_b32_e32 v54, v34, v35, vcc_lo
	v_cmp_eq_u32_e32 vcc_lo, 2, v102
	s_delay_alu instid0(VALU_DEP_2) | instskip(SKIP_1) | instid1(VALU_DEP_2)
	v_cndmask_b32_e32 v54, v54, v36, vcc_lo
	v_cmp_eq_u32_e32 vcc_lo, 3, v102
	v_cndmask_b32_e32 v54, v54, v37, vcc_lo
	v_cmp_eq_u32_e32 vcc_lo, 4, v102
	s_delay_alu instid0(VALU_DEP_2) | instskip(SKIP_1) | instid1(VALU_DEP_2)
	v_cndmask_b32_e32 v54, v54, v38, vcc_lo
	v_cmp_eq_u32_e32 vcc_lo, 5, v102
	;; [unrolled: 5-line block ×7, first 2 shown]
	v_cndmask_b32_e32 v54, v54, v49, vcc_lo
	v_cmp_eq_u32_e32 vcc_lo, 16, v102
	s_delay_alu instid0(VALU_DEP_2) | instskip(SKIP_2) | instid1(VALU_DEP_3)
	v_cndmask_b32_e32 v54, v54, v50, vcc_lo
	v_cmp_eq_u32_e32 vcc_lo, 17, v102
	v_add_nc_u64_e32 v[102:103], 1, v[102:103]
	v_cndmask_b32_e32 v54, v54, v51, vcc_lo
	v_cmp_eq_u32_e32 vcc_lo, 0, v52
	s_wait_dscnt 0x0
	s_delay_alu instid0(VALU_DEP_2) | instskip(SKIP_1) | instid1(SALU_CYCLE_1)
	v_fmac_f32_e32 v106, v54, v55
	s_or_b32 s1, vcc_lo, s1
	s_and_not1_b32 exec_lo, exec_lo, s1
	s_cbranch_execnz .LBB17_253
; %bb.254:
	s_or_b32 exec_lo, exec_lo, s1
.LBB17_255:
	s_delay_alu instid0(SALU_CYCLE_1)
	s_or_b32 exec_lo, exec_lo, s0
.LBB17_256:
	s_delay_alu instid0(SALU_CYCLE_1)
	s_or_b32 exec_lo, exec_lo, s4
	v_mov_b32_e32 v34, 0
	ds_load_b32 v34, v34
	s_wait_dscnt 0x0
	v_mul_f32_e32 v34, v106, v34
.LBB17_257:
	s_or_b32 exec_lo, exec_lo, s3
	s_delay_alu instid0(SALU_CYCLE_1)
	s_and_b32 vcc_lo, exec_lo, s2
	s_cbranch_vccz .LBB17_431
.LBB17_258:
	v_cmp_eq_u32_e64 s0, 0, v0
	s_wait_loadcnt 0x11
	ds_store_b32 v105, v3
	s_wait_loadcnt_dscnt 0x0
	s_barrier_signal -1
	s_barrier_wait -1
	s_and_saveexec_b32 s1, s0
	s_cbranch_execz .LBB17_264
; %bb.259:
	s_and_b32 vcc_lo, exec_lo, s22
	s_cbranch_vccz .LBB17_261
; %bb.260:
	v_cmp_eq_u32_e32 vcc_lo, 1, v0
	ds_load_b32 v20, v105
	v_cndmask_b32_e32 v3, v2, v3, vcc_lo
	v_cmp_eq_u32_e32 vcc_lo, 2, v0
	s_delay_alu instid0(VALU_DEP_2) | instskip(SKIP_1) | instid1(VALU_DEP_2)
	v_cndmask_b32_e32 v3, v3, v4, vcc_lo
	v_cmp_eq_u32_e32 vcc_lo, 3, v0
	v_cndmask_b32_e32 v3, v3, v5, vcc_lo
	v_cmp_eq_u32_e32 vcc_lo, 4, v0
	s_delay_alu instid0(VALU_DEP_2) | instskip(SKIP_1) | instid1(VALU_DEP_2)
	v_cndmask_b32_e32 v3, v3, v6, vcc_lo
	v_cmp_eq_u32_e32 vcc_lo, 5, v0
	;; [unrolled: 5-line block ×8, first 2 shown]
	v_cndmask_b32_e32 v3, v3, v19, vcc_lo
	s_wait_dscnt 0x0
	s_delay_alu instid0(VALU_DEP_1)
	v_mul_f32_e32 v3, v3, v20
	s_cbranch_execz .LBB17_262
	s_branch .LBB17_263
.LBB17_261:
                                        ; implicit-def: $vgpr3
.LBB17_262:
	ds_load_b32 v3, v105
.LBB17_263:
	v_mov_b32_e32 v20, 0
	ds_load_b32 v20, v20 offset:4
	s_wait_dscnt 0x0
	v_mul_f32_e32 v3, v3, v20
.LBB17_264:
	s_or_b32 exec_lo, exec_lo, s1
	v_cndmask_b32_e64 v34, 0, 1, s22
	s_mov_b32 s1, exec_lo
	ds_store_b32 v105, v4
	s_wait_dscnt 0x0
	s_barrier_signal -1
	s_barrier_wait -1
	v_cmpx_gt_u32_e32 2, v0
	s_cbranch_execz .LBB17_270
; %bb.265:
	s_and_not1_b32 vcc_lo, exec_lo, s22
	s_cbranch_vccnz .LBB17_267
; %bb.266:
	v_cmp_eq_u32_e32 vcc_lo, 1, v0
	v_cndmask_b32_e32 v20, v2, v3, vcc_lo
	v_cmp_eq_u32_e32 vcc_lo, 2, v0
	s_delay_alu instid0(VALU_DEP_2) | instskip(SKIP_4) | instid1(VALU_DEP_2)
	v_cndmask_b32_e32 v4, v20, v4, vcc_lo
	v_cmp_eq_u32_e32 vcc_lo, 3, v0
	ds_load_b32 v20, v105
	v_cndmask_b32_e32 v4, v4, v5, vcc_lo
	v_cmp_eq_u32_e32 vcc_lo, 4, v0
	v_cndmask_b32_e32 v4, v4, v6, vcc_lo
	v_cmp_eq_u32_e32 vcc_lo, 5, v0
	s_delay_alu instid0(VALU_DEP_2) | instskip(SKIP_1) | instid1(VALU_DEP_2)
	v_cndmask_b32_e32 v4, v4, v7, vcc_lo
	v_cmp_eq_u32_e32 vcc_lo, 6, v0
	v_cndmask_b32_e32 v4, v4, v8, vcc_lo
	v_cmp_eq_u32_e32 vcc_lo, 7, v0
	s_delay_alu instid0(VALU_DEP_2) | instskip(SKIP_1) | instid1(VALU_DEP_2)
	;; [unrolled: 5-line block ×6, first 2 shown]
	v_cndmask_b32_e32 v4, v4, v17, vcc_lo
	v_cmp_eq_u32_e32 vcc_lo, 16, v0
	v_cndmask_b32_e32 v4, v4, v18, vcc_lo
	v_cmp_eq_u32_e32 vcc_lo, 17, v0
	s_delay_alu instid0(VALU_DEP_2) | instskip(SKIP_1) | instid1(VALU_DEP_1)
	v_cndmask_b32_e32 v4, v4, v19, vcc_lo
	s_wait_dscnt 0x0
	v_mul_f32_e32 v4, v4, v20
	s_cbranch_execz .LBB17_268
	s_branch .LBB17_269
.LBB17_267:
                                        ; implicit-def: $vgpr4
.LBB17_268:
	ds_load_b32 v4, v105
.LBB17_269:
	v_mov_b32_e32 v20, 0
	ds_load_2addr_b32 v[20:21], v20 offset0:2 offset1:21
	s_wait_dscnt 0x0
	v_fma_f32 v21, v3, v21, v4
	s_delay_alu instid0(VALU_DEP_1) | instskip(NEXT) | instid1(VALU_DEP_1)
	v_cndmask_b32_e64 v4, v4, v21, s0
	v_mul_f32_e32 v4, v4, v20
.LBB17_270:
	s_or_b32 exec_lo, exec_lo, s1
	v_add_nc_u32_e32 v35, 1, v0
	v_cmp_gt_u32_e64 s1, 3, v0
	ds_store_b32 v105, v5
	s_wait_dscnt 0x0
	s_barrier_signal -1
	s_barrier_wait -1
	s_and_saveexec_b32 s2, s1
	s_cbranch_execz .LBB17_278
; %bb.271:
	v_cmp_ne_u32_e32 vcc_lo, 1, v34
	s_cbranch_vccnz .LBB17_273
; %bb.272:
	v_cmp_eq_u32_e32 vcc_lo, 1, v0
	ds_load_b32 v21, v105
	v_cndmask_b32_e32 v20, v2, v3, vcc_lo
	v_cmp_eq_u32_e32 vcc_lo, 2, v0
	s_delay_alu instid0(VALU_DEP_2) | instskip(SKIP_1) | instid1(VALU_DEP_2)
	v_cndmask_b32_e32 v20, v20, v4, vcc_lo
	v_cmp_eq_u32_e32 vcc_lo, 3, v0
	v_cndmask_b32_e32 v20, v20, v5, vcc_lo
	v_cmp_eq_u32_e32 vcc_lo, 4, v0
	s_delay_alu instid0(VALU_DEP_2) | instskip(SKIP_1) | instid1(VALU_DEP_2)
	v_cndmask_b32_e32 v20, v20, v6, vcc_lo
	v_cmp_eq_u32_e32 vcc_lo, 5, v0
	;; [unrolled: 5-line block ×8, first 2 shown]
	v_cndmask_b32_e32 v20, v20, v19, vcc_lo
	s_wait_dscnt 0x0
	s_delay_alu instid0(VALU_DEP_1)
	v_mul_f32_e32 v20, v20, v21
	s_cbranch_execz .LBB17_274
	s_branch .LBB17_275
.LBB17_273:
                                        ; implicit-def: $vgpr20
.LBB17_274:
	ds_load_b32 v20, v105
.LBB17_275:
	s_mov_b32 s3, exec_lo
	v_cmpx_ne_u32_e32 2, v0
	s_cbranch_execz .LBB17_277
; %bb.276:
	v_cmp_eq_u32_e32 vcc_lo, 1, v35
	v_dual_mov_b32 v22, 0 :: v_dual_cndmask_b32 v21, v2, v3
	v_cmp_eq_u32_e32 vcc_lo, 2, v35
	ds_load_b32 v22, v22 offset:88
	v_cndmask_b32_e32 v21, v21, v4, vcc_lo
	v_cmp_eq_u32_e32 vcc_lo, 3, v35
	s_delay_alu instid0(VALU_DEP_2) | instskip(SKIP_4) | instid1(VALU_DEP_2)
	v_cndmask_b32_e32 v5, v21, v5, vcc_lo
	v_cmp_eq_u32_e32 vcc_lo, 4, v35
	ds_load_b32 v21, v105 offset:4
	v_cndmask_b32_e32 v5, v5, v6, vcc_lo
	v_cmp_eq_u32_e32 vcc_lo, 5, v35
	v_cndmask_b32_e32 v5, v5, v7, vcc_lo
	v_cmp_eq_u32_e32 vcc_lo, 6, v35
	s_delay_alu instid0(VALU_DEP_2) | instskip(SKIP_1) | instid1(VALU_DEP_2)
	v_cndmask_b32_e32 v5, v5, v8, vcc_lo
	v_cmp_eq_u32_e32 vcc_lo, 7, v35
	v_cndmask_b32_e32 v5, v5, v9, vcc_lo
	v_cmp_eq_u32_e32 vcc_lo, 8, v35
	s_delay_alu instid0(VALU_DEP_2) | instskip(SKIP_1) | instid1(VALU_DEP_2)
	;; [unrolled: 5-line block ×6, first 2 shown]
	v_cndmask_b32_e32 v5, v5, v18, vcc_lo
	v_cmp_eq_u32_e32 vcc_lo, 17, v35
	v_cndmask_b32_e32 v5, v5, v19, vcc_lo
	s_wait_dscnt 0x0
	s_delay_alu instid0(VALU_DEP_1) | instskip(NEXT) | instid1(VALU_DEP_1)
	v_fmac_f32_e32 v20, v5, v21
	v_fma_f32 v5, v4, v22, v20
	s_delay_alu instid0(VALU_DEP_1)
	v_cndmask_b32_e64 v20, v20, v5, s0
.LBB17_277:
	s_or_b32 exec_lo, exec_lo, s3
	v_mov_b32_e32 v5, 0
	ds_load_b32 v5, v5 offset:12
	s_wait_dscnt 0x0
	v_mul_f32_e32 v5, v20, v5
.LBB17_278:
	s_or_b32 exec_lo, exec_lo, s2
	s_delay_alu instid0(SALU_CYCLE_1)
	s_mov_b32 s2, exec_lo
	ds_store_b32 v105, v6
	s_wait_dscnt 0x0
	s_barrier_signal -1
	s_barrier_wait -1
	v_cmpx_gt_u32_e32 4, v0
	s_cbranch_execz .LBB17_288
; %bb.279:
	v_cmp_ne_u32_e32 vcc_lo, 1, v34
	s_cbranch_vccnz .LBB17_281
; %bb.280:
	v_cmp_eq_u32_e32 vcc_lo, 1, v0
	ds_load_b32 v21, v105
	v_cndmask_b32_e32 v20, v2, v3, vcc_lo
	v_cmp_eq_u32_e32 vcc_lo, 2, v0
	s_delay_alu instid0(VALU_DEP_2) | instskip(SKIP_1) | instid1(VALU_DEP_2)
	v_cndmask_b32_e32 v20, v20, v4, vcc_lo
	v_cmp_eq_u32_e32 vcc_lo, 3, v0
	v_cndmask_b32_e32 v20, v20, v5, vcc_lo
	v_cmp_eq_u32_e32 vcc_lo, 4, v0
	s_delay_alu instid0(VALU_DEP_2) | instskip(SKIP_1) | instid1(VALU_DEP_2)
	v_cndmask_b32_e32 v20, v20, v6, vcc_lo
	v_cmp_eq_u32_e32 vcc_lo, 5, v0
	;; [unrolled: 5-line block ×8, first 2 shown]
	v_cndmask_b32_e32 v20, v20, v19, vcc_lo
	s_wait_dscnt 0x0
	s_delay_alu instid0(VALU_DEP_1)
	v_mul_f32_e32 v22, v20, v21
	s_cbranch_execz .LBB17_282
	s_branch .LBB17_283
.LBB17_281:
                                        ; implicit-def: $vgpr22
.LBB17_282:
	ds_load_b32 v22, v105
.LBB17_283:
	s_mov_b32 s3, exec_lo
	v_cmpx_ne_u32_e32 3, v0
	s_cbranch_execz .LBB17_287
; %bb.284:
	v_mov_b64_e32 v[20:21], v[0:1]
	v_lshl_add_u32 v23, v0, 2, 0x54
	s_mov_b32 s4, 0
.LBB17_285:                             ; =>This Inner Loop Header: Depth=1
	s_delay_alu instid0(VALU_DEP_2)
	v_add_nc_u64_e32 v[20:21], 1, v[20:21]
	ds_load_b32 v25, v23
	v_add_nc_u32_e32 v23, 4, v23
	v_cmp_eq_u32_e32 vcc_lo, 1, v20
	v_cndmask_b32_e32 v24, v2, v3, vcc_lo
	v_cmp_eq_u32_e32 vcc_lo, 2, v20
	s_delay_alu instid0(VALU_DEP_2) | instskip(SKIP_1) | instid1(VALU_DEP_2)
	v_cndmask_b32_e32 v24, v24, v4, vcc_lo
	v_cmp_eq_u32_e32 vcc_lo, 3, v20
	v_cndmask_b32_e32 v24, v24, v5, vcc_lo
	v_cmp_eq_u32_e32 vcc_lo, 4, v20
	s_delay_alu instid0(VALU_DEP_2) | instskip(SKIP_1) | instid1(VALU_DEP_2)
	v_cndmask_b32_e32 v24, v24, v6, vcc_lo
	;; [unrolled: 5-line block ×8, first 2 shown]
	v_cmp_eq_u32_e32 vcc_lo, 17, v20
	v_cndmask_b32_e32 v24, v24, v19, vcc_lo
	v_cmp_lt_u32_e32 vcc_lo, 2, v20
	s_wait_dscnt 0x0
	s_delay_alu instid0(VALU_DEP_2) | instskip(SKIP_1) | instid1(SALU_CYCLE_1)
	v_fmac_f32_e32 v22, v24, v25
	s_or_b32 s4, vcc_lo, s4
	s_and_not1_b32 exec_lo, exec_lo, s4
	s_cbranch_execnz .LBB17_285
; %bb.286:
	s_or_b32 exec_lo, exec_lo, s4
.LBB17_287:
	s_delay_alu instid0(SALU_CYCLE_1)
	s_or_b32 exec_lo, exec_lo, s3
	v_mov_b32_e32 v6, 0
	ds_load_b32 v6, v6 offset:16
	s_wait_dscnt 0x0
	v_mul_f32_e32 v6, v22, v6
.LBB17_288:
	s_or_b32 exec_lo, exec_lo, s2
	v_cmp_gt_u32_e64 s2, 5, v0
	ds_store_b32 v105, v7
	s_wait_dscnt 0x0
	s_barrier_signal -1
	s_barrier_wait -1
	s_and_saveexec_b32 s3, s2
	s_cbranch_execz .LBB17_298
; %bb.289:
	v_cmp_ne_u32_e32 vcc_lo, 1, v34
	s_cbranch_vccnz .LBB17_291
; %bb.290:
	v_cmp_eq_u32_e32 vcc_lo, 1, v0
	ds_load_b32 v21, v105
	v_cndmask_b32_e32 v20, v2, v3, vcc_lo
	v_cmp_eq_u32_e32 vcc_lo, 2, v0
	s_delay_alu instid0(VALU_DEP_2) | instskip(SKIP_1) | instid1(VALU_DEP_2)
	v_cndmask_b32_e32 v20, v20, v4, vcc_lo
	v_cmp_eq_u32_e32 vcc_lo, 3, v0
	v_cndmask_b32_e32 v20, v20, v5, vcc_lo
	v_cmp_eq_u32_e32 vcc_lo, 4, v0
	s_delay_alu instid0(VALU_DEP_2) | instskip(SKIP_1) | instid1(VALU_DEP_2)
	v_cndmask_b32_e32 v20, v20, v6, vcc_lo
	v_cmp_eq_u32_e32 vcc_lo, 5, v0
	;; [unrolled: 5-line block ×8, first 2 shown]
	v_cndmask_b32_e32 v20, v20, v19, vcc_lo
	s_wait_dscnt 0x0
	s_delay_alu instid0(VALU_DEP_1)
	v_mul_f32_e32 v22, v20, v21
	s_cbranch_execz .LBB17_292
	s_branch .LBB17_293
.LBB17_291:
                                        ; implicit-def: $vgpr22
.LBB17_292:
	ds_load_b32 v22, v105
.LBB17_293:
	s_mov_b32 s4, exec_lo
	v_cmpx_ne_u32_e32 4, v0
	s_cbranch_execz .LBB17_297
; %bb.294:
	v_mov_b64_e32 v[20:21], v[0:1]
	v_lshl_add_u32 v23, v0, 2, 0x54
	s_mov_b32 s5, 0
.LBB17_295:                             ; =>This Inner Loop Header: Depth=1
	s_delay_alu instid0(VALU_DEP_2)
	v_add_nc_u64_e32 v[20:21], 1, v[20:21]
	ds_load_b32 v25, v23
	v_add_nc_u32_e32 v23, 4, v23
	v_cmp_eq_u32_e32 vcc_lo, 1, v20
	v_cndmask_b32_e32 v24, v2, v3, vcc_lo
	v_cmp_eq_u32_e32 vcc_lo, 2, v20
	s_delay_alu instid0(VALU_DEP_2) | instskip(SKIP_1) | instid1(VALU_DEP_2)
	v_cndmask_b32_e32 v24, v24, v4, vcc_lo
	v_cmp_eq_u32_e32 vcc_lo, 3, v20
	v_cndmask_b32_e32 v24, v24, v5, vcc_lo
	v_cmp_eq_u32_e32 vcc_lo, 4, v20
	s_delay_alu instid0(VALU_DEP_2) | instskip(SKIP_1) | instid1(VALU_DEP_2)
	v_cndmask_b32_e32 v24, v24, v6, vcc_lo
	;; [unrolled: 5-line block ×8, first 2 shown]
	v_cmp_eq_u32_e32 vcc_lo, 17, v20
	v_cndmask_b32_e32 v24, v24, v19, vcc_lo
	v_cmp_lt_u32_e32 vcc_lo, 3, v20
	s_wait_dscnt 0x0
	s_delay_alu instid0(VALU_DEP_2) | instskip(SKIP_1) | instid1(SALU_CYCLE_1)
	v_fmac_f32_e32 v22, v24, v25
	s_or_b32 s5, vcc_lo, s5
	s_and_not1_b32 exec_lo, exec_lo, s5
	s_cbranch_execnz .LBB17_295
; %bb.296:
	s_or_b32 exec_lo, exec_lo, s5
.LBB17_297:
	s_delay_alu instid0(SALU_CYCLE_1)
	s_or_b32 exec_lo, exec_lo, s4
	v_mov_b32_e32 v7, 0
	ds_load_b32 v7, v7 offset:20
	s_wait_dscnt 0x0
	v_mul_f32_e32 v7, v22, v7
.LBB17_298:
	s_or_b32 exec_lo, exec_lo, s3
	s_delay_alu instid0(SALU_CYCLE_1)
	s_mov_b32 s3, exec_lo
	ds_store_b32 v105, v8
	s_wait_dscnt 0x0
	s_barrier_signal -1
	s_barrier_wait -1
	v_cmpx_gt_u32_e32 6, v0
	s_cbranch_execz .LBB17_308
; %bb.299:
	v_cmp_ne_u32_e32 vcc_lo, 1, v34
	s_cbranch_vccnz .LBB17_301
; %bb.300:
	v_cmp_eq_u32_e32 vcc_lo, 1, v0
	ds_load_b32 v21, v105
	v_cndmask_b32_e32 v20, v2, v3, vcc_lo
	v_cmp_eq_u32_e32 vcc_lo, 2, v0
	s_delay_alu instid0(VALU_DEP_2) | instskip(SKIP_1) | instid1(VALU_DEP_2)
	v_cndmask_b32_e32 v20, v20, v4, vcc_lo
	v_cmp_eq_u32_e32 vcc_lo, 3, v0
	v_cndmask_b32_e32 v20, v20, v5, vcc_lo
	v_cmp_eq_u32_e32 vcc_lo, 4, v0
	s_delay_alu instid0(VALU_DEP_2) | instskip(SKIP_1) | instid1(VALU_DEP_2)
	v_cndmask_b32_e32 v20, v20, v6, vcc_lo
	v_cmp_eq_u32_e32 vcc_lo, 5, v0
	v_cndmask_b32_e32 v20, v20, v7, vcc_lo
	v_cmp_eq_u32_e32 vcc_lo, 6, v0
	s_delay_alu instid0(VALU_DEP_2) | instskip(SKIP_1) | instid1(VALU_DEP_2)
	v_cndmask_b32_e32 v20, v20, v8, vcc_lo
	v_cmp_eq_u32_e32 vcc_lo, 7, v0
	v_cndmask_b32_e32 v20, v20, v9, vcc_lo
	v_cmp_eq_u32_e32 vcc_lo, 8, v0
	s_delay_alu instid0(VALU_DEP_2) | instskip(SKIP_1) | instid1(VALU_DEP_2)
	v_cndmask_b32_e32 v20, v20, v10, vcc_lo
	v_cmp_eq_u32_e32 vcc_lo, 9, v0
	v_cndmask_b32_e32 v20, v20, v11, vcc_lo
	v_cmp_eq_u32_e32 vcc_lo, 10, v0
	s_delay_alu instid0(VALU_DEP_2) | instskip(SKIP_1) | instid1(VALU_DEP_2)
	v_cndmask_b32_e32 v20, v20, v12, vcc_lo
	v_cmp_eq_u32_e32 vcc_lo, 11, v0
	v_cndmask_b32_e32 v20, v20, v13, vcc_lo
	v_cmp_eq_u32_e32 vcc_lo, 12, v0
	s_delay_alu instid0(VALU_DEP_2) | instskip(SKIP_1) | instid1(VALU_DEP_2)
	v_cndmask_b32_e32 v20, v20, v14, vcc_lo
	v_cmp_eq_u32_e32 vcc_lo, 13, v0
	v_cndmask_b32_e32 v20, v20, v15, vcc_lo
	v_cmp_eq_u32_e32 vcc_lo, 14, v0
	s_delay_alu instid0(VALU_DEP_2) | instskip(SKIP_1) | instid1(VALU_DEP_2)
	v_cndmask_b32_e32 v20, v20, v16, vcc_lo
	v_cmp_eq_u32_e32 vcc_lo, 15, v0
	v_cndmask_b32_e32 v20, v20, v17, vcc_lo
	v_cmp_eq_u32_e32 vcc_lo, 16, v0
	s_delay_alu instid0(VALU_DEP_2) | instskip(SKIP_1) | instid1(VALU_DEP_2)
	v_cndmask_b32_e32 v20, v20, v18, vcc_lo
	v_cmp_eq_u32_e32 vcc_lo, 17, v0
	v_cndmask_b32_e32 v20, v20, v19, vcc_lo
	s_wait_dscnt 0x0
	s_delay_alu instid0(VALU_DEP_1)
	v_mul_f32_e32 v22, v20, v21
	s_cbranch_execz .LBB17_302
	s_branch .LBB17_303
.LBB17_301:
                                        ; implicit-def: $vgpr22
.LBB17_302:
	ds_load_b32 v22, v105
.LBB17_303:
	s_mov_b32 s4, exec_lo
	v_cmpx_ne_u32_e32 5, v0
	s_cbranch_execz .LBB17_307
; %bb.304:
	v_mov_b64_e32 v[20:21], v[0:1]
	v_lshl_add_u32 v23, v0, 2, 0x54
	s_mov_b32 s5, 0
.LBB17_305:                             ; =>This Inner Loop Header: Depth=1
	s_delay_alu instid0(VALU_DEP_2)
	v_add_nc_u64_e32 v[20:21], 1, v[20:21]
	ds_load_b32 v25, v23
	v_add_nc_u32_e32 v23, 4, v23
	v_cmp_eq_u32_e32 vcc_lo, 1, v20
	v_cndmask_b32_e32 v24, v2, v3, vcc_lo
	v_cmp_eq_u32_e32 vcc_lo, 2, v20
	s_delay_alu instid0(VALU_DEP_2) | instskip(SKIP_1) | instid1(VALU_DEP_2)
	v_cndmask_b32_e32 v24, v24, v4, vcc_lo
	v_cmp_eq_u32_e32 vcc_lo, 3, v20
	v_cndmask_b32_e32 v24, v24, v5, vcc_lo
	v_cmp_eq_u32_e32 vcc_lo, 4, v20
	s_delay_alu instid0(VALU_DEP_2) | instskip(SKIP_1) | instid1(VALU_DEP_2)
	v_cndmask_b32_e32 v24, v24, v6, vcc_lo
	;; [unrolled: 5-line block ×8, first 2 shown]
	v_cmp_eq_u32_e32 vcc_lo, 17, v20
	v_cndmask_b32_e32 v24, v24, v19, vcc_lo
	v_cmp_lt_u32_e32 vcc_lo, 4, v20
	s_wait_dscnt 0x0
	s_delay_alu instid0(VALU_DEP_2) | instskip(SKIP_1) | instid1(SALU_CYCLE_1)
	v_fmac_f32_e32 v22, v24, v25
	s_or_b32 s5, vcc_lo, s5
	s_and_not1_b32 exec_lo, exec_lo, s5
	s_cbranch_execnz .LBB17_305
; %bb.306:
	s_or_b32 exec_lo, exec_lo, s5
.LBB17_307:
	s_delay_alu instid0(SALU_CYCLE_1)
	s_or_b32 exec_lo, exec_lo, s4
	v_mov_b32_e32 v8, 0
	ds_load_b32 v8, v8 offset:24
	s_wait_dscnt 0x0
	v_mul_f32_e32 v8, v22, v8
.LBB17_308:
	s_or_b32 exec_lo, exec_lo, s3
	v_cmp_gt_u32_e64 s3, 7, v0
	ds_store_b32 v105, v9
	s_wait_dscnt 0x0
	s_barrier_signal -1
	s_barrier_wait -1
	s_and_saveexec_b32 s4, s3
	s_cbranch_execz .LBB17_318
; %bb.309:
	v_cmp_ne_u32_e32 vcc_lo, 1, v34
	s_cbranch_vccnz .LBB17_311
; %bb.310:
	v_cmp_eq_u32_e32 vcc_lo, 1, v0
	ds_load_b32 v21, v105
	v_cndmask_b32_e32 v20, v2, v3, vcc_lo
	v_cmp_eq_u32_e32 vcc_lo, 2, v0
	s_delay_alu instid0(VALU_DEP_2) | instskip(SKIP_1) | instid1(VALU_DEP_2)
	v_cndmask_b32_e32 v20, v20, v4, vcc_lo
	v_cmp_eq_u32_e32 vcc_lo, 3, v0
	v_cndmask_b32_e32 v20, v20, v5, vcc_lo
	v_cmp_eq_u32_e32 vcc_lo, 4, v0
	s_delay_alu instid0(VALU_DEP_2) | instskip(SKIP_1) | instid1(VALU_DEP_2)
	v_cndmask_b32_e32 v20, v20, v6, vcc_lo
	v_cmp_eq_u32_e32 vcc_lo, 5, v0
	;; [unrolled: 5-line block ×8, first 2 shown]
	v_cndmask_b32_e32 v20, v20, v19, vcc_lo
	s_wait_dscnt 0x0
	s_delay_alu instid0(VALU_DEP_1)
	v_mul_f32_e32 v22, v20, v21
	s_cbranch_execz .LBB17_312
	s_branch .LBB17_313
.LBB17_311:
                                        ; implicit-def: $vgpr22
.LBB17_312:
	ds_load_b32 v22, v105
.LBB17_313:
	s_mov_b32 s5, exec_lo
	v_cmpx_ne_u32_e32 6, v0
	s_cbranch_execz .LBB17_317
; %bb.314:
	v_mov_b64_e32 v[20:21], v[0:1]
	v_lshl_add_u32 v23, v0, 2, 0x54
	s_mov_b32 s6, 0
.LBB17_315:                             ; =>This Inner Loop Header: Depth=1
	s_delay_alu instid0(VALU_DEP_2)
	v_add_nc_u64_e32 v[20:21], 1, v[20:21]
	ds_load_b32 v25, v23
	v_add_nc_u32_e32 v23, 4, v23
	v_cmp_eq_u32_e32 vcc_lo, 1, v20
	v_cndmask_b32_e32 v24, v2, v3, vcc_lo
	v_cmp_eq_u32_e32 vcc_lo, 2, v20
	s_delay_alu instid0(VALU_DEP_2) | instskip(SKIP_1) | instid1(VALU_DEP_2)
	v_cndmask_b32_e32 v24, v24, v4, vcc_lo
	v_cmp_eq_u32_e32 vcc_lo, 3, v20
	v_cndmask_b32_e32 v24, v24, v5, vcc_lo
	v_cmp_eq_u32_e32 vcc_lo, 4, v20
	s_delay_alu instid0(VALU_DEP_2) | instskip(SKIP_1) | instid1(VALU_DEP_2)
	v_cndmask_b32_e32 v24, v24, v6, vcc_lo
	;; [unrolled: 5-line block ×8, first 2 shown]
	v_cmp_eq_u32_e32 vcc_lo, 17, v20
	v_cndmask_b32_e32 v24, v24, v19, vcc_lo
	v_cmp_lt_u32_e32 vcc_lo, 5, v20
	s_wait_dscnt 0x0
	s_delay_alu instid0(VALU_DEP_2) | instskip(SKIP_1) | instid1(SALU_CYCLE_1)
	v_fmac_f32_e32 v22, v24, v25
	s_or_b32 s6, vcc_lo, s6
	s_and_not1_b32 exec_lo, exec_lo, s6
	s_cbranch_execnz .LBB17_315
; %bb.316:
	s_or_b32 exec_lo, exec_lo, s6
.LBB17_317:
	s_delay_alu instid0(SALU_CYCLE_1)
	s_or_b32 exec_lo, exec_lo, s5
	v_mov_b32_e32 v9, 0
	ds_load_b32 v9, v9 offset:28
	s_wait_dscnt 0x0
	v_mul_f32_e32 v9, v22, v9
.LBB17_318:
	s_or_b32 exec_lo, exec_lo, s4
	s_delay_alu instid0(SALU_CYCLE_1)
	s_mov_b32 s4, exec_lo
	ds_store_b32 v105, v10
	s_wait_dscnt 0x0
	s_barrier_signal -1
	s_barrier_wait -1
	v_cmpx_gt_u32_e32 8, v0
	s_cbranch_execz .LBB17_328
; %bb.319:
	v_cmp_ne_u32_e32 vcc_lo, 1, v34
	s_cbranch_vccnz .LBB17_321
; %bb.320:
	v_cmp_eq_u32_e32 vcc_lo, 1, v0
	ds_load_b32 v21, v105
	v_cndmask_b32_e32 v20, v2, v3, vcc_lo
	v_cmp_eq_u32_e32 vcc_lo, 2, v0
	s_delay_alu instid0(VALU_DEP_2) | instskip(SKIP_1) | instid1(VALU_DEP_2)
	v_cndmask_b32_e32 v20, v20, v4, vcc_lo
	v_cmp_eq_u32_e32 vcc_lo, 3, v0
	v_cndmask_b32_e32 v20, v20, v5, vcc_lo
	v_cmp_eq_u32_e32 vcc_lo, 4, v0
	s_delay_alu instid0(VALU_DEP_2) | instskip(SKIP_1) | instid1(VALU_DEP_2)
	v_cndmask_b32_e32 v20, v20, v6, vcc_lo
	v_cmp_eq_u32_e32 vcc_lo, 5, v0
	;; [unrolled: 5-line block ×8, first 2 shown]
	v_cndmask_b32_e32 v20, v20, v19, vcc_lo
	s_wait_dscnt 0x0
	s_delay_alu instid0(VALU_DEP_1)
	v_mul_f32_e32 v22, v20, v21
	s_cbranch_execz .LBB17_322
	s_branch .LBB17_323
.LBB17_321:
                                        ; implicit-def: $vgpr22
.LBB17_322:
	ds_load_b32 v22, v105
.LBB17_323:
	s_mov_b32 s5, exec_lo
	v_cmpx_ne_u32_e32 7, v0
	s_cbranch_execz .LBB17_327
; %bb.324:
	v_mov_b64_e32 v[20:21], v[0:1]
	v_lshl_add_u32 v23, v0, 2, 0x54
	s_mov_b32 s6, 0
.LBB17_325:                             ; =>This Inner Loop Header: Depth=1
	s_delay_alu instid0(VALU_DEP_2)
	v_add_nc_u64_e32 v[20:21], 1, v[20:21]
	ds_load_b32 v25, v23
	v_add_nc_u32_e32 v23, 4, v23
	v_cmp_eq_u32_e32 vcc_lo, 1, v20
	v_cndmask_b32_e32 v24, v2, v3, vcc_lo
	v_cmp_eq_u32_e32 vcc_lo, 2, v20
	s_delay_alu instid0(VALU_DEP_2) | instskip(SKIP_1) | instid1(VALU_DEP_2)
	v_cndmask_b32_e32 v24, v24, v4, vcc_lo
	v_cmp_eq_u32_e32 vcc_lo, 3, v20
	v_cndmask_b32_e32 v24, v24, v5, vcc_lo
	v_cmp_eq_u32_e32 vcc_lo, 4, v20
	s_delay_alu instid0(VALU_DEP_2) | instskip(SKIP_1) | instid1(VALU_DEP_2)
	v_cndmask_b32_e32 v24, v24, v6, vcc_lo
	;; [unrolled: 5-line block ×8, first 2 shown]
	v_cmp_eq_u32_e32 vcc_lo, 17, v20
	v_cndmask_b32_e32 v24, v24, v19, vcc_lo
	v_cmp_lt_u32_e32 vcc_lo, 6, v20
	s_wait_dscnt 0x0
	s_delay_alu instid0(VALU_DEP_2) | instskip(SKIP_1) | instid1(SALU_CYCLE_1)
	v_fmac_f32_e32 v22, v24, v25
	s_or_b32 s6, vcc_lo, s6
	s_and_not1_b32 exec_lo, exec_lo, s6
	s_cbranch_execnz .LBB17_325
; %bb.326:
	s_or_b32 exec_lo, exec_lo, s6
.LBB17_327:
	s_delay_alu instid0(SALU_CYCLE_1)
	s_or_b32 exec_lo, exec_lo, s5
	v_mov_b32_e32 v10, 0
	ds_load_b32 v10, v10 offset:32
	s_wait_dscnt 0x0
	v_mul_f32_e32 v10, v22, v10
.LBB17_328:
	s_or_b32 exec_lo, exec_lo, s4
	s_delay_alu instid0(SALU_CYCLE_1)
	s_mov_b32 s4, exec_lo
	ds_store_b32 v105, v11
	s_wait_dscnt 0x0
	s_barrier_signal -1
	s_barrier_wait -1
	v_cmpx_gt_u32_e32 9, v0
	s_cbranch_execz .LBB17_350
; %bb.329:
	v_cmp_ne_u32_e32 vcc_lo, 1, v34
	s_cbranch_vccnz .LBB17_331
; %bb.330:
	v_cmp_eq_u32_e32 vcc_lo, 1, v0
	ds_load_b32 v21, v105
	v_cndmask_b32_e32 v20, v2, v3, vcc_lo
	v_cmp_eq_u32_e32 vcc_lo, 2, v0
	s_delay_alu instid0(VALU_DEP_2) | instskip(SKIP_1) | instid1(VALU_DEP_2)
	v_cndmask_b32_e32 v20, v20, v4, vcc_lo
	v_cmp_eq_u32_e32 vcc_lo, 3, v0
	v_cndmask_b32_e32 v20, v20, v5, vcc_lo
	v_cmp_eq_u32_e32 vcc_lo, 4, v0
	s_delay_alu instid0(VALU_DEP_2) | instskip(SKIP_1) | instid1(VALU_DEP_2)
	v_cndmask_b32_e32 v20, v20, v6, vcc_lo
	v_cmp_eq_u32_e32 vcc_lo, 5, v0
	;; [unrolled: 5-line block ×8, first 2 shown]
	v_cndmask_b32_e32 v20, v20, v19, vcc_lo
	s_wait_dscnt 0x0
	s_delay_alu instid0(VALU_DEP_1)
	v_mul_f32_e32 v20, v20, v21
	s_cbranch_execz .LBB17_332
	s_branch .LBB17_333
.LBB17_331:
                                        ; implicit-def: $vgpr20
.LBB17_332:
	ds_load_b32 v20, v105
.LBB17_333:
	s_mov_b32 s5, exec_lo
	v_cmpx_ne_u32_e32 8, v0
	s_cbranch_execz .LBB17_349
; %bb.334:
	v_cmp_eq_u32_e32 vcc_lo, 1, v35
	ds_load_b32 v22, v105 offset:4
	v_cndmask_b32_e32 v21, v2, v3, vcc_lo
	v_cmp_eq_u32_e32 vcc_lo, 2, v35
	s_delay_alu instid0(VALU_DEP_2) | instskip(SKIP_1) | instid1(VALU_DEP_2)
	v_cndmask_b32_e32 v21, v21, v4, vcc_lo
	v_cmp_eq_u32_e32 vcc_lo, 3, v35
	v_cndmask_b32_e32 v21, v21, v5, vcc_lo
	v_cmp_eq_u32_e32 vcc_lo, 4, v35
	s_delay_alu instid0(VALU_DEP_2) | instskip(SKIP_1) | instid1(VALU_DEP_2)
	v_cndmask_b32_e32 v21, v21, v6, vcc_lo
	v_cmp_eq_u32_e32 vcc_lo, 5, v35
	;; [unrolled: 5-line block ×8, first 2 shown]
	v_cndmask_b32_e32 v21, v21, v19, vcc_lo
	s_wait_dscnt 0x0
	s_delay_alu instid0(VALU_DEP_1)
	v_fmac_f32_e32 v20, v21, v22
	s_and_saveexec_b32 s6, s3
	s_cbranch_execz .LBB17_348
; %bb.335:
	v_add_nc_u32_e32 v21, 2, v0
	ds_load_b32 v23, v105 offset:8
	s_mov_b32 s3, exec_lo
	v_cmp_eq_u32_e32 vcc_lo, 1, v21
	v_cndmask_b32_e32 v22, v2, v3, vcc_lo
	v_cmp_eq_u32_e32 vcc_lo, 2, v21
	s_delay_alu instid0(VALU_DEP_2) | instskip(SKIP_1) | instid1(VALU_DEP_2)
	v_cndmask_b32_e32 v22, v22, v4, vcc_lo
	v_cmp_eq_u32_e32 vcc_lo, 3, v21
	v_cndmask_b32_e32 v22, v22, v5, vcc_lo
	v_cmp_eq_u32_e32 vcc_lo, 4, v21
	s_delay_alu instid0(VALU_DEP_2) | instskip(SKIP_1) | instid1(VALU_DEP_2)
	v_cndmask_b32_e32 v22, v22, v6, vcc_lo
	;; [unrolled: 5-line block ×8, first 2 shown]
	v_cmp_eq_u32_e32 vcc_lo, 17, v21
	v_cndmask_b32_e32 v21, v22, v19, vcc_lo
	s_wait_dscnt 0x0
	s_delay_alu instid0(VALU_DEP_1)
	v_fmac_f32_e32 v20, v21, v23
	v_cmpx_ne_u32_e32 6, v0
	s_cbranch_execz .LBB17_347
; %bb.336:
	v_add_nc_u32_e32 v21, 3, v0
	ds_load_b32 v23, v105 offset:12
	v_cmp_eq_u32_e32 vcc_lo, 1, v21
	v_cndmask_b32_e32 v22, v2, v3, vcc_lo
	v_cmp_eq_u32_e32 vcc_lo, 2, v21
	s_delay_alu instid0(VALU_DEP_2) | instskip(SKIP_1) | instid1(VALU_DEP_2)
	v_cndmask_b32_e32 v22, v22, v4, vcc_lo
	v_cmp_eq_u32_e32 vcc_lo, 3, v21
	v_cndmask_b32_e32 v22, v22, v5, vcc_lo
	v_cmp_eq_u32_e32 vcc_lo, 4, v21
	s_delay_alu instid0(VALU_DEP_2) | instskip(SKIP_1) | instid1(VALU_DEP_2)
	v_cndmask_b32_e32 v22, v22, v6, vcc_lo
	;; [unrolled: 5-line block ×8, first 2 shown]
	v_cmp_eq_u32_e32 vcc_lo, 17, v21
	v_cndmask_b32_e32 v21, v22, v19, vcc_lo
	s_wait_dscnt 0x0
	s_delay_alu instid0(VALU_DEP_1)
	v_fmac_f32_e32 v20, v21, v23
	s_and_saveexec_b32 s7, s2
	s_cbranch_execz .LBB17_346
; %bb.337:
	v_add_nc_u32_e32 v21, 4, v0
	ds_load_b32 v23, v105 offset:16
	s_mov_b32 s2, exec_lo
	v_cmp_eq_u32_e32 vcc_lo, 1, v21
	v_cndmask_b32_e32 v22, v2, v3, vcc_lo
	v_cmp_eq_u32_e32 vcc_lo, 2, v21
	s_delay_alu instid0(VALU_DEP_2) | instskip(SKIP_1) | instid1(VALU_DEP_2)
	v_cndmask_b32_e32 v22, v22, v4, vcc_lo
	v_cmp_eq_u32_e32 vcc_lo, 3, v21
	v_cndmask_b32_e32 v22, v22, v5, vcc_lo
	v_cmp_eq_u32_e32 vcc_lo, 4, v21
	s_delay_alu instid0(VALU_DEP_2) | instskip(SKIP_1) | instid1(VALU_DEP_2)
	v_cndmask_b32_e32 v22, v22, v6, vcc_lo
	;; [unrolled: 5-line block ×8, first 2 shown]
	v_cmp_eq_u32_e32 vcc_lo, 17, v21
	v_cndmask_b32_e32 v21, v22, v19, vcc_lo
	s_wait_dscnt 0x0
	s_delay_alu instid0(VALU_DEP_1)
	v_fmac_f32_e32 v20, v21, v23
	v_cmpx_ne_u32_e32 4, v0
	s_cbranch_execz .LBB17_345
; %bb.338:
	v_add_nc_u32_e32 v21, 5, v0
	ds_load_b32 v23, v105 offset:20
	v_cmp_eq_u32_e32 vcc_lo, 1, v21
	v_cndmask_b32_e32 v22, v2, v3, vcc_lo
	v_cmp_eq_u32_e32 vcc_lo, 2, v21
	s_delay_alu instid0(VALU_DEP_2) | instskip(SKIP_1) | instid1(VALU_DEP_2)
	v_cndmask_b32_e32 v22, v22, v4, vcc_lo
	v_cmp_eq_u32_e32 vcc_lo, 3, v21
	v_cndmask_b32_e32 v22, v22, v5, vcc_lo
	v_cmp_eq_u32_e32 vcc_lo, 4, v21
	s_delay_alu instid0(VALU_DEP_2) | instskip(SKIP_1) | instid1(VALU_DEP_2)
	v_cndmask_b32_e32 v22, v22, v6, vcc_lo
	;; [unrolled: 5-line block ×8, first 2 shown]
	v_cmp_eq_u32_e32 vcc_lo, 17, v21
	v_cndmask_b32_e32 v21, v22, v19, vcc_lo
	s_wait_dscnt 0x0
	s_delay_alu instid0(VALU_DEP_1)
	v_fmac_f32_e32 v20, v21, v23
	s_and_saveexec_b32 s8, s1
	s_cbranch_execz .LBB17_344
; %bb.339:
	v_add_nc_u32_e32 v21, 6, v0
	ds_load_b32 v23, v105 offset:24
	s_mov_b32 s1, exec_lo
	v_cmp_eq_u32_e32 vcc_lo, 1, v21
	v_cndmask_b32_e32 v22, v2, v3, vcc_lo
	v_cmp_eq_u32_e32 vcc_lo, 2, v21
	s_delay_alu instid0(VALU_DEP_2) | instskip(SKIP_1) | instid1(VALU_DEP_2)
	v_cndmask_b32_e32 v22, v22, v4, vcc_lo
	v_cmp_eq_u32_e32 vcc_lo, 3, v21
	v_cndmask_b32_e32 v22, v22, v5, vcc_lo
	v_cmp_eq_u32_e32 vcc_lo, 4, v21
	s_delay_alu instid0(VALU_DEP_2) | instskip(SKIP_1) | instid1(VALU_DEP_2)
	v_cndmask_b32_e32 v22, v22, v6, vcc_lo
	;; [unrolled: 5-line block ×8, first 2 shown]
	v_cmp_eq_u32_e32 vcc_lo, 17, v21
	v_cndmask_b32_e32 v21, v22, v19, vcc_lo
	s_wait_dscnt 0x0
	s_delay_alu instid0(VALU_DEP_1)
	v_fmac_f32_e32 v20, v21, v23
	v_cmpx_ne_u32_e32 2, v0
	s_cbranch_execz .LBB17_343
; %bb.340:
	v_add_nc_u32_e32 v21, 7, v0
	s_delay_alu instid0(VALU_DEP_1) | instskip(SKIP_2) | instid1(VALU_DEP_2)
	v_cmp_eq_u32_e32 vcc_lo, 1, v21
	v_cndmask_b32_e32 v22, v2, v3, vcc_lo
	v_cmp_eq_u32_e32 vcc_lo, 2, v21
	v_cndmask_b32_e32 v22, v22, v4, vcc_lo
	v_cmp_eq_u32_e32 vcc_lo, 3, v21
	s_delay_alu instid0(VALU_DEP_2) | instskip(SKIP_1) | instid1(VALU_DEP_2)
	v_cndmask_b32_e32 v22, v22, v5, vcc_lo
	v_cmp_eq_u32_e32 vcc_lo, 4, v21
	v_cndmask_b32_e32 v22, v22, v6, vcc_lo
	v_cmp_eq_u32_e32 vcc_lo, 5, v21
	s_delay_alu instid0(VALU_DEP_2) | instskip(SKIP_1) | instid1(VALU_DEP_2)
	v_cndmask_b32_e32 v22, v22, v7, vcc_lo
	v_cmp_eq_u32_e32 vcc_lo, 6, v21
	v_cndmask_b32_e32 v22, v22, v8, vcc_lo
	v_cmp_eq_u32_e32 vcc_lo, 7, v21
	s_delay_alu instid0(VALU_DEP_2) | instskip(SKIP_1) | instid1(VALU_DEP_2)
	v_cndmask_b32_e32 v22, v22, v9, vcc_lo
	v_cmp_eq_u32_e32 vcc_lo, 8, v21
	v_cndmask_b32_e32 v22, v22, v10, vcc_lo
	v_cmp_eq_u32_e32 vcc_lo, 9, v21
	s_delay_alu instid0(VALU_DEP_2) | instskip(SKIP_4) | instid1(VALU_DEP_2)
	v_cndmask_b32_e32 v11, v22, v11, vcc_lo
	v_cmp_eq_u32_e32 vcc_lo, 10, v21
	ds_load_b32 v22, v105 offset:28
	v_cndmask_b32_e32 v11, v11, v12, vcc_lo
	v_cmp_eq_u32_e32 vcc_lo, 11, v21
	v_cndmask_b32_e32 v11, v11, v13, vcc_lo
	v_cmp_eq_u32_e32 vcc_lo, 12, v21
	s_delay_alu instid0(VALU_DEP_2) | instskip(SKIP_1) | instid1(VALU_DEP_2)
	v_cndmask_b32_e32 v11, v11, v14, vcc_lo
	v_cmp_eq_u32_e32 vcc_lo, 13, v21
	v_cndmask_b32_e32 v11, v11, v15, vcc_lo
	v_cmp_eq_u32_e32 vcc_lo, 14, v21
	s_delay_alu instid0(VALU_DEP_2) | instskip(SKIP_1) | instid1(VALU_DEP_2)
	;; [unrolled: 5-line block ×3, first 2 shown]
	v_cndmask_b32_e32 v11, v11, v18, vcc_lo
	v_cmp_eq_u32_e32 vcc_lo, 17, v21
	v_cndmask_b32_e32 v11, v11, v19, vcc_lo
	s_wait_dscnt 0x0
	s_delay_alu instid0(VALU_DEP_1)
	v_fmac_f32_e32 v20, v11, v22
	s_and_saveexec_b32 s9, s0
	s_cbranch_execz .LBB17_342
; %bb.341:
	ds_load_b32 v11, v105 offset:32
	s_wait_dscnt 0x0
	v_fmac_f32_e32 v20, v10, v11
.LBB17_342:
	s_or_b32 exec_lo, exec_lo, s9
.LBB17_343:
	s_delay_alu instid0(SALU_CYCLE_1)
	s_or_b32 exec_lo, exec_lo, s1
.LBB17_344:
	s_delay_alu instid0(SALU_CYCLE_1)
	s_or_b32 exec_lo, exec_lo, s8
.LBB17_345:
	s_delay_alu instid0(SALU_CYCLE_1)
	s_or_b32 exec_lo, exec_lo, s2
.LBB17_346:
	s_delay_alu instid0(SALU_CYCLE_1)
	s_or_b32 exec_lo, exec_lo, s7
.LBB17_347:
	s_delay_alu instid0(SALU_CYCLE_1)
	s_or_b32 exec_lo, exec_lo, s3
.LBB17_348:
	s_delay_alu instid0(SALU_CYCLE_1)
	s_or_b32 exec_lo, exec_lo, s6
.LBB17_349:
	s_delay_alu instid0(SALU_CYCLE_1)
	s_or_b32 exec_lo, exec_lo, s5
	v_mov_b32_e32 v11, 0
	ds_load_b32 v11, v11 offset:36
	s_wait_dscnt 0x0
	v_mul_f32_e32 v11, v20, v11
.LBB17_350:
	s_or_b32 exec_lo, exec_lo, s4
	s_delay_alu instid0(SALU_CYCLE_1)
	s_mov_b32 s0, exec_lo
	ds_store_b32 v105, v12
	s_wait_dscnt 0x0
	s_barrier_signal -1
	s_barrier_wait -1
	v_cmpx_gt_u32_e32 10, v0
	s_cbranch_execz .LBB17_360
; %bb.351:
	v_cmp_ne_u32_e32 vcc_lo, 1, v34
	s_cbranch_vccnz .LBB17_353
; %bb.352:
	v_cmp_eq_u32_e32 vcc_lo, 1, v0
	ds_load_b32 v21, v105
	v_cndmask_b32_e32 v20, v2, v3, vcc_lo
	v_cmp_eq_u32_e32 vcc_lo, 2, v0
	s_delay_alu instid0(VALU_DEP_2) | instskip(SKIP_1) | instid1(VALU_DEP_2)
	v_cndmask_b32_e32 v20, v20, v4, vcc_lo
	v_cmp_eq_u32_e32 vcc_lo, 3, v0
	v_cndmask_b32_e32 v20, v20, v5, vcc_lo
	v_cmp_eq_u32_e32 vcc_lo, 4, v0
	s_delay_alu instid0(VALU_DEP_2) | instskip(SKIP_1) | instid1(VALU_DEP_2)
	v_cndmask_b32_e32 v20, v20, v6, vcc_lo
	v_cmp_eq_u32_e32 vcc_lo, 5, v0
	;; [unrolled: 5-line block ×8, first 2 shown]
	v_cndmask_b32_e32 v20, v20, v19, vcc_lo
	s_wait_dscnt 0x0
	s_delay_alu instid0(VALU_DEP_1)
	v_mul_f32_e32 v22, v20, v21
	s_cbranch_execz .LBB17_354
	s_branch .LBB17_355
.LBB17_353:
                                        ; implicit-def: $vgpr22
.LBB17_354:
	ds_load_b32 v22, v105
.LBB17_355:
	s_mov_b32 s1, exec_lo
	v_cmpx_ne_u32_e32 9, v0
	s_cbranch_execz .LBB17_359
; %bb.356:
	v_mov_b64_e32 v[20:21], v[0:1]
	v_lshl_add_u32 v23, v0, 2, 0x54
	s_mov_b32 s2, 0
.LBB17_357:                             ; =>This Inner Loop Header: Depth=1
	s_delay_alu instid0(VALU_DEP_2)
	v_add_nc_u64_e32 v[20:21], 1, v[20:21]
	ds_load_b32 v25, v23
	v_add_nc_u32_e32 v23, 4, v23
	v_cmp_eq_u32_e32 vcc_lo, 1, v20
	v_cndmask_b32_e32 v24, v2, v3, vcc_lo
	v_cmp_eq_u32_e32 vcc_lo, 2, v20
	s_delay_alu instid0(VALU_DEP_2) | instskip(SKIP_1) | instid1(VALU_DEP_2)
	v_cndmask_b32_e32 v24, v24, v4, vcc_lo
	v_cmp_eq_u32_e32 vcc_lo, 3, v20
	v_cndmask_b32_e32 v24, v24, v5, vcc_lo
	v_cmp_eq_u32_e32 vcc_lo, 4, v20
	s_delay_alu instid0(VALU_DEP_2) | instskip(SKIP_1) | instid1(VALU_DEP_2)
	v_cndmask_b32_e32 v24, v24, v6, vcc_lo
	;; [unrolled: 5-line block ×8, first 2 shown]
	v_cmp_eq_u32_e32 vcc_lo, 17, v20
	v_cndmask_b32_e32 v24, v24, v19, vcc_lo
	v_cmp_lt_u32_e32 vcc_lo, 8, v20
	s_wait_dscnt 0x0
	s_delay_alu instid0(VALU_DEP_2) | instskip(SKIP_1) | instid1(SALU_CYCLE_1)
	v_fmac_f32_e32 v22, v24, v25
	s_or_b32 s2, vcc_lo, s2
	s_and_not1_b32 exec_lo, exec_lo, s2
	s_cbranch_execnz .LBB17_357
; %bb.358:
	s_or_b32 exec_lo, exec_lo, s2
.LBB17_359:
	s_delay_alu instid0(SALU_CYCLE_1)
	s_or_b32 exec_lo, exec_lo, s1
	v_mov_b32_e32 v12, 0
	ds_load_b32 v12, v12 offset:40
	s_wait_dscnt 0x0
	v_mul_f32_e32 v12, v22, v12
.LBB17_360:
	s_or_b32 exec_lo, exec_lo, s0
	s_delay_alu instid0(SALU_CYCLE_1)
	s_mov_b32 s0, exec_lo
	ds_store_b32 v105, v13
	s_wait_dscnt 0x0
	s_barrier_signal -1
	s_barrier_wait -1
	v_cmpx_gt_u32_e32 11, v0
	s_cbranch_execz .LBB17_370
; %bb.361:
	v_cmp_ne_u32_e32 vcc_lo, 1, v34
	s_cbranch_vccnz .LBB17_363
; %bb.362:
	v_cmp_eq_u32_e32 vcc_lo, 1, v0
	ds_load_b32 v21, v105
	v_cndmask_b32_e32 v20, v2, v3, vcc_lo
	v_cmp_eq_u32_e32 vcc_lo, 2, v0
	s_delay_alu instid0(VALU_DEP_2) | instskip(SKIP_1) | instid1(VALU_DEP_2)
	v_cndmask_b32_e32 v20, v20, v4, vcc_lo
	v_cmp_eq_u32_e32 vcc_lo, 3, v0
	v_cndmask_b32_e32 v20, v20, v5, vcc_lo
	v_cmp_eq_u32_e32 vcc_lo, 4, v0
	s_delay_alu instid0(VALU_DEP_2) | instskip(SKIP_1) | instid1(VALU_DEP_2)
	v_cndmask_b32_e32 v20, v20, v6, vcc_lo
	v_cmp_eq_u32_e32 vcc_lo, 5, v0
	;; [unrolled: 5-line block ×8, first 2 shown]
	v_cndmask_b32_e32 v20, v20, v19, vcc_lo
	s_wait_dscnt 0x0
	s_delay_alu instid0(VALU_DEP_1)
	v_mul_f32_e32 v22, v20, v21
	s_cbranch_execz .LBB17_364
	s_branch .LBB17_365
.LBB17_363:
                                        ; implicit-def: $vgpr22
.LBB17_364:
	ds_load_b32 v22, v105
.LBB17_365:
	s_mov_b32 s1, exec_lo
	v_cmpx_ne_u32_e32 10, v0
	s_cbranch_execz .LBB17_369
; %bb.366:
	v_mov_b64_e32 v[20:21], v[0:1]
	v_lshl_add_u32 v23, v0, 2, 0x54
	s_mov_b32 s2, 0
.LBB17_367:                             ; =>This Inner Loop Header: Depth=1
	s_delay_alu instid0(VALU_DEP_2)
	v_add_nc_u64_e32 v[20:21], 1, v[20:21]
	ds_load_b32 v25, v23
	v_add_nc_u32_e32 v23, 4, v23
	v_cmp_eq_u32_e32 vcc_lo, 1, v20
	v_cndmask_b32_e32 v24, v2, v3, vcc_lo
	v_cmp_eq_u32_e32 vcc_lo, 2, v20
	s_delay_alu instid0(VALU_DEP_2) | instskip(SKIP_1) | instid1(VALU_DEP_2)
	v_cndmask_b32_e32 v24, v24, v4, vcc_lo
	v_cmp_eq_u32_e32 vcc_lo, 3, v20
	v_cndmask_b32_e32 v24, v24, v5, vcc_lo
	v_cmp_eq_u32_e32 vcc_lo, 4, v20
	s_delay_alu instid0(VALU_DEP_2) | instskip(SKIP_1) | instid1(VALU_DEP_2)
	v_cndmask_b32_e32 v24, v24, v6, vcc_lo
	;; [unrolled: 5-line block ×8, first 2 shown]
	v_cmp_eq_u32_e32 vcc_lo, 17, v20
	v_cndmask_b32_e32 v24, v24, v19, vcc_lo
	v_cmp_lt_u32_e32 vcc_lo, 9, v20
	s_wait_dscnt 0x0
	s_delay_alu instid0(VALU_DEP_2) | instskip(SKIP_1) | instid1(SALU_CYCLE_1)
	v_fmac_f32_e32 v22, v24, v25
	s_or_b32 s2, vcc_lo, s2
	s_and_not1_b32 exec_lo, exec_lo, s2
	s_cbranch_execnz .LBB17_367
; %bb.368:
	s_or_b32 exec_lo, exec_lo, s2
.LBB17_369:
	s_delay_alu instid0(SALU_CYCLE_1)
	s_or_b32 exec_lo, exec_lo, s1
	v_mov_b32_e32 v13, 0
	ds_load_b32 v13, v13 offset:44
	s_wait_dscnt 0x0
	v_mul_f32_e32 v13, v22, v13
.LBB17_370:
	s_or_b32 exec_lo, exec_lo, s0
	s_delay_alu instid0(SALU_CYCLE_1)
	s_mov_b32 s0, exec_lo
	ds_store_b32 v105, v14
	s_wait_dscnt 0x0
	s_barrier_signal -1
	s_barrier_wait -1
	v_cmpx_gt_u32_e32 12, v0
	s_cbranch_execz .LBB17_380
; %bb.371:
	v_cmp_ne_u32_e32 vcc_lo, 1, v34
	s_cbranch_vccnz .LBB17_373
; %bb.372:
	v_cmp_eq_u32_e32 vcc_lo, 1, v0
	ds_load_b32 v21, v105
	v_cndmask_b32_e32 v20, v2, v3, vcc_lo
	v_cmp_eq_u32_e32 vcc_lo, 2, v0
	s_delay_alu instid0(VALU_DEP_2) | instskip(SKIP_1) | instid1(VALU_DEP_2)
	v_cndmask_b32_e32 v20, v20, v4, vcc_lo
	v_cmp_eq_u32_e32 vcc_lo, 3, v0
	v_cndmask_b32_e32 v20, v20, v5, vcc_lo
	v_cmp_eq_u32_e32 vcc_lo, 4, v0
	s_delay_alu instid0(VALU_DEP_2) | instskip(SKIP_1) | instid1(VALU_DEP_2)
	v_cndmask_b32_e32 v20, v20, v6, vcc_lo
	v_cmp_eq_u32_e32 vcc_lo, 5, v0
	;; [unrolled: 5-line block ×8, first 2 shown]
	v_cndmask_b32_e32 v20, v20, v19, vcc_lo
	s_wait_dscnt 0x0
	s_delay_alu instid0(VALU_DEP_1)
	v_mul_f32_e32 v22, v20, v21
	s_cbranch_execz .LBB17_374
	s_branch .LBB17_375
.LBB17_373:
                                        ; implicit-def: $vgpr22
.LBB17_374:
	ds_load_b32 v22, v105
.LBB17_375:
	s_mov_b32 s1, exec_lo
	v_cmpx_ne_u32_e32 11, v0
	s_cbranch_execz .LBB17_379
; %bb.376:
	v_mov_b64_e32 v[20:21], v[0:1]
	v_lshl_add_u32 v23, v0, 2, 0x54
	s_mov_b32 s2, 0
.LBB17_377:                             ; =>This Inner Loop Header: Depth=1
	s_delay_alu instid0(VALU_DEP_2)
	v_add_nc_u64_e32 v[20:21], 1, v[20:21]
	ds_load_b32 v25, v23
	v_add_nc_u32_e32 v23, 4, v23
	v_cmp_eq_u32_e32 vcc_lo, 1, v20
	v_cndmask_b32_e32 v24, v2, v3, vcc_lo
	v_cmp_eq_u32_e32 vcc_lo, 2, v20
	s_delay_alu instid0(VALU_DEP_2) | instskip(SKIP_1) | instid1(VALU_DEP_2)
	v_cndmask_b32_e32 v24, v24, v4, vcc_lo
	v_cmp_eq_u32_e32 vcc_lo, 3, v20
	v_cndmask_b32_e32 v24, v24, v5, vcc_lo
	v_cmp_eq_u32_e32 vcc_lo, 4, v20
	s_delay_alu instid0(VALU_DEP_2) | instskip(SKIP_1) | instid1(VALU_DEP_2)
	v_cndmask_b32_e32 v24, v24, v6, vcc_lo
	;; [unrolled: 5-line block ×8, first 2 shown]
	v_cmp_eq_u32_e32 vcc_lo, 17, v20
	v_cndmask_b32_e32 v24, v24, v19, vcc_lo
	v_cmp_lt_u32_e32 vcc_lo, 10, v20
	s_wait_dscnt 0x0
	s_delay_alu instid0(VALU_DEP_2) | instskip(SKIP_1) | instid1(SALU_CYCLE_1)
	v_fmac_f32_e32 v22, v24, v25
	s_or_b32 s2, vcc_lo, s2
	s_and_not1_b32 exec_lo, exec_lo, s2
	s_cbranch_execnz .LBB17_377
; %bb.378:
	s_or_b32 exec_lo, exec_lo, s2
.LBB17_379:
	s_delay_alu instid0(SALU_CYCLE_1)
	s_or_b32 exec_lo, exec_lo, s1
	v_mov_b32_e32 v14, 0
	ds_load_b32 v14, v14 offset:48
	s_wait_dscnt 0x0
	v_mul_f32_e32 v14, v22, v14
.LBB17_380:
	s_or_b32 exec_lo, exec_lo, s0
	s_delay_alu instid0(SALU_CYCLE_1)
	s_mov_b32 s0, exec_lo
	ds_store_b32 v105, v15
	s_wait_dscnt 0x0
	s_barrier_signal -1
	s_barrier_wait -1
	v_cmpx_gt_u32_e32 13, v0
	s_cbranch_execz .LBB17_390
; %bb.381:
	v_cmp_ne_u32_e32 vcc_lo, 1, v34
	s_cbranch_vccnz .LBB17_383
; %bb.382:
	v_cmp_eq_u32_e32 vcc_lo, 1, v0
	ds_load_b32 v21, v105
	v_cndmask_b32_e32 v20, v2, v3, vcc_lo
	v_cmp_eq_u32_e32 vcc_lo, 2, v0
	s_delay_alu instid0(VALU_DEP_2) | instskip(SKIP_1) | instid1(VALU_DEP_2)
	v_cndmask_b32_e32 v20, v20, v4, vcc_lo
	v_cmp_eq_u32_e32 vcc_lo, 3, v0
	v_cndmask_b32_e32 v20, v20, v5, vcc_lo
	v_cmp_eq_u32_e32 vcc_lo, 4, v0
	s_delay_alu instid0(VALU_DEP_2) | instskip(SKIP_1) | instid1(VALU_DEP_2)
	v_cndmask_b32_e32 v20, v20, v6, vcc_lo
	v_cmp_eq_u32_e32 vcc_lo, 5, v0
	;; [unrolled: 5-line block ×8, first 2 shown]
	v_cndmask_b32_e32 v20, v20, v19, vcc_lo
	s_wait_dscnt 0x0
	s_delay_alu instid0(VALU_DEP_1)
	v_mul_f32_e32 v22, v20, v21
	s_cbranch_execz .LBB17_384
	s_branch .LBB17_385
.LBB17_383:
                                        ; implicit-def: $vgpr22
.LBB17_384:
	ds_load_b32 v22, v105
.LBB17_385:
	s_mov_b32 s1, exec_lo
	v_cmpx_ne_u32_e32 12, v0
	s_cbranch_execz .LBB17_389
; %bb.386:
	v_mov_b64_e32 v[20:21], v[0:1]
	v_lshl_add_u32 v23, v0, 2, 0x54
	s_mov_b32 s2, 0
.LBB17_387:                             ; =>This Inner Loop Header: Depth=1
	s_delay_alu instid0(VALU_DEP_2)
	v_add_nc_u64_e32 v[20:21], 1, v[20:21]
	ds_load_b32 v25, v23
	v_add_nc_u32_e32 v23, 4, v23
	v_cmp_eq_u32_e32 vcc_lo, 1, v20
	v_cndmask_b32_e32 v24, v2, v3, vcc_lo
	v_cmp_eq_u32_e32 vcc_lo, 2, v20
	s_delay_alu instid0(VALU_DEP_2) | instskip(SKIP_1) | instid1(VALU_DEP_2)
	v_cndmask_b32_e32 v24, v24, v4, vcc_lo
	v_cmp_eq_u32_e32 vcc_lo, 3, v20
	v_cndmask_b32_e32 v24, v24, v5, vcc_lo
	v_cmp_eq_u32_e32 vcc_lo, 4, v20
	s_delay_alu instid0(VALU_DEP_2) | instskip(SKIP_1) | instid1(VALU_DEP_2)
	v_cndmask_b32_e32 v24, v24, v6, vcc_lo
	;; [unrolled: 5-line block ×8, first 2 shown]
	v_cmp_eq_u32_e32 vcc_lo, 17, v20
	v_cndmask_b32_e32 v24, v24, v19, vcc_lo
	v_cmp_lt_u32_e32 vcc_lo, 11, v20
	s_wait_dscnt 0x0
	s_delay_alu instid0(VALU_DEP_2) | instskip(SKIP_1) | instid1(SALU_CYCLE_1)
	v_fmac_f32_e32 v22, v24, v25
	s_or_b32 s2, vcc_lo, s2
	s_and_not1_b32 exec_lo, exec_lo, s2
	s_cbranch_execnz .LBB17_387
; %bb.388:
	s_or_b32 exec_lo, exec_lo, s2
.LBB17_389:
	s_delay_alu instid0(SALU_CYCLE_1)
	s_or_b32 exec_lo, exec_lo, s1
	v_mov_b32_e32 v15, 0
	ds_load_b32 v15, v15 offset:52
	s_wait_dscnt 0x0
	v_mul_f32_e32 v15, v22, v15
.LBB17_390:
	s_or_b32 exec_lo, exec_lo, s0
	s_delay_alu instid0(SALU_CYCLE_1)
	s_mov_b32 s0, exec_lo
	ds_store_b32 v105, v16
	s_wait_dscnt 0x0
	s_barrier_signal -1
	s_barrier_wait -1
	v_cmpx_gt_u32_e32 14, v0
	s_cbranch_execz .LBB17_400
; %bb.391:
	v_cmp_ne_u32_e32 vcc_lo, 1, v34
	s_cbranch_vccnz .LBB17_393
; %bb.392:
	v_cmp_eq_u32_e32 vcc_lo, 1, v0
	ds_load_b32 v21, v105
	v_cndmask_b32_e32 v20, v2, v3, vcc_lo
	v_cmp_eq_u32_e32 vcc_lo, 2, v0
	s_delay_alu instid0(VALU_DEP_2) | instskip(SKIP_1) | instid1(VALU_DEP_2)
	v_cndmask_b32_e32 v20, v20, v4, vcc_lo
	v_cmp_eq_u32_e32 vcc_lo, 3, v0
	v_cndmask_b32_e32 v20, v20, v5, vcc_lo
	v_cmp_eq_u32_e32 vcc_lo, 4, v0
	s_delay_alu instid0(VALU_DEP_2) | instskip(SKIP_1) | instid1(VALU_DEP_2)
	v_cndmask_b32_e32 v20, v20, v6, vcc_lo
	v_cmp_eq_u32_e32 vcc_lo, 5, v0
	;; [unrolled: 5-line block ×8, first 2 shown]
	v_cndmask_b32_e32 v20, v20, v19, vcc_lo
	s_wait_dscnt 0x0
	s_delay_alu instid0(VALU_DEP_1)
	v_mul_f32_e32 v22, v20, v21
	s_cbranch_execz .LBB17_394
	s_branch .LBB17_395
.LBB17_393:
                                        ; implicit-def: $vgpr22
.LBB17_394:
	ds_load_b32 v22, v105
.LBB17_395:
	s_mov_b32 s1, exec_lo
	v_cmpx_ne_u32_e32 13, v0
	s_cbranch_execz .LBB17_399
; %bb.396:
	v_mov_b64_e32 v[20:21], v[0:1]
	v_lshl_add_u32 v23, v0, 2, 0x54
	s_mov_b32 s2, 0
.LBB17_397:                             ; =>This Inner Loop Header: Depth=1
	s_delay_alu instid0(VALU_DEP_2)
	v_add_nc_u64_e32 v[20:21], 1, v[20:21]
	ds_load_b32 v25, v23
	v_add_nc_u32_e32 v23, 4, v23
	v_cmp_eq_u32_e32 vcc_lo, 1, v20
	v_cndmask_b32_e32 v24, v2, v3, vcc_lo
	v_cmp_eq_u32_e32 vcc_lo, 2, v20
	s_delay_alu instid0(VALU_DEP_2) | instskip(SKIP_1) | instid1(VALU_DEP_2)
	v_cndmask_b32_e32 v24, v24, v4, vcc_lo
	v_cmp_eq_u32_e32 vcc_lo, 3, v20
	v_cndmask_b32_e32 v24, v24, v5, vcc_lo
	v_cmp_eq_u32_e32 vcc_lo, 4, v20
	s_delay_alu instid0(VALU_DEP_2) | instskip(SKIP_1) | instid1(VALU_DEP_2)
	v_cndmask_b32_e32 v24, v24, v6, vcc_lo
	v_cmp_eq_u32_e32 vcc_lo, 5, v20
	v_cndmask_b32_e32 v24, v24, v7, vcc_lo
	v_cmp_eq_u32_e32 vcc_lo, 6, v20
	s_delay_alu instid0(VALU_DEP_2) | instskip(SKIP_1) | instid1(VALU_DEP_2)
	v_cndmask_b32_e32 v24, v24, v8, vcc_lo
	v_cmp_eq_u32_e32 vcc_lo, 7, v20
	v_cndmask_b32_e32 v24, v24, v9, vcc_lo
	v_cmp_eq_u32_e32 vcc_lo, 8, v20
	s_delay_alu instid0(VALU_DEP_2) | instskip(SKIP_1) | instid1(VALU_DEP_2)
	v_cndmask_b32_e32 v24, v24, v10, vcc_lo
	v_cmp_eq_u32_e32 vcc_lo, 9, v20
	v_cndmask_b32_e32 v24, v24, v11, vcc_lo
	v_cmp_eq_u32_e32 vcc_lo, 10, v20
	s_delay_alu instid0(VALU_DEP_2) | instskip(SKIP_1) | instid1(VALU_DEP_2)
	v_cndmask_b32_e32 v24, v24, v12, vcc_lo
	v_cmp_eq_u32_e32 vcc_lo, 11, v20
	v_cndmask_b32_e32 v24, v24, v13, vcc_lo
	v_cmp_eq_u32_e32 vcc_lo, 12, v20
	s_delay_alu instid0(VALU_DEP_2) | instskip(SKIP_1) | instid1(VALU_DEP_2)
	v_cndmask_b32_e32 v24, v24, v14, vcc_lo
	v_cmp_eq_u32_e32 vcc_lo, 13, v20
	v_cndmask_b32_e32 v24, v24, v15, vcc_lo
	v_cmp_eq_u32_e32 vcc_lo, 14, v20
	s_delay_alu instid0(VALU_DEP_2) | instskip(SKIP_1) | instid1(VALU_DEP_2)
	v_cndmask_b32_e32 v24, v24, v16, vcc_lo
	v_cmp_eq_u32_e32 vcc_lo, 15, v20
	v_cndmask_b32_e32 v24, v24, v17, vcc_lo
	v_cmp_eq_u32_e32 vcc_lo, 16, v20
	s_delay_alu instid0(VALU_DEP_2) | instskip(SKIP_1) | instid1(VALU_DEP_2)
	v_cndmask_b32_e32 v24, v24, v18, vcc_lo
	v_cmp_eq_u32_e32 vcc_lo, 17, v20
	v_cndmask_b32_e32 v24, v24, v19, vcc_lo
	v_cmp_lt_u32_e32 vcc_lo, 12, v20
	s_wait_dscnt 0x0
	s_delay_alu instid0(VALU_DEP_2) | instskip(SKIP_1) | instid1(SALU_CYCLE_1)
	v_fmac_f32_e32 v22, v24, v25
	s_or_b32 s2, vcc_lo, s2
	s_and_not1_b32 exec_lo, exec_lo, s2
	s_cbranch_execnz .LBB17_397
; %bb.398:
	s_or_b32 exec_lo, exec_lo, s2
.LBB17_399:
	s_delay_alu instid0(SALU_CYCLE_1)
	s_or_b32 exec_lo, exec_lo, s1
	v_mov_b32_e32 v16, 0
	ds_load_b32 v16, v16 offset:56
	s_wait_dscnt 0x0
	v_mul_f32_e32 v16, v22, v16
.LBB17_400:
	s_or_b32 exec_lo, exec_lo, s0
	s_delay_alu instid0(SALU_CYCLE_1)
	s_mov_b32 s0, exec_lo
	ds_store_b32 v105, v17
	s_wait_dscnt 0x0
	s_barrier_signal -1
	s_barrier_wait -1
	v_cmpx_gt_u32_e32 15, v0
	s_cbranch_execz .LBB17_410
; %bb.401:
	v_cmp_ne_u32_e32 vcc_lo, 1, v34
	s_cbranch_vccnz .LBB17_403
; %bb.402:
	v_cmp_eq_u32_e32 vcc_lo, 1, v0
	ds_load_b32 v21, v105
	v_cndmask_b32_e32 v20, v2, v3, vcc_lo
	v_cmp_eq_u32_e32 vcc_lo, 2, v0
	s_delay_alu instid0(VALU_DEP_2) | instskip(SKIP_1) | instid1(VALU_DEP_2)
	v_cndmask_b32_e32 v20, v20, v4, vcc_lo
	v_cmp_eq_u32_e32 vcc_lo, 3, v0
	v_cndmask_b32_e32 v20, v20, v5, vcc_lo
	v_cmp_eq_u32_e32 vcc_lo, 4, v0
	s_delay_alu instid0(VALU_DEP_2) | instskip(SKIP_1) | instid1(VALU_DEP_2)
	v_cndmask_b32_e32 v20, v20, v6, vcc_lo
	v_cmp_eq_u32_e32 vcc_lo, 5, v0
	;; [unrolled: 5-line block ×8, first 2 shown]
	v_cndmask_b32_e32 v20, v20, v19, vcc_lo
	s_wait_dscnt 0x0
	s_delay_alu instid0(VALU_DEP_1)
	v_mul_f32_e32 v22, v20, v21
	s_cbranch_execz .LBB17_404
	s_branch .LBB17_405
.LBB17_403:
                                        ; implicit-def: $vgpr22
.LBB17_404:
	ds_load_b32 v22, v105
.LBB17_405:
	s_mov_b32 s1, exec_lo
	v_cmpx_ne_u32_e32 14, v0
	s_cbranch_execz .LBB17_409
; %bb.406:
	v_mov_b64_e32 v[20:21], v[0:1]
	v_lshl_add_u32 v23, v0, 2, 0x54
	s_mov_b32 s2, 0
.LBB17_407:                             ; =>This Inner Loop Header: Depth=1
	s_delay_alu instid0(VALU_DEP_2)
	v_add_nc_u64_e32 v[20:21], 1, v[20:21]
	ds_load_b32 v25, v23
	v_add_nc_u32_e32 v23, 4, v23
	v_cmp_eq_u32_e32 vcc_lo, 1, v20
	v_cndmask_b32_e32 v24, v2, v3, vcc_lo
	v_cmp_eq_u32_e32 vcc_lo, 2, v20
	s_delay_alu instid0(VALU_DEP_2) | instskip(SKIP_1) | instid1(VALU_DEP_2)
	v_cndmask_b32_e32 v24, v24, v4, vcc_lo
	v_cmp_eq_u32_e32 vcc_lo, 3, v20
	v_cndmask_b32_e32 v24, v24, v5, vcc_lo
	v_cmp_eq_u32_e32 vcc_lo, 4, v20
	s_delay_alu instid0(VALU_DEP_2) | instskip(SKIP_1) | instid1(VALU_DEP_2)
	v_cndmask_b32_e32 v24, v24, v6, vcc_lo
	;; [unrolled: 5-line block ×8, first 2 shown]
	v_cmp_eq_u32_e32 vcc_lo, 17, v20
	v_cndmask_b32_e32 v24, v24, v19, vcc_lo
	v_cmp_lt_u32_e32 vcc_lo, 13, v20
	s_wait_dscnt 0x0
	s_delay_alu instid0(VALU_DEP_2) | instskip(SKIP_1) | instid1(SALU_CYCLE_1)
	v_fmac_f32_e32 v22, v24, v25
	s_or_b32 s2, vcc_lo, s2
	s_and_not1_b32 exec_lo, exec_lo, s2
	s_cbranch_execnz .LBB17_407
; %bb.408:
	s_or_b32 exec_lo, exec_lo, s2
.LBB17_409:
	s_delay_alu instid0(SALU_CYCLE_1)
	s_or_b32 exec_lo, exec_lo, s1
	v_mov_b32_e32 v17, 0
	ds_load_b32 v17, v17 offset:60
	s_wait_dscnt 0x0
	v_mul_f32_e32 v17, v22, v17
.LBB17_410:
	s_or_b32 exec_lo, exec_lo, s0
	v_cmp_gt_u32_e64 s0, 16, v0
	ds_store_b32 v105, v18
	s_wait_dscnt 0x0
	s_barrier_signal -1
	s_barrier_wait -1
	s_and_saveexec_b32 s1, s0
	s_cbranch_execz .LBB17_420
; %bb.411:
	v_cmp_ne_u32_e32 vcc_lo, 1, v34
	s_cbranch_vccnz .LBB17_413
; %bb.412:
	v_cmp_eq_u32_e32 vcc_lo, 1, v0
	ds_load_b32 v21, v105
	v_cndmask_b32_e32 v20, v2, v3, vcc_lo
	v_cmp_eq_u32_e32 vcc_lo, 2, v0
	s_delay_alu instid0(VALU_DEP_2) | instskip(SKIP_1) | instid1(VALU_DEP_2)
	v_cndmask_b32_e32 v20, v20, v4, vcc_lo
	v_cmp_eq_u32_e32 vcc_lo, 3, v0
	v_cndmask_b32_e32 v20, v20, v5, vcc_lo
	v_cmp_eq_u32_e32 vcc_lo, 4, v0
	s_delay_alu instid0(VALU_DEP_2) | instskip(SKIP_1) | instid1(VALU_DEP_2)
	v_cndmask_b32_e32 v20, v20, v6, vcc_lo
	v_cmp_eq_u32_e32 vcc_lo, 5, v0
	v_cndmask_b32_e32 v20, v20, v7, vcc_lo
	v_cmp_eq_u32_e32 vcc_lo, 6, v0
	s_delay_alu instid0(VALU_DEP_2) | instskip(SKIP_1) | instid1(VALU_DEP_2)
	v_cndmask_b32_e32 v20, v20, v8, vcc_lo
	v_cmp_eq_u32_e32 vcc_lo, 7, v0
	v_cndmask_b32_e32 v20, v20, v9, vcc_lo
	v_cmp_eq_u32_e32 vcc_lo, 8, v0
	s_delay_alu instid0(VALU_DEP_2) | instskip(SKIP_1) | instid1(VALU_DEP_2)
	v_cndmask_b32_e32 v20, v20, v10, vcc_lo
	v_cmp_eq_u32_e32 vcc_lo, 9, v0
	v_cndmask_b32_e32 v20, v20, v11, vcc_lo
	v_cmp_eq_u32_e32 vcc_lo, 10, v0
	s_delay_alu instid0(VALU_DEP_2) | instskip(SKIP_1) | instid1(VALU_DEP_2)
	v_cndmask_b32_e32 v20, v20, v12, vcc_lo
	v_cmp_eq_u32_e32 vcc_lo, 11, v0
	v_cndmask_b32_e32 v20, v20, v13, vcc_lo
	v_cmp_eq_u32_e32 vcc_lo, 12, v0
	s_delay_alu instid0(VALU_DEP_2) | instskip(SKIP_1) | instid1(VALU_DEP_2)
	v_cndmask_b32_e32 v20, v20, v14, vcc_lo
	v_cmp_eq_u32_e32 vcc_lo, 13, v0
	v_cndmask_b32_e32 v20, v20, v15, vcc_lo
	v_cmp_eq_u32_e32 vcc_lo, 14, v0
	s_delay_alu instid0(VALU_DEP_2) | instskip(SKIP_1) | instid1(VALU_DEP_2)
	v_cndmask_b32_e32 v20, v20, v16, vcc_lo
	v_cmp_eq_u32_e32 vcc_lo, 15, v0
	v_cndmask_b32_e32 v20, v20, v17, vcc_lo
	v_cmp_eq_u32_e32 vcc_lo, 16, v0
	s_delay_alu instid0(VALU_DEP_2) | instskip(SKIP_1) | instid1(VALU_DEP_2)
	v_cndmask_b32_e32 v20, v20, v18, vcc_lo
	v_cmp_eq_u32_e32 vcc_lo, 17, v0
	v_cndmask_b32_e32 v20, v20, v19, vcc_lo
	s_wait_dscnt 0x0
	s_delay_alu instid0(VALU_DEP_1)
	v_mul_f32_e32 v22, v20, v21
	s_cbranch_execz .LBB17_414
	s_branch .LBB17_415
.LBB17_413:
                                        ; implicit-def: $vgpr22
.LBB17_414:
	ds_load_b32 v22, v105
.LBB17_415:
	s_mov_b32 s2, exec_lo
	v_cmpx_ne_u32_e32 15, v0
	s_cbranch_execz .LBB17_419
; %bb.416:
	v_mov_b64_e32 v[20:21], v[0:1]
	v_lshl_add_u32 v23, v0, 2, 0x54
	s_mov_b32 s3, 0
.LBB17_417:                             ; =>This Inner Loop Header: Depth=1
	s_delay_alu instid0(VALU_DEP_2)
	v_add_nc_u64_e32 v[20:21], 1, v[20:21]
	ds_load_b32 v25, v23
	v_add_nc_u32_e32 v23, 4, v23
	v_cmp_eq_u32_e32 vcc_lo, 1, v20
	v_cndmask_b32_e32 v24, v2, v3, vcc_lo
	v_cmp_eq_u32_e32 vcc_lo, 2, v20
	s_delay_alu instid0(VALU_DEP_2) | instskip(SKIP_1) | instid1(VALU_DEP_2)
	v_cndmask_b32_e32 v24, v24, v4, vcc_lo
	v_cmp_eq_u32_e32 vcc_lo, 3, v20
	v_cndmask_b32_e32 v24, v24, v5, vcc_lo
	v_cmp_eq_u32_e32 vcc_lo, 4, v20
	s_delay_alu instid0(VALU_DEP_2) | instskip(SKIP_1) | instid1(VALU_DEP_2)
	v_cndmask_b32_e32 v24, v24, v6, vcc_lo
	;; [unrolled: 5-line block ×8, first 2 shown]
	v_cmp_eq_u32_e32 vcc_lo, 17, v20
	v_cndmask_b32_e32 v24, v24, v19, vcc_lo
	v_cmp_lt_u32_e32 vcc_lo, 14, v20
	s_wait_dscnt 0x0
	s_delay_alu instid0(VALU_DEP_2) | instskip(SKIP_1) | instid1(SALU_CYCLE_1)
	v_fmac_f32_e32 v22, v24, v25
	s_or_b32 s3, vcc_lo, s3
	s_and_not1_b32 exec_lo, exec_lo, s3
	s_cbranch_execnz .LBB17_417
; %bb.418:
	s_or_b32 exec_lo, exec_lo, s3
.LBB17_419:
	s_delay_alu instid0(SALU_CYCLE_1)
	s_or_b32 exec_lo, exec_lo, s2
	v_mov_b32_e32 v18, 0
	ds_load_b32 v18, v18 offset:64
	s_wait_dscnt 0x0
	v_mul_f32_e32 v18, v22, v18
.LBB17_420:
	s_or_b32 exec_lo, exec_lo, s1
	s_delay_alu instid0(SALU_CYCLE_1)
	s_mov_b32 s1, exec_lo
	ds_store_b32 v105, v19
	s_wait_dscnt 0x0
	s_barrier_signal -1
	s_barrier_wait -1
	v_cmpx_ne_u32_e32 17, v0
	s_cbranch_execz .LBB17_430
; %bb.421:
	v_cmp_ne_u32_e32 vcc_lo, 1, v34
	s_cbranch_vccnz .LBB17_423
; %bb.422:
	v_cmp_eq_u32_e32 vcc_lo, 1, v0
	ds_load_b32 v21, v105
	v_cndmask_b32_e32 v20, v2, v3, vcc_lo
	v_cmp_eq_u32_e32 vcc_lo, 2, v0
	s_delay_alu instid0(VALU_DEP_2) | instskip(SKIP_1) | instid1(VALU_DEP_2)
	v_cndmask_b32_e32 v20, v20, v4, vcc_lo
	v_cmp_eq_u32_e32 vcc_lo, 3, v0
	v_cndmask_b32_e32 v20, v20, v5, vcc_lo
	v_cmp_eq_u32_e32 vcc_lo, 4, v0
	s_delay_alu instid0(VALU_DEP_2) | instskip(SKIP_1) | instid1(VALU_DEP_2)
	v_cndmask_b32_e32 v20, v20, v6, vcc_lo
	v_cmp_eq_u32_e32 vcc_lo, 5, v0
	;; [unrolled: 5-line block ×8, first 2 shown]
	v_cndmask_b32_e32 v20, v20, v19, vcc_lo
	s_wait_dscnt 0x0
	s_delay_alu instid0(VALU_DEP_1)
	v_mul_f32_e32 v20, v20, v21
	s_cbranch_execz .LBB17_424
	s_branch .LBB17_425
.LBB17_423:
                                        ; implicit-def: $vgpr20
.LBB17_424:
	ds_load_b32 v20, v105
.LBB17_425:
	s_and_saveexec_b32 s2, s0
	s_cbranch_execz .LBB17_429
; %bb.426:
	v_lshl_add_u32 v21, v0, 2, 0x54
	s_mov_b32 s0, 0
.LBB17_427:                             ; =>This Inner Loop Header: Depth=1
	v_add_nc_u64_e32 v[0:1], 1, v[0:1]
	ds_load_b32 v23, v21
	v_add_nc_u32_e32 v21, 4, v21
	v_cmp_eq_u32_e32 vcc_lo, 1, v0
	v_cndmask_b32_e32 v22, v2, v3, vcc_lo
	v_cmp_eq_u32_e32 vcc_lo, 2, v0
	s_delay_alu instid0(VALU_DEP_2) | instskip(SKIP_1) | instid1(VALU_DEP_2)
	v_cndmask_b32_e32 v22, v22, v4, vcc_lo
	v_cmp_eq_u32_e32 vcc_lo, 3, v0
	v_cndmask_b32_e32 v22, v22, v5, vcc_lo
	v_cmp_eq_u32_e32 vcc_lo, 4, v0
	s_delay_alu instid0(VALU_DEP_2) | instskip(SKIP_1) | instid1(VALU_DEP_2)
	v_cndmask_b32_e32 v22, v22, v6, vcc_lo
	;; [unrolled: 5-line block ×8, first 2 shown]
	v_cmp_eq_u32_e32 vcc_lo, 17, v0
	v_cndmask_b32_e32 v22, v22, v19, vcc_lo
	v_cmp_lt_u32_e32 vcc_lo, 15, v0
	s_wait_dscnt 0x0
	s_delay_alu instid0(VALU_DEP_2) | instskip(SKIP_1) | instid1(SALU_CYCLE_1)
	v_fmac_f32_e32 v20, v22, v23
	s_or_b32 s0, vcc_lo, s0
	s_and_not1_b32 exec_lo, exec_lo, s0
	s_cbranch_execnz .LBB17_427
; %bb.428:
	s_or_b32 exec_lo, exec_lo, s0
.LBB17_429:
	s_delay_alu instid0(SALU_CYCLE_1)
	s_or_b32 exec_lo, exec_lo, s2
	v_mov_b32_e32 v0, 0
	ds_load_b32 v0, v0 offset:68
	s_wait_dscnt 0x0
	v_mul_f32_e32 v19, v20, v0
.LBB17_430:
	s_or_b32 exec_lo, exec_lo, s1
	v_mov_b64_e32 v[64:65], v[32:33]
	s_delay_alu instid0(VALU_DEP_2)
	v_mov_b64_e32 v[50:51], v[18:19]
	v_mov_b64_e32 v[48:49], v[16:17]
	v_mov_b64_e32 v[46:47], v[14:15]
	v_mov_b64_e32 v[44:45], v[12:13]
	v_mov_b64_e32 v[42:43], v[10:11]
	v_mov_b64_e32 v[40:41], v[8:9]
	v_mov_b64_e32 v[38:39], v[6:7]
	v_mov_b64_e32 v[36:37], v[4:5]
	v_mov_b64_e32 v[34:35], v[2:3]
	v_mov_b64_e32 v[62:63], v[30:31]
	v_mov_b64_e32 v[60:61], v[28:29]
	v_mov_b64_e32 v[58:59], v[26:27]
	v_mov_b64_e32 v[56:57], v[24:25]
	v_mov_b64_e32 v[54:55], v[22:23]
	v_mov_b64_e32 v[52:53], v[20:21]
.LBB17_431:
	s_wait_xcnt 0x1
	v_lshl_add_u64 v[0:1], v[66:67], 2, s[18:19]
	s_wait_loadcnt 0x1
	v_lshl_add_u64 v[2:3], v[68:69], 2, s[18:19]
	v_lshl_add_u64 v[4:5], v[70:71], 2, s[18:19]
	;; [unrolled: 1-line block ×8, first 2 shown]
	s_wait_loadcnt 0x0
	v_lshl_add_u64 v[18:19], v[84:85], 2, s[18:19]
	v_lshl_add_u64 v[20:21], v[88:89], 2, s[18:19]
	;; [unrolled: 1-line block ×7, first 2 shown]
	s_clause 0x11
	global_store_b32 v[86:87], v34, off
	global_store_b32 v[92:93], v35, off
	;; [unrolled: 1-line block ×18, first 2 shown]
.LBB17_432:
	s_sendmsg sendmsg(MSG_DEALLOC_VGPRS)
	s_endpgm
	.section	.rodata,"a",@progbits
	.p2align	6, 0x0
	.amdhsa_kernel _ZN9rocsolver6v33100L18trti2_kernel_smallILi18EfPfEEv13rocblas_fill_17rocblas_diagonal_T1_iil
		.amdhsa_group_segment_fixed_size 152
		.amdhsa_private_segment_fixed_size 0
		.amdhsa_kernarg_size 32
		.amdhsa_user_sgpr_count 2
		.amdhsa_user_sgpr_dispatch_ptr 0
		.amdhsa_user_sgpr_queue_ptr 0
		.amdhsa_user_sgpr_kernarg_segment_ptr 1
		.amdhsa_user_sgpr_dispatch_id 0
		.amdhsa_user_sgpr_kernarg_preload_length 0
		.amdhsa_user_sgpr_kernarg_preload_offset 0
		.amdhsa_user_sgpr_private_segment_size 0
		.amdhsa_wavefront_size32 1
		.amdhsa_uses_dynamic_stack 0
		.amdhsa_enable_private_segment 0
		.amdhsa_system_sgpr_workgroup_id_x 1
		.amdhsa_system_sgpr_workgroup_id_y 0
		.amdhsa_system_sgpr_workgroup_id_z 0
		.amdhsa_system_sgpr_workgroup_info 0
		.amdhsa_system_vgpr_workitem_id 0
		.amdhsa_next_free_vgpr 117
		.amdhsa_next_free_sgpr 28
		.amdhsa_named_barrier_count 0
		.amdhsa_reserve_vcc 1
		.amdhsa_float_round_mode_32 0
		.amdhsa_float_round_mode_16_64 0
		.amdhsa_float_denorm_mode_32 3
		.amdhsa_float_denorm_mode_16_64 3
		.amdhsa_fp16_overflow 0
		.amdhsa_memory_ordered 1
		.amdhsa_forward_progress 1
		.amdhsa_inst_pref_size 190
		.amdhsa_round_robin_scheduling 0
		.amdhsa_exception_fp_ieee_invalid_op 0
		.amdhsa_exception_fp_denorm_src 0
		.amdhsa_exception_fp_ieee_div_zero 0
		.amdhsa_exception_fp_ieee_overflow 0
		.amdhsa_exception_fp_ieee_underflow 0
		.amdhsa_exception_fp_ieee_inexact 0
		.amdhsa_exception_int_div_zero 0
	.end_amdhsa_kernel
	.section	.text._ZN9rocsolver6v33100L18trti2_kernel_smallILi18EfPfEEv13rocblas_fill_17rocblas_diagonal_T1_iil,"axG",@progbits,_ZN9rocsolver6v33100L18trti2_kernel_smallILi18EfPfEEv13rocblas_fill_17rocblas_diagonal_T1_iil,comdat
.Lfunc_end17:
	.size	_ZN9rocsolver6v33100L18trti2_kernel_smallILi18EfPfEEv13rocblas_fill_17rocblas_diagonal_T1_iil, .Lfunc_end17-_ZN9rocsolver6v33100L18trti2_kernel_smallILi18EfPfEEv13rocblas_fill_17rocblas_diagonal_T1_iil
                                        ; -- End function
	.set _ZN9rocsolver6v33100L18trti2_kernel_smallILi18EfPfEEv13rocblas_fill_17rocblas_diagonal_T1_iil.num_vgpr, 117
	.set _ZN9rocsolver6v33100L18trti2_kernel_smallILi18EfPfEEv13rocblas_fill_17rocblas_diagonal_T1_iil.num_agpr, 0
	.set _ZN9rocsolver6v33100L18trti2_kernel_smallILi18EfPfEEv13rocblas_fill_17rocblas_diagonal_T1_iil.numbered_sgpr, 28
	.set _ZN9rocsolver6v33100L18trti2_kernel_smallILi18EfPfEEv13rocblas_fill_17rocblas_diagonal_T1_iil.num_named_barrier, 0
	.set _ZN9rocsolver6v33100L18trti2_kernel_smallILi18EfPfEEv13rocblas_fill_17rocblas_diagonal_T1_iil.private_seg_size, 0
	.set _ZN9rocsolver6v33100L18trti2_kernel_smallILi18EfPfEEv13rocblas_fill_17rocblas_diagonal_T1_iil.uses_vcc, 1
	.set _ZN9rocsolver6v33100L18trti2_kernel_smallILi18EfPfEEv13rocblas_fill_17rocblas_diagonal_T1_iil.uses_flat_scratch, 0
	.set _ZN9rocsolver6v33100L18trti2_kernel_smallILi18EfPfEEv13rocblas_fill_17rocblas_diagonal_T1_iil.has_dyn_sized_stack, 0
	.set _ZN9rocsolver6v33100L18trti2_kernel_smallILi18EfPfEEv13rocblas_fill_17rocblas_diagonal_T1_iil.has_recursion, 0
	.set _ZN9rocsolver6v33100L18trti2_kernel_smallILi18EfPfEEv13rocblas_fill_17rocblas_diagonal_T1_iil.has_indirect_call, 0
	.section	.AMDGPU.csdata,"",@progbits
; Kernel info:
; codeLenInByte = 24300
; TotalNumSgprs: 30
; NumVgprs: 117
; ScratchSize: 0
; MemoryBound: 0
; FloatMode: 240
; IeeeMode: 1
; LDSByteSize: 152 bytes/workgroup (compile time only)
; SGPRBlocks: 0
; VGPRBlocks: 7
; NumSGPRsForWavesPerEU: 30
; NumVGPRsForWavesPerEU: 117
; NamedBarCnt: 0
; Occupancy: 8
; WaveLimiterHint : 0
; COMPUTE_PGM_RSRC2:SCRATCH_EN: 0
; COMPUTE_PGM_RSRC2:USER_SGPR: 2
; COMPUTE_PGM_RSRC2:TRAP_HANDLER: 0
; COMPUTE_PGM_RSRC2:TGID_X_EN: 1
; COMPUTE_PGM_RSRC2:TGID_Y_EN: 0
; COMPUTE_PGM_RSRC2:TGID_Z_EN: 0
; COMPUTE_PGM_RSRC2:TIDIG_COMP_CNT: 0
	.section	.text._ZN9rocsolver6v33100L18trti2_kernel_smallILi19EfPfEEv13rocblas_fill_17rocblas_diagonal_T1_iil,"axG",@progbits,_ZN9rocsolver6v33100L18trti2_kernel_smallILi19EfPfEEv13rocblas_fill_17rocblas_diagonal_T1_iil,comdat
	.globl	_ZN9rocsolver6v33100L18trti2_kernel_smallILi19EfPfEEv13rocblas_fill_17rocblas_diagonal_T1_iil ; -- Begin function _ZN9rocsolver6v33100L18trti2_kernel_smallILi19EfPfEEv13rocblas_fill_17rocblas_diagonal_T1_iil
	.p2align	8
	.type	_ZN9rocsolver6v33100L18trti2_kernel_smallILi19EfPfEEv13rocblas_fill_17rocblas_diagonal_T1_iil,@function
_ZN9rocsolver6v33100L18trti2_kernel_smallILi19EfPfEEv13rocblas_fill_17rocblas_diagonal_T1_iil: ; @_ZN9rocsolver6v33100L18trti2_kernel_smallILi19EfPfEEv13rocblas_fill_17rocblas_diagonal_T1_iil
; %bb.0:
	s_mov_b32 s2, exec_lo
	v_cmpx_gt_u32_e32 19, v0
	s_cbranch_execz .LBB18_458
; %bb.1:
	s_load_b256 s[20:27], s[0:1], 0x0
	s_wait_xcnt 0x0
	s_bfe_u32 s0, ttmp6, 0x4000c
	s_and_b32 s1, ttmp6, 15
	s_add_co_i32 s0, s0, 1
	s_getreg_b32 s2, hwreg(HW_REG_IB_STS2, 6, 4)
	s_mul_i32 s0, ttmp9, s0
	v_mov_b32_e32 v1, 0
	s_add_co_i32 s0, s1, s0
	s_delay_alu instid0(VALU_DEP_1)
	v_dual_mov_b32 v35, v1 :: v_dual_lshlrev_b32 v34, 2, v0
	s_wait_kmcnt 0x0
	v_add3_u32 v66, s25, s25, v0
	s_ashr_i32 s1, s24, 31
	s_cmp_eq_u32 s2, 0
	s_cselect_b32 s2, ttmp9, s0
	s_delay_alu instid0(VALU_DEP_1)
	v_add_nc_u32_e32 v68, s25, v66
	s_ashr_i32 s3, s2, 31
	s_mov_b32 s0, s24
	s_mul_u64 s[2:3], s[26:27], s[2:3]
	s_lshl_b64 s[0:1], s[0:1], 2
	v_add_nc_u32_e32 v70, s25, v68
	s_lshl_b64 s[2:3], s[2:3], 2
	s_delay_alu instid0(SALU_CYCLE_1) | instskip(NEXT) | instid1(VALU_DEP_1)
	s_add_nc_u64 s[2:3], s[22:23], s[2:3]
	v_add_nc_u32_e32 v72, s25, v70
	s_add_nc_u64 s[22:23], s[2:3], s[0:1]
	s_mov_b32 s0, s25
	s_ashr_i32 s1, s25, 31
	s_cmp_lg_u32 s21, 0x84
	v_add_nc_u32_e32 v74, s25, v72
	s_cselect_b32 s19, -1, 0
	s_cmp_eq_u32 s21, 0x84
	v_add_nc_u64_e32 v[88:89], s[22:23], v[34:35]
	s_delay_alu instid0(VALU_DEP_2) | instskip(NEXT) | instid1(VALU_DEP_1)
	v_dual_mov_b32 v35, -1.0 :: v_dual_add_nc_u32 v76, s25, v74
	v_add_nc_u32_e32 v78, s25, v76
	s_delay_alu instid0(VALU_DEP_3)
	v_lshl_add_u64 v[94:95], s[0:1], 2, v[88:89]
	s_clause 0x7
	global_load_b32 v3, v[94:95], off
	global_load_b32 v4, v66, s[22:23] scale_offset
	global_load_b32 v5, v68, s[22:23] scale_offset
	;; [unrolled: 1-line block ×7, first 2 shown]
	v_add_nc_u32_e32 v80, s25, v78
	v_cmp_eq_u32_e64 s0, 0, v0
	s_delay_alu instid0(VALU_DEP_2) | instskip(NEXT) | instid1(VALU_DEP_1)
	v_add_nc_u32_e32 v82, s25, v80
	v_add_nc_u32_e32 v84, s25, v82
	s_delay_alu instid0(VALU_DEP_1) | instskip(NEXT) | instid1(VALU_DEP_1)
	v_add_nc_u32_e32 v86, s25, v84
	v_add_nc_u32_e32 v90, s25, v86
	s_delay_alu instid0(VALU_DEP_1) | instskip(NEXT) | instid1(VALU_DEP_1)
	;; [unrolled: 3-line block ×3, first 2 shown]
	v_add_nc_u32_e32 v98, s25, v96
	v_add_nc_u32_e32 v100, s25, v98
	s_delay_alu instid0(VALU_DEP_1)
	v_add_nc_u32_e32 v102, s25, v100
	s_clause 0xa
	global_load_b32 v11, v80, s[22:23] scale_offset
	global_load_b32 v12, v82, s[22:23] scale_offset
	;; [unrolled: 1-line block ×11, first 2 shown]
	s_cbranch_scc1 .LBB18_3
; %bb.2:
	v_cmp_eq_u32_e64 s1, 1, v0
	v_cmp_eq_u32_e64 s2, 2, v0
	;; [unrolled: 1-line block ×5, first 2 shown]
	s_wait_loadcnt 0x2
	v_cndmask_b32_e64 v21, v2, v3, s1
	v_cmp_eq_u32_e64 s6, 6, v0
	v_cmp_eq_u32_e64 s7, 7, v0
	v_cmp_eq_u32_e64 s8, 8, v0
	v_cmp_eq_u32_e64 s9, 9, v0
	v_cndmask_b32_e64 v21, v21, v4, s2
	v_cmp_eq_u32_e64 s10, 10, v0
	v_cmp_eq_u32_e64 s11, 11, v0
	v_cmp_eq_u32_e64 s12, 12, v0
	v_cmp_eq_u32_e64 s13, 13, v0
	;; [unrolled: 5-line block ×3, first 2 shown]
	v_cndmask_b32_e64 v21, v21, v6, s4
	v_cmp_eq_u32_e64 s18, 18, v0
	s_delay_alu instid0(VALU_DEP_2) | instskip(NEXT) | instid1(VALU_DEP_1)
	v_cndmask_b32_e64 v21, v21, v7, s5
	v_cndmask_b32_e64 v21, v21, v8, s6
	s_delay_alu instid0(VALU_DEP_1) | instskip(NEXT) | instid1(VALU_DEP_1)
	v_cndmask_b32_e64 v21, v21, v9, s7
	v_cndmask_b32_e64 v21, v21, v10, s8
	s_delay_alu instid0(VALU_DEP_1) | instskip(NEXT) | instid1(VALU_DEP_1)
	;; [unrolled: 3-line block ×5, first 2 shown]
	v_cndmask_b32_e64 v21, v21, v17, s15
	v_cndmask_b32_e64 v21, v21, v18, s16
	s_wait_loadcnt 0x1
	s_delay_alu instid0(VALU_DEP_1) | instskip(SKIP_1) | instid1(VALU_DEP_1)
	v_cndmask_b32_e64 v21, v21, v19, s17
	s_wait_loadcnt 0x0
	v_cndmask_b32_e64 v21, v21, v20, s18
	s_delay_alu instid0(VALU_DEP_1) | instskip(SKIP_1) | instid1(VALU_DEP_2)
	v_div_scale_f32 v22, null, v21, v21, 1.0
	v_div_scale_f32 v25, vcc_lo, 1.0, v21, 1.0
	v_rcp_f32_e32 v23, v22
	v_nop
	s_delay_alu instid0(TRANS32_DEP_1) | instskip(NEXT) | instid1(VALU_DEP_1)
	v_fma_f32 v24, -v22, v23, 1.0
	v_fmac_f32_e32 v23, v24, v23
	s_delay_alu instid0(VALU_DEP_1) | instskip(NEXT) | instid1(VALU_DEP_1)
	v_mul_f32_e32 v24, v25, v23
	v_fma_f32 v26, -v22, v24, v25
	s_delay_alu instid0(VALU_DEP_1) | instskip(NEXT) | instid1(VALU_DEP_1)
	v_fmac_f32_e32 v24, v26, v23
	v_fma_f32 v22, -v22, v24, v25
	s_delay_alu instid0(VALU_DEP_1) | instskip(NEXT) | instid1(VALU_DEP_1)
	v_div_fmas_f32 v22, v22, v23, v24
	v_div_fixup_f32 v21, v22, v21, 1.0
	s_delay_alu instid0(VALU_DEP_1)
	v_dual_cndmask_b32 v20, v20, v21, s18 :: v_dual_cndmask_b32 v19, v19, v21, s17
	v_dual_cndmask_b32 v18, v18, v21, s16 :: v_dual_cndmask_b32 v17, v17, v21, s15
	;; [unrolled: 1-line block ×9, first 2 shown]
	v_cndmask_b32_e64 v2, v2, v21, s0
	v_xor_b32_e32 v35, 0x80000000, v21
.LBB18_3:
	v_dual_ashrrev_i32 v67, 31, v66 :: v_dual_ashrrev_i32 v69, 31, v68
	v_dual_ashrrev_i32 v71, 31, v70 :: v_dual_ashrrev_i32 v73, 31, v72
	;; [unrolled: 1-line block ×8, first 2 shown]
	v_ashrrev_i32_e32 v103, 31, v102
	v_add_nc_u32_e32 v107, 0x50, v34
	s_cmp_eq_u32 s20, 0x79
	ds_store_b32 v34, v35
	s_cbranch_scc1 .LBB18_7
; %bb.4:
	s_wait_loadcnt 0x0
	v_mov_b64_e32 v[64:65], v[32:33]
	v_mov_b64_e32 v[62:63], v[30:31]
	;; [unrolled: 1-line block ×16, first 2 shown]
	v_cmp_eq_u32_e64 s1, 18, v0
	ds_store_b32 v107, v19
	s_wait_dscnt 0x0
	s_barrier_signal -1
	s_barrier_wait -1
	s_and_saveexec_b32 s0, s1
	s_cbranch_execz .LBB18_11
; %bb.5:
	s_and_b32 vcc_lo, exec_lo, s19
	s_cbranch_vccz .LBB18_8
; %bb.6:
	v_cmp_eq_u32_e32 vcc_lo, 1, v0
	ds_load_b32 v35, v107
	v_cndmask_b32_e32 v34, v2, v3, vcc_lo
	v_cmp_eq_u32_e32 vcc_lo, 2, v0
	s_delay_alu instid0(VALU_DEP_2) | instskip(SKIP_1) | instid1(VALU_DEP_2)
	v_cndmask_b32_e32 v34, v34, v4, vcc_lo
	v_cmp_eq_u32_e32 vcc_lo, 3, v0
	v_cndmask_b32_e32 v34, v34, v5, vcc_lo
	v_cmp_eq_u32_e32 vcc_lo, 4, v0
	s_delay_alu instid0(VALU_DEP_2) | instskip(SKIP_1) | instid1(VALU_DEP_2)
	v_cndmask_b32_e32 v34, v34, v6, vcc_lo
	v_cmp_eq_u32_e32 vcc_lo, 5, v0
	;; [unrolled: 5-line block ×8, first 2 shown]
	v_cndmask_b32_e32 v34, v34, v19, vcc_lo
	v_cmp_eq_u32_e32 vcc_lo, 18, v0
	s_delay_alu instid0(VALU_DEP_2) | instskip(SKIP_1) | instid1(VALU_DEP_1)
	v_cndmask_b32_e32 v34, v34, v20, vcc_lo
	s_wait_dscnt 0x0
	v_mul_f32_e32 v51, v34, v35
	s_cbranch_execz .LBB18_9
	s_branch .LBB18_10
.LBB18_7:
                                        ; implicit-def: $vgpr34_vgpr35_vgpr36_vgpr37_vgpr38_vgpr39_vgpr40_vgpr41_vgpr42_vgpr43_vgpr44_vgpr45_vgpr46_vgpr47_vgpr48_vgpr49_vgpr50_vgpr51_vgpr52_vgpr53_vgpr54_vgpr55_vgpr56_vgpr57_vgpr58_vgpr59_vgpr60_vgpr61_vgpr62_vgpr63_vgpr64_vgpr65
	s_cbranch_execnz .LBB18_274
	s_branch .LBB18_457
.LBB18_8:
                                        ; implicit-def: $vgpr51
.LBB18_9:
	ds_load_b32 v51, v107
.LBB18_10:
	v_dual_mov_b32 v34, 0 :: v_dual_mov_b32 v35, v3
	v_dual_mov_b32 v37, v5 :: v_dual_mov_b32 v38, v6
	;; [unrolled: 1-line block ×3, first 2 shown]
	ds_load_b32 v52, v34 offset:68
	v_dual_mov_b32 v34, v2 :: v_dual_mov_b32 v36, v4
	v_dual_mov_b32 v41, v9 :: v_dual_mov_b32 v42, v10
	;; [unrolled: 1-line block ×6, first 2 shown]
	s_wait_dscnt 0x0
	v_dual_mul_f32 v51, v51, v52 :: v_dual_mov_b32 v52, v20
.LBB18_11:
	s_or_b32 exec_lo, exec_lo, s0
	v_cmp_lt_u32_e64 s0, 16, v0
	ds_store_b32 v107, v50
	s_wait_dscnt 0x0
	s_barrier_signal -1
	s_barrier_wait -1
	s_and_saveexec_b32 s2, s0
	s_cbranch_execz .LBB18_17
; %bb.12:
	s_and_not1_b32 vcc_lo, exec_lo, s19
	s_cbranch_vccnz .LBB18_14
; %bb.13:
	v_cmp_eq_u32_e32 vcc_lo, 1, v0
	ds_load_b32 v54, v107
	v_cndmask_b32_e32 v53, v34, v35, vcc_lo
	v_cmp_eq_u32_e32 vcc_lo, 2, v0
	s_delay_alu instid0(VALU_DEP_2) | instskip(SKIP_1) | instid1(VALU_DEP_2)
	v_cndmask_b32_e32 v53, v53, v36, vcc_lo
	v_cmp_eq_u32_e32 vcc_lo, 3, v0
	v_cndmask_b32_e32 v53, v53, v37, vcc_lo
	v_cmp_eq_u32_e32 vcc_lo, 4, v0
	s_delay_alu instid0(VALU_DEP_2) | instskip(SKIP_1) | instid1(VALU_DEP_2)
	v_cndmask_b32_e32 v53, v53, v38, vcc_lo
	v_cmp_eq_u32_e32 vcc_lo, 5, v0
	;; [unrolled: 5-line block ×8, first 2 shown]
	v_cndmask_b32_e32 v50, v50, v51, vcc_lo
	v_cmp_eq_u32_e32 vcc_lo, 18, v0
	s_delay_alu instid0(VALU_DEP_2) | instskip(SKIP_1) | instid1(VALU_DEP_1)
	v_cndmask_b32_e32 v50, v50, v52, vcc_lo
	s_wait_dscnt 0x0
	v_mul_f32_e32 v50, v50, v54
	s_cbranch_execz .LBB18_15
	s_branch .LBB18_16
.LBB18_14:
                                        ; implicit-def: $vgpr50
.LBB18_15:
	ds_load_b32 v50, v107
.LBB18_16:
	v_mov_b32_e32 v53, 0
	ds_load_2addr_b32 v[54:55], v53 offset0:16 offset1:37
	s_wait_dscnt 0x0
	v_fma_f32 v53, v51, v55, v50
	s_delay_alu instid0(VALU_DEP_1) | instskip(NEXT) | instid1(VALU_DEP_1)
	v_cndmask_b32_e64 v50, v50, v53, s1
	v_mul_f32_e32 v50, v50, v54
.LBB18_17:
	s_or_b32 exec_lo, exec_lo, s2
	v_cmp_lt_u32_e64 s1, 15, v0
	ds_store_b32 v107, v49
	s_wait_dscnt 0x0
	s_barrier_signal -1
	s_barrier_wait -1
	s_and_saveexec_b32 s4, s1
	s_cbranch_execz .LBB18_33
; %bb.18:
	s_and_not1_b32 vcc_lo, exec_lo, s19
	s_cbranch_vccnz .LBB18_20
; %bb.19:
	v_cmp_eq_u32_e32 vcc_lo, 1, v0
	ds_load_b32 v105, v107
	v_cndmask_b32_e32 v104, v34, v35, vcc_lo
	v_cmp_eq_u32_e32 vcc_lo, 2, v0
	s_delay_alu instid0(VALU_DEP_2) | instskip(SKIP_1) | instid1(VALU_DEP_2)
	v_cndmask_b32_e32 v104, v104, v36, vcc_lo
	v_cmp_eq_u32_e32 vcc_lo, 3, v0
	v_cndmask_b32_e32 v104, v104, v37, vcc_lo
	v_cmp_eq_u32_e32 vcc_lo, 4, v0
	s_delay_alu instid0(VALU_DEP_2) | instskip(SKIP_1) | instid1(VALU_DEP_2)
	v_cndmask_b32_e32 v104, v104, v38, vcc_lo
	v_cmp_eq_u32_e32 vcc_lo, 5, v0
	v_cndmask_b32_e32 v104, v104, v39, vcc_lo
	v_cmp_eq_u32_e32 vcc_lo, 6, v0
	s_delay_alu instid0(VALU_DEP_2) | instskip(SKIP_1) | instid1(VALU_DEP_2)
	v_cndmask_b32_e32 v104, v104, v40, vcc_lo
	v_cmp_eq_u32_e32 vcc_lo, 7, v0
	v_cndmask_b32_e32 v104, v104, v41, vcc_lo
	v_cmp_eq_u32_e32 vcc_lo, 8, v0
	s_delay_alu instid0(VALU_DEP_2) | instskip(SKIP_1) | instid1(VALU_DEP_2)
	v_cndmask_b32_e32 v104, v104, v42, vcc_lo
	v_cmp_eq_u32_e32 vcc_lo, 9, v0
	v_cndmask_b32_e32 v104, v104, v43, vcc_lo
	v_cmp_eq_u32_e32 vcc_lo, 10, v0
	s_delay_alu instid0(VALU_DEP_2) | instskip(SKIP_1) | instid1(VALU_DEP_2)
	v_cndmask_b32_e32 v104, v104, v44, vcc_lo
	v_cmp_eq_u32_e32 vcc_lo, 11, v0
	v_cndmask_b32_e32 v104, v104, v45, vcc_lo
	v_cmp_eq_u32_e32 vcc_lo, 12, v0
	s_delay_alu instid0(VALU_DEP_2) | instskip(SKIP_1) | instid1(VALU_DEP_2)
	v_cndmask_b32_e32 v104, v104, v46, vcc_lo
	v_cmp_eq_u32_e32 vcc_lo, 13, v0
	v_cndmask_b32_e32 v104, v104, v47, vcc_lo
	v_cmp_eq_u32_e32 vcc_lo, 14, v0
	s_delay_alu instid0(VALU_DEP_2) | instskip(SKIP_1) | instid1(VALU_DEP_2)
	v_cndmask_b32_e32 v104, v104, v48, vcc_lo
	v_cmp_eq_u32_e32 vcc_lo, 15, v0
	v_cndmask_b32_e32 v104, v104, v49, vcc_lo
	v_cmp_eq_u32_e32 vcc_lo, 16, v0
	s_delay_alu instid0(VALU_DEP_2) | instskip(SKIP_1) | instid1(VALU_DEP_2)
	v_cndmask_b32_e32 v104, v104, v50, vcc_lo
	v_cmp_eq_u32_e32 vcc_lo, 17, v0
	v_cndmask_b32_e32 v104, v104, v51, vcc_lo
	v_cmp_eq_u32_e32 vcc_lo, 18, v0
	s_delay_alu instid0(VALU_DEP_2) | instskip(SKIP_1) | instid1(VALU_DEP_1)
	v_cndmask_b32_e32 v104, v104, v52, vcc_lo
	s_wait_dscnt 0x0
	v_mul_f32_e32 v108, v104, v105
	s_cbranch_execz .LBB18_21
	s_branch .LBB18_22
.LBB18_20:
                                        ; implicit-def: $vgpr108
.LBB18_21:
	ds_load_b32 v108, v107
.LBB18_22:
	s_and_saveexec_b32 s5, s0
	s_cbranch_execz .LBB18_32
; %bb.23:
	v_subrev_nc_u32_e32 v104, 17, v0
	s_delay_alu instid0(VALU_DEP_1)
	v_cmp_lt_u32_e32 vcc_lo, 6, v104
	v_mov_b32_e32 v104, 16
	s_and_saveexec_b32 s0, vcc_lo
	s_cbranch_execz .LBB18_27
; %bb.24:
	v_and_b32_e32 v104, 24, v0
	s_mov_b32 s6, 0
	s_mov_b64 s[2:3], 23
	s_movk_i32 s7, 0x90
	s_delay_alu instid0(VALU_DEP_1)
	v_sub_nc_u32_e32 v106, 0, v104
.LBB18_25:                              ; =>This Inner Loop Header: Depth=1
	s_add_co_i32 m0, s2, -7
	v_movrels_b32_e32 v105, v34
	v_mov_b32_e32 v104, s7
	s_add_co_i32 m0, s2, -6
	s_add_co_i32 s7, s7, 32
	v_movrels_b32_e32 v109, v34
	s_add_co_i32 m0, s2, -5
	ds_load_b128 v[110:113], v104
	ds_load_b128 v[114:117], v104 offset:16
	v_movrels_b32_e32 v104, v34
	s_add_co_i32 m0, s2, -4
	s_wait_dscnt 0x1
	v_fmac_f32_e32 v108, v105, v110
	v_movrels_b32_e32 v105, v34
	s_add_co_i32 m0, s2, -3
	s_delay_alu instid0(VALU_DEP_2) | instskip(NEXT) | instid1(VALU_DEP_1)
	v_fmac_f32_e32 v108, v109, v111
	v_fmac_f32_e32 v108, v104, v112
	v_movrels_b32_e32 v104, v34
	s_add_co_i32 m0, s2, -2
	s_delay_alu instid0(VALU_DEP_2) | instskip(SKIP_3) | instid1(VALU_DEP_2)
	v_fmac_f32_e32 v108, v105, v113
	v_movrels_b32_e32 v105, v34
	s_add_co_i32 m0, s2, -1
	s_wait_dscnt 0x0
	v_fmac_f32_e32 v108, v104, v114
	v_movrels_b32_e32 v104, v34
	s_mov_b32 m0, s2
	s_add_nc_u64 s[2:3], s[2:3], 8
	v_movrels_b32_e32 v109, v34
	v_dual_fmac_f32 v108, v105, v115 :: v_dual_add_nc_u32 v105, s2, v106
	s_add_co_i32 s8, s2, -7
	s_delay_alu instid0(VALU_DEP_1) | instskip(NEXT) | instid1(VALU_DEP_2)
	v_fmac_f32_e32 v108, v104, v116
	v_cmp_eq_u32_e32 vcc_lo, 7, v105
	s_delay_alu instid0(VALU_DEP_2) | instskip(SKIP_1) | instid1(SALU_CYCLE_1)
	v_dual_mov_b32 v104, s8 :: v_dual_fmac_f32 v108, v109, v117
	s_or_b32 s6, vcc_lo, s6
	s_and_not1_b32 exec_lo, exec_lo, s6
	s_cbranch_execnz .LBB18_25
; %bb.26:
	s_or_b32 exec_lo, exec_lo, s6
.LBB18_27:
	s_delay_alu instid0(SALU_CYCLE_1) | instskip(SKIP_3) | instid1(VALU_DEP_1)
	s_or_b32 exec_lo, exec_lo, s0
	v_and_b32_e32 v53, 7, v0
	s_mov_b32 s2, 0
	s_mov_b32 s0, exec_lo
	v_cmpx_ne_u32_e32 0, v53
	s_cbranch_execz .LBB18_31
; %bb.28:
	v_lshl_add_u32 v54, v104, 2, 0x50
	v_mov_b32_e32 v105, 0
.LBB18_29:                              ; =>This Inner Loop Header: Depth=1
	v_cmp_eq_u32_e32 vcc_lo, 1, v104
	ds_load_b32 v56, v54
	v_dual_add_nc_u32 v53, -1, v53 :: v_dual_add_nc_u32 v54, 4, v54
	v_cndmask_b32_e32 v55, v34, v35, vcc_lo
	v_cmp_eq_u32_e32 vcc_lo, 2, v104
	s_delay_alu instid0(VALU_DEP_2) | instskip(SKIP_1) | instid1(VALU_DEP_2)
	v_cndmask_b32_e32 v55, v55, v36, vcc_lo
	v_cmp_eq_u32_e32 vcc_lo, 3, v104
	v_cndmask_b32_e32 v55, v55, v37, vcc_lo
	v_cmp_eq_u32_e32 vcc_lo, 4, v104
	s_delay_alu instid0(VALU_DEP_2) | instskip(SKIP_1) | instid1(VALU_DEP_2)
	v_cndmask_b32_e32 v55, v55, v38, vcc_lo
	v_cmp_eq_u32_e32 vcc_lo, 5, v104
	v_cndmask_b32_e32 v55, v55, v39, vcc_lo
	v_cmp_eq_u32_e32 vcc_lo, 6, v104
	s_delay_alu instid0(VALU_DEP_2) | instskip(SKIP_1) | instid1(VALU_DEP_2)
	v_cndmask_b32_e32 v55, v55, v40, vcc_lo
	v_cmp_eq_u32_e32 vcc_lo, 7, v104
	v_cndmask_b32_e32 v55, v55, v41, vcc_lo
	v_cmp_eq_u32_e32 vcc_lo, 8, v104
	s_delay_alu instid0(VALU_DEP_2) | instskip(SKIP_1) | instid1(VALU_DEP_2)
	v_cndmask_b32_e32 v55, v55, v42, vcc_lo
	v_cmp_eq_u32_e32 vcc_lo, 9, v104
	v_cndmask_b32_e32 v55, v55, v43, vcc_lo
	v_cmp_eq_u32_e32 vcc_lo, 10, v104
	s_delay_alu instid0(VALU_DEP_2) | instskip(SKIP_1) | instid1(VALU_DEP_2)
	v_cndmask_b32_e32 v55, v55, v44, vcc_lo
	v_cmp_eq_u32_e32 vcc_lo, 11, v104
	v_cndmask_b32_e32 v55, v55, v45, vcc_lo
	v_cmp_eq_u32_e32 vcc_lo, 12, v104
	s_delay_alu instid0(VALU_DEP_2) | instskip(SKIP_1) | instid1(VALU_DEP_2)
	v_cndmask_b32_e32 v55, v55, v46, vcc_lo
	v_cmp_eq_u32_e32 vcc_lo, 13, v104
	v_cndmask_b32_e32 v55, v55, v47, vcc_lo
	v_cmp_eq_u32_e32 vcc_lo, 14, v104
	s_delay_alu instid0(VALU_DEP_2) | instskip(SKIP_1) | instid1(VALU_DEP_2)
	v_cndmask_b32_e32 v55, v55, v48, vcc_lo
	v_cmp_eq_u32_e32 vcc_lo, 15, v104
	v_cndmask_b32_e32 v55, v55, v49, vcc_lo
	v_cmp_eq_u32_e32 vcc_lo, 16, v104
	s_delay_alu instid0(VALU_DEP_2) | instskip(SKIP_1) | instid1(VALU_DEP_2)
	v_cndmask_b32_e32 v55, v55, v50, vcc_lo
	v_cmp_eq_u32_e32 vcc_lo, 17, v104
	v_cndmask_b32_e32 v55, v55, v51, vcc_lo
	v_cmp_eq_u32_e32 vcc_lo, 18, v104
	v_add_nc_u64_e32 v[104:105], 1, v[104:105]
	s_delay_alu instid0(VALU_DEP_3) | instskip(SKIP_2) | instid1(VALU_DEP_2)
	v_cndmask_b32_e32 v55, v55, v52, vcc_lo
	v_cmp_eq_u32_e32 vcc_lo, 0, v53
	s_wait_dscnt 0x0
	v_fmac_f32_e32 v108, v55, v56
	s_or_b32 s2, vcc_lo, s2
	s_delay_alu instid0(SALU_CYCLE_1)
	s_and_not1_b32 exec_lo, exec_lo, s2
	s_cbranch_execnz .LBB18_29
; %bb.30:
	s_or_b32 exec_lo, exec_lo, s2
.LBB18_31:
	s_delay_alu instid0(SALU_CYCLE_1)
	s_or_b32 exec_lo, exec_lo, s0
.LBB18_32:
	s_delay_alu instid0(SALU_CYCLE_1)
	s_or_b32 exec_lo, exec_lo, s5
	v_mov_b32_e32 v49, 0
	ds_load_b32 v49, v49 offset:60
	s_wait_dscnt 0x0
	v_mul_f32_e32 v49, v108, v49
.LBB18_33:
	s_or_b32 exec_lo, exec_lo, s4
	v_cmp_lt_u32_e64 s0, 14, v0
	ds_store_b32 v107, v48
	s_wait_dscnt 0x0
	s_barrier_signal -1
	s_barrier_wait -1
	s_and_saveexec_b32 s4, s0
	s_cbranch_execz .LBB18_49
; %bb.34:
	s_and_not1_b32 vcc_lo, exec_lo, s19
	s_cbranch_vccnz .LBB18_36
; %bb.35:
	v_cmp_eq_u32_e32 vcc_lo, 1, v0
	ds_load_b32 v105, v107
	v_cndmask_b32_e32 v104, v34, v35, vcc_lo
	v_cmp_eq_u32_e32 vcc_lo, 2, v0
	s_delay_alu instid0(VALU_DEP_2) | instskip(SKIP_1) | instid1(VALU_DEP_2)
	v_cndmask_b32_e32 v104, v104, v36, vcc_lo
	v_cmp_eq_u32_e32 vcc_lo, 3, v0
	v_cndmask_b32_e32 v104, v104, v37, vcc_lo
	v_cmp_eq_u32_e32 vcc_lo, 4, v0
	s_delay_alu instid0(VALU_DEP_2) | instskip(SKIP_1) | instid1(VALU_DEP_2)
	v_cndmask_b32_e32 v104, v104, v38, vcc_lo
	v_cmp_eq_u32_e32 vcc_lo, 5, v0
	;; [unrolled: 5-line block ×8, first 2 shown]
	v_cndmask_b32_e32 v104, v104, v51, vcc_lo
	v_cmp_eq_u32_e32 vcc_lo, 18, v0
	s_delay_alu instid0(VALU_DEP_2) | instskip(SKIP_1) | instid1(VALU_DEP_1)
	v_cndmask_b32_e32 v104, v104, v52, vcc_lo
	s_wait_dscnt 0x0
	v_mul_f32_e32 v108, v104, v105
	s_cbranch_execz .LBB18_37
	s_branch .LBB18_38
.LBB18_36:
                                        ; implicit-def: $vgpr108
.LBB18_37:
	ds_load_b32 v108, v107
.LBB18_38:
	s_and_saveexec_b32 s5, s1
	s_cbranch_execz .LBB18_48
; %bb.39:
	v_dual_add_nc_u32 v104, -16, v0 :: v_dual_add_nc_u32 v105, -15, v0
	s_delay_alu instid0(VALU_DEP_1)
	v_cmp_lt_u32_e32 vcc_lo, 6, v104
	v_mov_b32_e32 v104, 15
	s_and_saveexec_b32 s1, vcc_lo
	s_cbranch_execz .LBB18_43
; %bb.40:
	v_and_b32_e32 v104, -8, v105
	s_mov_b32 s6, 0
	s_mov_b64 s[2:3], 22
	s_movk_i32 s7, 0x8c
	s_delay_alu instid0(VALU_DEP_1)
	v_sub_nc_u32_e32 v106, 0, v104
.LBB18_41:                              ; =>This Inner Loop Header: Depth=1
	s_add_co_i32 m0, s2, -7
	v_movrels_b32_e32 v109, v34
	v_mov_b32_e32 v104, s7
	s_add_co_i32 m0, s2, -6
	s_add_co_i32 s7, s7, 32
	v_movrels_b32_e32 v118, v34
	ds_load_2addr_b32 v[110:111], v104 offset1:1
	ds_load_2addr_b32 v[112:113], v104 offset0:2 offset1:3
	s_add_co_i32 m0, s2, -5
	s_wait_dscnt 0x1
	v_fmac_f32_e32 v108, v109, v110
	ds_load_2addr_b32 v[114:115], v104 offset0:4 offset1:5
	ds_load_2addr_b32 v[116:117], v104 offset0:6 offset1:7
	v_movrels_b32_e32 v104, v34
	s_add_co_i32 m0, s2, -4
	v_fmac_f32_e32 v108, v118, v111
	v_movrels_b32_e32 v109, v34
	s_add_co_i32 m0, s2, -3
	s_wait_dscnt 0x2
	s_delay_alu instid0(VALU_DEP_2) | instskip(SKIP_2) | instid1(VALU_DEP_2)
	v_fmac_f32_e32 v108, v104, v112
	v_movrels_b32_e32 v104, v34
	s_add_co_i32 m0, s2, -2
	v_fmac_f32_e32 v108, v109, v113
	v_movrels_b32_e32 v109, v34
	s_add_co_i32 m0, s2, -1
	s_wait_dscnt 0x1
	s_delay_alu instid0(VALU_DEP_2)
	v_fmac_f32_e32 v108, v104, v114
	v_movrels_b32_e32 v104, v34
	s_mov_b32 m0, s2
	s_add_nc_u64 s[2:3], s[2:3], 8
	v_movrels_b32_e32 v110, v34
	v_dual_fmac_f32 v108, v109, v115 :: v_dual_add_nc_u32 v109, s2, v106
	s_add_co_i32 s8, s2, -7
	s_wait_dscnt 0x0
	s_delay_alu instid0(VALU_DEP_1) | instskip(NEXT) | instid1(VALU_DEP_2)
	v_fmac_f32_e32 v108, v104, v116
	v_cmp_eq_u32_e32 vcc_lo, 22, v109
	s_delay_alu instid0(VALU_DEP_2) | instskip(SKIP_1) | instid1(SALU_CYCLE_1)
	v_dual_mov_b32 v104, s8 :: v_dual_fmac_f32 v108, v110, v117
	s_or_b32 s6, vcc_lo, s6
	s_and_not1_b32 exec_lo, exec_lo, s6
	s_cbranch_execnz .LBB18_41
; %bb.42:
	s_or_b32 exec_lo, exec_lo, s6
.LBB18_43:
	s_delay_alu instid0(SALU_CYCLE_1) | instskip(SKIP_3) | instid1(VALU_DEP_1)
	s_or_b32 exec_lo, exec_lo, s1
	v_and_b32_e32 v53, 7, v105
	s_mov_b32 s2, 0
	s_mov_b32 s1, exec_lo
	v_cmpx_ne_u32_e32 0, v53
	s_cbranch_execz .LBB18_47
; %bb.44:
	v_lshl_add_u32 v54, v104, 2, 0x50
	v_mov_b32_e32 v105, 0
.LBB18_45:                              ; =>This Inner Loop Header: Depth=1
	v_cmp_eq_u32_e32 vcc_lo, 1, v104
	ds_load_b32 v56, v54
	v_dual_add_nc_u32 v53, -1, v53 :: v_dual_add_nc_u32 v54, 4, v54
	v_cndmask_b32_e32 v55, v34, v35, vcc_lo
	v_cmp_eq_u32_e32 vcc_lo, 2, v104
	s_delay_alu instid0(VALU_DEP_2) | instskip(SKIP_1) | instid1(VALU_DEP_2)
	v_cndmask_b32_e32 v55, v55, v36, vcc_lo
	v_cmp_eq_u32_e32 vcc_lo, 3, v104
	v_cndmask_b32_e32 v55, v55, v37, vcc_lo
	v_cmp_eq_u32_e32 vcc_lo, 4, v104
	s_delay_alu instid0(VALU_DEP_2) | instskip(SKIP_1) | instid1(VALU_DEP_2)
	v_cndmask_b32_e32 v55, v55, v38, vcc_lo
	v_cmp_eq_u32_e32 vcc_lo, 5, v104
	;; [unrolled: 5-line block ×8, first 2 shown]
	v_cndmask_b32_e32 v55, v55, v51, vcc_lo
	v_cmp_eq_u32_e32 vcc_lo, 18, v104
	v_add_nc_u64_e32 v[104:105], 1, v[104:105]
	s_delay_alu instid0(VALU_DEP_3) | instskip(SKIP_2) | instid1(VALU_DEP_2)
	v_cndmask_b32_e32 v55, v55, v52, vcc_lo
	v_cmp_eq_u32_e32 vcc_lo, 0, v53
	s_wait_dscnt 0x0
	v_fmac_f32_e32 v108, v55, v56
	s_or_b32 s2, vcc_lo, s2
	s_delay_alu instid0(SALU_CYCLE_1)
	s_and_not1_b32 exec_lo, exec_lo, s2
	s_cbranch_execnz .LBB18_45
; %bb.46:
	s_or_b32 exec_lo, exec_lo, s2
.LBB18_47:
	s_delay_alu instid0(SALU_CYCLE_1)
	s_or_b32 exec_lo, exec_lo, s1
.LBB18_48:
	s_delay_alu instid0(SALU_CYCLE_1)
	s_or_b32 exec_lo, exec_lo, s5
	v_mov_b32_e32 v48, 0
	ds_load_b32 v48, v48 offset:56
	s_wait_dscnt 0x0
	v_mul_f32_e32 v48, v108, v48
.LBB18_49:
	s_or_b32 exec_lo, exec_lo, s4
	v_cmp_lt_u32_e64 s1, 13, v0
	ds_store_b32 v107, v47
	s_wait_dscnt 0x0
	s_barrier_signal -1
	s_barrier_wait -1
	s_and_saveexec_b32 s4, s1
	s_cbranch_execz .LBB18_65
; %bb.50:
	s_and_not1_b32 vcc_lo, exec_lo, s19
	s_cbranch_vccnz .LBB18_52
; %bb.51:
	v_cmp_eq_u32_e32 vcc_lo, 1, v0
	ds_load_b32 v105, v107
	v_cndmask_b32_e32 v104, v34, v35, vcc_lo
	v_cmp_eq_u32_e32 vcc_lo, 2, v0
	s_delay_alu instid0(VALU_DEP_2) | instskip(SKIP_1) | instid1(VALU_DEP_2)
	v_cndmask_b32_e32 v104, v104, v36, vcc_lo
	v_cmp_eq_u32_e32 vcc_lo, 3, v0
	v_cndmask_b32_e32 v104, v104, v37, vcc_lo
	v_cmp_eq_u32_e32 vcc_lo, 4, v0
	s_delay_alu instid0(VALU_DEP_2) | instskip(SKIP_1) | instid1(VALU_DEP_2)
	v_cndmask_b32_e32 v104, v104, v38, vcc_lo
	v_cmp_eq_u32_e32 vcc_lo, 5, v0
	;; [unrolled: 5-line block ×8, first 2 shown]
	v_cndmask_b32_e32 v104, v104, v51, vcc_lo
	v_cmp_eq_u32_e32 vcc_lo, 18, v0
	s_delay_alu instid0(VALU_DEP_2) | instskip(SKIP_1) | instid1(VALU_DEP_1)
	v_cndmask_b32_e32 v104, v104, v52, vcc_lo
	s_wait_dscnt 0x0
	v_mul_f32_e32 v108, v104, v105
	s_cbranch_execz .LBB18_53
	s_branch .LBB18_54
.LBB18_52:
                                        ; implicit-def: $vgpr108
.LBB18_53:
	ds_load_b32 v108, v107
.LBB18_54:
	s_and_saveexec_b32 s5, s0
	s_cbranch_execz .LBB18_64
; %bb.55:
	v_dual_add_nc_u32 v104, -15, v0 :: v_dual_add_nc_u32 v105, -14, v0
	s_delay_alu instid0(VALU_DEP_1)
	v_cmp_lt_u32_e32 vcc_lo, 6, v104
	v_mov_b32_e32 v104, 14
	s_and_saveexec_b32 s0, vcc_lo
	s_cbranch_execz .LBB18_59
; %bb.56:
	v_and_b32_e32 v104, -8, v105
	s_mov_b32 s6, 0
	s_mov_b64 s[2:3], 21
	s_movk_i32 s7, 0x88
	s_delay_alu instid0(VALU_DEP_1)
	v_sub_nc_u32_e32 v106, 0, v104
.LBB18_57:                              ; =>This Inner Loop Header: Depth=1
	s_add_co_i32 m0, s2, -7
	v_movrels_b32_e32 v109, v34
	v_mov_b32_e32 v104, s7
	s_add_co_i32 m0, s2, -6
	s_add_co_i32 s7, s7, 32
	v_movrels_b32_e32 v118, v34
	s_add_co_i32 m0, s2, -5
	ds_load_2addr_b64 v[110:113], v104 offset1:1
	ds_load_2addr_b64 v[114:117], v104 offset0:2 offset1:3
	v_movrels_b32_e32 v104, v34
	s_add_co_i32 m0, s2, -4
	s_wait_dscnt 0x1
	v_fmac_f32_e32 v108, v109, v110
	v_movrels_b32_e32 v109, v34
	s_add_co_i32 m0, s2, -3
	s_delay_alu instid0(VALU_DEP_2) | instskip(NEXT) | instid1(VALU_DEP_1)
	v_fmac_f32_e32 v108, v118, v111
	v_fmac_f32_e32 v108, v104, v112
	v_movrels_b32_e32 v104, v34
	s_add_co_i32 m0, s2, -2
	s_delay_alu instid0(VALU_DEP_2) | instskip(SKIP_3) | instid1(VALU_DEP_2)
	v_fmac_f32_e32 v108, v109, v113
	v_movrels_b32_e32 v109, v34
	s_add_co_i32 m0, s2, -1
	s_wait_dscnt 0x0
	v_fmac_f32_e32 v108, v104, v114
	v_movrels_b32_e32 v104, v34
	s_mov_b32 m0, s2
	s_add_nc_u64 s[2:3], s[2:3], 8
	v_movrels_b32_e32 v110, v34
	v_dual_fmac_f32 v108, v109, v115 :: v_dual_add_nc_u32 v109, s2, v106
	s_add_co_i32 s8, s2, -7
	s_delay_alu instid0(VALU_DEP_1) | instskip(NEXT) | instid1(VALU_DEP_2)
	v_fmac_f32_e32 v108, v104, v116
	v_cmp_eq_u32_e32 vcc_lo, 21, v109
	s_delay_alu instid0(VALU_DEP_2) | instskip(SKIP_1) | instid1(SALU_CYCLE_1)
	v_dual_mov_b32 v104, s8 :: v_dual_fmac_f32 v108, v110, v117
	s_or_b32 s6, vcc_lo, s6
	s_and_not1_b32 exec_lo, exec_lo, s6
	s_cbranch_execnz .LBB18_57
; %bb.58:
	s_or_b32 exec_lo, exec_lo, s6
.LBB18_59:
	s_delay_alu instid0(SALU_CYCLE_1) | instskip(SKIP_3) | instid1(VALU_DEP_1)
	s_or_b32 exec_lo, exec_lo, s0
	v_and_b32_e32 v53, 7, v105
	s_mov_b32 s2, 0
	s_mov_b32 s0, exec_lo
	v_cmpx_ne_u32_e32 0, v53
	s_cbranch_execz .LBB18_63
; %bb.60:
	v_lshl_add_u32 v54, v104, 2, 0x50
	v_mov_b32_e32 v105, 0
.LBB18_61:                              ; =>This Inner Loop Header: Depth=1
	v_cmp_eq_u32_e32 vcc_lo, 1, v104
	ds_load_b32 v56, v54
	v_dual_add_nc_u32 v53, -1, v53 :: v_dual_add_nc_u32 v54, 4, v54
	v_cndmask_b32_e32 v55, v34, v35, vcc_lo
	v_cmp_eq_u32_e32 vcc_lo, 2, v104
	s_delay_alu instid0(VALU_DEP_2) | instskip(SKIP_1) | instid1(VALU_DEP_2)
	v_cndmask_b32_e32 v55, v55, v36, vcc_lo
	v_cmp_eq_u32_e32 vcc_lo, 3, v104
	v_cndmask_b32_e32 v55, v55, v37, vcc_lo
	v_cmp_eq_u32_e32 vcc_lo, 4, v104
	s_delay_alu instid0(VALU_DEP_2) | instskip(SKIP_1) | instid1(VALU_DEP_2)
	v_cndmask_b32_e32 v55, v55, v38, vcc_lo
	v_cmp_eq_u32_e32 vcc_lo, 5, v104
	;; [unrolled: 5-line block ×8, first 2 shown]
	v_cndmask_b32_e32 v55, v55, v51, vcc_lo
	v_cmp_eq_u32_e32 vcc_lo, 18, v104
	v_add_nc_u64_e32 v[104:105], 1, v[104:105]
	s_delay_alu instid0(VALU_DEP_3) | instskip(SKIP_2) | instid1(VALU_DEP_2)
	v_cndmask_b32_e32 v55, v55, v52, vcc_lo
	v_cmp_eq_u32_e32 vcc_lo, 0, v53
	s_wait_dscnt 0x0
	v_fmac_f32_e32 v108, v55, v56
	s_or_b32 s2, vcc_lo, s2
	s_delay_alu instid0(SALU_CYCLE_1)
	s_and_not1_b32 exec_lo, exec_lo, s2
	s_cbranch_execnz .LBB18_61
; %bb.62:
	s_or_b32 exec_lo, exec_lo, s2
.LBB18_63:
	s_delay_alu instid0(SALU_CYCLE_1)
	s_or_b32 exec_lo, exec_lo, s0
.LBB18_64:
	s_delay_alu instid0(SALU_CYCLE_1)
	s_or_b32 exec_lo, exec_lo, s5
	v_mov_b32_e32 v47, 0
	ds_load_b32 v47, v47 offset:52
	s_wait_dscnt 0x0
	v_mul_f32_e32 v47, v108, v47
.LBB18_65:
	s_or_b32 exec_lo, exec_lo, s4
	v_cmp_lt_u32_e64 s0, 12, v0
	ds_store_b32 v107, v46
	s_wait_dscnt 0x0
	s_barrier_signal -1
	s_barrier_wait -1
	s_and_saveexec_b32 s4, s0
	s_cbranch_execz .LBB18_81
; %bb.66:
	s_and_not1_b32 vcc_lo, exec_lo, s19
	s_cbranch_vccnz .LBB18_68
; %bb.67:
	v_cmp_eq_u32_e32 vcc_lo, 1, v0
	ds_load_b32 v105, v107
	v_cndmask_b32_e32 v104, v34, v35, vcc_lo
	v_cmp_eq_u32_e32 vcc_lo, 2, v0
	s_delay_alu instid0(VALU_DEP_2) | instskip(SKIP_1) | instid1(VALU_DEP_2)
	v_cndmask_b32_e32 v104, v104, v36, vcc_lo
	v_cmp_eq_u32_e32 vcc_lo, 3, v0
	v_cndmask_b32_e32 v104, v104, v37, vcc_lo
	v_cmp_eq_u32_e32 vcc_lo, 4, v0
	s_delay_alu instid0(VALU_DEP_2) | instskip(SKIP_1) | instid1(VALU_DEP_2)
	v_cndmask_b32_e32 v104, v104, v38, vcc_lo
	v_cmp_eq_u32_e32 vcc_lo, 5, v0
	;; [unrolled: 5-line block ×8, first 2 shown]
	v_cndmask_b32_e32 v104, v104, v51, vcc_lo
	v_cmp_eq_u32_e32 vcc_lo, 18, v0
	s_delay_alu instid0(VALU_DEP_2) | instskip(SKIP_1) | instid1(VALU_DEP_1)
	v_cndmask_b32_e32 v104, v104, v52, vcc_lo
	s_wait_dscnt 0x0
	v_mul_f32_e32 v108, v104, v105
	s_cbranch_execz .LBB18_69
	s_branch .LBB18_70
.LBB18_68:
                                        ; implicit-def: $vgpr108
.LBB18_69:
	ds_load_b32 v108, v107
.LBB18_70:
	s_and_saveexec_b32 s5, s1
	s_cbranch_execz .LBB18_80
; %bb.71:
	v_dual_add_nc_u32 v104, -14, v0 :: v_dual_add_nc_u32 v105, -13, v0
	s_delay_alu instid0(VALU_DEP_1)
	v_cmp_lt_u32_e32 vcc_lo, 6, v104
	v_mov_b32_e32 v104, 13
	s_and_saveexec_b32 s1, vcc_lo
	s_cbranch_execz .LBB18_75
; %bb.72:
	v_and_b32_e32 v104, -8, v105
	s_mov_b32 s6, 0
	s_mov_b64 s[2:3], 20
	s_movk_i32 s7, 0x84
	s_delay_alu instid0(VALU_DEP_1)
	v_sub_nc_u32_e32 v106, 0, v104
.LBB18_73:                              ; =>This Inner Loop Header: Depth=1
	s_add_co_i32 m0, s2, -7
	v_movrels_b32_e32 v109, v34
	v_mov_b32_e32 v104, s7
	s_add_co_i32 m0, s2, -6
	s_add_co_i32 s7, s7, 32
	v_movrels_b32_e32 v118, v34
	ds_load_2addr_b32 v[110:111], v104 offset1:1
	ds_load_2addr_b32 v[112:113], v104 offset0:2 offset1:3
	s_add_co_i32 m0, s2, -5
	s_wait_dscnt 0x1
	v_fmac_f32_e32 v108, v109, v110
	ds_load_2addr_b32 v[114:115], v104 offset0:4 offset1:5
	ds_load_2addr_b32 v[116:117], v104 offset0:6 offset1:7
	v_movrels_b32_e32 v104, v34
	s_add_co_i32 m0, s2, -4
	v_fmac_f32_e32 v108, v118, v111
	v_movrels_b32_e32 v109, v34
	s_add_co_i32 m0, s2, -3
	s_wait_dscnt 0x2
	s_delay_alu instid0(VALU_DEP_2) | instskip(SKIP_2) | instid1(VALU_DEP_2)
	v_fmac_f32_e32 v108, v104, v112
	v_movrels_b32_e32 v104, v34
	s_add_co_i32 m0, s2, -2
	v_fmac_f32_e32 v108, v109, v113
	v_movrels_b32_e32 v109, v34
	s_add_co_i32 m0, s2, -1
	s_wait_dscnt 0x1
	s_delay_alu instid0(VALU_DEP_2)
	v_fmac_f32_e32 v108, v104, v114
	v_movrels_b32_e32 v104, v34
	s_mov_b32 m0, s2
	s_add_nc_u64 s[2:3], s[2:3], 8
	v_movrels_b32_e32 v110, v34
	v_dual_fmac_f32 v108, v109, v115 :: v_dual_add_nc_u32 v109, s2, v106
	s_add_co_i32 s8, s2, -7
	s_wait_dscnt 0x0
	s_delay_alu instid0(VALU_DEP_1) | instskip(NEXT) | instid1(VALU_DEP_2)
	v_fmac_f32_e32 v108, v104, v116
	v_cmp_eq_u32_e32 vcc_lo, 20, v109
	s_delay_alu instid0(VALU_DEP_2) | instskip(SKIP_1) | instid1(SALU_CYCLE_1)
	v_dual_mov_b32 v104, s8 :: v_dual_fmac_f32 v108, v110, v117
	s_or_b32 s6, vcc_lo, s6
	s_and_not1_b32 exec_lo, exec_lo, s6
	s_cbranch_execnz .LBB18_73
; %bb.74:
	s_or_b32 exec_lo, exec_lo, s6
.LBB18_75:
	s_delay_alu instid0(SALU_CYCLE_1) | instskip(SKIP_3) | instid1(VALU_DEP_1)
	s_or_b32 exec_lo, exec_lo, s1
	v_and_b32_e32 v53, 7, v105
	s_mov_b32 s2, 0
	s_mov_b32 s1, exec_lo
	v_cmpx_ne_u32_e32 0, v53
	s_cbranch_execz .LBB18_79
; %bb.76:
	v_lshl_add_u32 v54, v104, 2, 0x50
	v_mov_b32_e32 v105, 0
.LBB18_77:                              ; =>This Inner Loop Header: Depth=1
	v_cmp_eq_u32_e32 vcc_lo, 1, v104
	ds_load_b32 v56, v54
	v_dual_add_nc_u32 v53, -1, v53 :: v_dual_add_nc_u32 v54, 4, v54
	v_cndmask_b32_e32 v55, v34, v35, vcc_lo
	v_cmp_eq_u32_e32 vcc_lo, 2, v104
	s_delay_alu instid0(VALU_DEP_2) | instskip(SKIP_1) | instid1(VALU_DEP_2)
	v_cndmask_b32_e32 v55, v55, v36, vcc_lo
	v_cmp_eq_u32_e32 vcc_lo, 3, v104
	v_cndmask_b32_e32 v55, v55, v37, vcc_lo
	v_cmp_eq_u32_e32 vcc_lo, 4, v104
	s_delay_alu instid0(VALU_DEP_2) | instskip(SKIP_1) | instid1(VALU_DEP_2)
	v_cndmask_b32_e32 v55, v55, v38, vcc_lo
	v_cmp_eq_u32_e32 vcc_lo, 5, v104
	;; [unrolled: 5-line block ×8, first 2 shown]
	v_cndmask_b32_e32 v55, v55, v51, vcc_lo
	v_cmp_eq_u32_e32 vcc_lo, 18, v104
	v_add_nc_u64_e32 v[104:105], 1, v[104:105]
	s_delay_alu instid0(VALU_DEP_3) | instskip(SKIP_2) | instid1(VALU_DEP_2)
	v_cndmask_b32_e32 v55, v55, v52, vcc_lo
	v_cmp_eq_u32_e32 vcc_lo, 0, v53
	s_wait_dscnt 0x0
	v_fmac_f32_e32 v108, v55, v56
	s_or_b32 s2, vcc_lo, s2
	s_delay_alu instid0(SALU_CYCLE_1)
	s_and_not1_b32 exec_lo, exec_lo, s2
	s_cbranch_execnz .LBB18_77
; %bb.78:
	s_or_b32 exec_lo, exec_lo, s2
.LBB18_79:
	s_delay_alu instid0(SALU_CYCLE_1)
	s_or_b32 exec_lo, exec_lo, s1
.LBB18_80:
	s_delay_alu instid0(SALU_CYCLE_1)
	s_or_b32 exec_lo, exec_lo, s5
	v_mov_b32_e32 v46, 0
	ds_load_b32 v46, v46 offset:48
	s_wait_dscnt 0x0
	v_mul_f32_e32 v46, v108, v46
.LBB18_81:
	s_or_b32 exec_lo, exec_lo, s4
	v_cmp_lt_u32_e64 s1, 11, v0
	ds_store_b32 v107, v45
	s_wait_dscnt 0x0
	s_barrier_signal -1
	s_barrier_wait -1
	s_and_saveexec_b32 s4, s1
	s_cbranch_execz .LBB18_97
; %bb.82:
	s_and_not1_b32 vcc_lo, exec_lo, s19
	s_cbranch_vccnz .LBB18_84
; %bb.83:
	v_cmp_eq_u32_e32 vcc_lo, 1, v0
	ds_load_b32 v105, v107
	v_cndmask_b32_e32 v104, v34, v35, vcc_lo
	v_cmp_eq_u32_e32 vcc_lo, 2, v0
	s_delay_alu instid0(VALU_DEP_2) | instskip(SKIP_1) | instid1(VALU_DEP_2)
	v_cndmask_b32_e32 v104, v104, v36, vcc_lo
	v_cmp_eq_u32_e32 vcc_lo, 3, v0
	v_cndmask_b32_e32 v104, v104, v37, vcc_lo
	v_cmp_eq_u32_e32 vcc_lo, 4, v0
	s_delay_alu instid0(VALU_DEP_2) | instskip(SKIP_1) | instid1(VALU_DEP_2)
	v_cndmask_b32_e32 v104, v104, v38, vcc_lo
	v_cmp_eq_u32_e32 vcc_lo, 5, v0
	;; [unrolled: 5-line block ×8, first 2 shown]
	v_cndmask_b32_e32 v104, v104, v51, vcc_lo
	v_cmp_eq_u32_e32 vcc_lo, 18, v0
	s_delay_alu instid0(VALU_DEP_2) | instskip(SKIP_1) | instid1(VALU_DEP_1)
	v_cndmask_b32_e32 v104, v104, v52, vcc_lo
	s_wait_dscnt 0x0
	v_mul_f32_e32 v108, v104, v105
	s_cbranch_execz .LBB18_85
	s_branch .LBB18_86
.LBB18_84:
                                        ; implicit-def: $vgpr108
.LBB18_85:
	ds_load_b32 v108, v107
.LBB18_86:
	s_and_saveexec_b32 s5, s0
	s_cbranch_execz .LBB18_96
; %bb.87:
	v_dual_add_nc_u32 v104, -13, v0 :: v_dual_add_nc_u32 v105, -12, v0
	s_delay_alu instid0(VALU_DEP_1)
	v_cmp_lt_u32_e32 vcc_lo, 6, v104
	v_mov_b32_e32 v104, 12
	s_and_saveexec_b32 s0, vcc_lo
	s_cbranch_execz .LBB18_91
; %bb.88:
	v_and_b32_e32 v104, -8, v105
	s_mov_b32 s6, 0
	s_mov_b64 s[2:3], 19
	s_movk_i32 s7, 0x80
	s_delay_alu instid0(VALU_DEP_1)
	v_sub_nc_u32_e32 v106, 0, v104
.LBB18_89:                              ; =>This Inner Loop Header: Depth=1
	s_add_co_i32 m0, s2, -7
	v_movrels_b32_e32 v109, v34
	v_mov_b32_e32 v104, s7
	s_add_co_i32 m0, s2, -6
	s_add_co_i32 s7, s7, 32
	v_movrels_b32_e32 v118, v34
	s_add_co_i32 m0, s2, -5
	ds_load_b128 v[110:113], v104
	ds_load_b128 v[114:117], v104 offset:16
	v_movrels_b32_e32 v104, v34
	s_add_co_i32 m0, s2, -4
	s_wait_dscnt 0x1
	v_fmac_f32_e32 v108, v109, v110
	v_movrels_b32_e32 v109, v34
	s_add_co_i32 m0, s2, -3
	s_delay_alu instid0(VALU_DEP_2) | instskip(NEXT) | instid1(VALU_DEP_1)
	v_fmac_f32_e32 v108, v118, v111
	v_fmac_f32_e32 v108, v104, v112
	v_movrels_b32_e32 v104, v34
	s_add_co_i32 m0, s2, -2
	s_delay_alu instid0(VALU_DEP_2) | instskip(SKIP_3) | instid1(VALU_DEP_2)
	v_fmac_f32_e32 v108, v109, v113
	v_movrels_b32_e32 v109, v34
	s_add_co_i32 m0, s2, -1
	s_wait_dscnt 0x0
	v_fmac_f32_e32 v108, v104, v114
	v_movrels_b32_e32 v104, v34
	s_mov_b32 m0, s2
	s_add_nc_u64 s[2:3], s[2:3], 8
	v_movrels_b32_e32 v110, v34
	v_dual_fmac_f32 v108, v109, v115 :: v_dual_add_nc_u32 v109, s2, v106
	s_add_co_i32 s8, s2, -7
	s_delay_alu instid0(VALU_DEP_1) | instskip(NEXT) | instid1(VALU_DEP_2)
	v_fmac_f32_e32 v108, v104, v116
	v_cmp_eq_u32_e32 vcc_lo, 19, v109
	s_delay_alu instid0(VALU_DEP_2) | instskip(SKIP_1) | instid1(SALU_CYCLE_1)
	v_dual_mov_b32 v104, s8 :: v_dual_fmac_f32 v108, v110, v117
	s_or_b32 s6, vcc_lo, s6
	s_and_not1_b32 exec_lo, exec_lo, s6
	s_cbranch_execnz .LBB18_89
; %bb.90:
	s_or_b32 exec_lo, exec_lo, s6
.LBB18_91:
	s_delay_alu instid0(SALU_CYCLE_1) | instskip(SKIP_3) | instid1(VALU_DEP_1)
	s_or_b32 exec_lo, exec_lo, s0
	v_and_b32_e32 v53, 7, v105
	s_mov_b32 s2, 0
	s_mov_b32 s0, exec_lo
	v_cmpx_ne_u32_e32 0, v53
	s_cbranch_execz .LBB18_95
; %bb.92:
	v_lshl_add_u32 v54, v104, 2, 0x50
	v_mov_b32_e32 v105, 0
.LBB18_93:                              ; =>This Inner Loop Header: Depth=1
	v_cmp_eq_u32_e32 vcc_lo, 1, v104
	ds_load_b32 v56, v54
	v_dual_add_nc_u32 v53, -1, v53 :: v_dual_add_nc_u32 v54, 4, v54
	v_cndmask_b32_e32 v55, v34, v35, vcc_lo
	v_cmp_eq_u32_e32 vcc_lo, 2, v104
	s_delay_alu instid0(VALU_DEP_2) | instskip(SKIP_1) | instid1(VALU_DEP_2)
	v_cndmask_b32_e32 v55, v55, v36, vcc_lo
	v_cmp_eq_u32_e32 vcc_lo, 3, v104
	v_cndmask_b32_e32 v55, v55, v37, vcc_lo
	v_cmp_eq_u32_e32 vcc_lo, 4, v104
	s_delay_alu instid0(VALU_DEP_2) | instskip(SKIP_1) | instid1(VALU_DEP_2)
	v_cndmask_b32_e32 v55, v55, v38, vcc_lo
	v_cmp_eq_u32_e32 vcc_lo, 5, v104
	v_cndmask_b32_e32 v55, v55, v39, vcc_lo
	v_cmp_eq_u32_e32 vcc_lo, 6, v104
	s_delay_alu instid0(VALU_DEP_2) | instskip(SKIP_1) | instid1(VALU_DEP_2)
	v_cndmask_b32_e32 v55, v55, v40, vcc_lo
	v_cmp_eq_u32_e32 vcc_lo, 7, v104
	v_cndmask_b32_e32 v55, v55, v41, vcc_lo
	v_cmp_eq_u32_e32 vcc_lo, 8, v104
	s_delay_alu instid0(VALU_DEP_2) | instskip(SKIP_1) | instid1(VALU_DEP_2)
	v_cndmask_b32_e32 v55, v55, v42, vcc_lo
	v_cmp_eq_u32_e32 vcc_lo, 9, v104
	v_cndmask_b32_e32 v55, v55, v43, vcc_lo
	v_cmp_eq_u32_e32 vcc_lo, 10, v104
	s_delay_alu instid0(VALU_DEP_2) | instskip(SKIP_1) | instid1(VALU_DEP_2)
	v_cndmask_b32_e32 v55, v55, v44, vcc_lo
	v_cmp_eq_u32_e32 vcc_lo, 11, v104
	v_cndmask_b32_e32 v55, v55, v45, vcc_lo
	v_cmp_eq_u32_e32 vcc_lo, 12, v104
	s_delay_alu instid0(VALU_DEP_2) | instskip(SKIP_1) | instid1(VALU_DEP_2)
	v_cndmask_b32_e32 v55, v55, v46, vcc_lo
	v_cmp_eq_u32_e32 vcc_lo, 13, v104
	v_cndmask_b32_e32 v55, v55, v47, vcc_lo
	v_cmp_eq_u32_e32 vcc_lo, 14, v104
	s_delay_alu instid0(VALU_DEP_2) | instskip(SKIP_1) | instid1(VALU_DEP_2)
	v_cndmask_b32_e32 v55, v55, v48, vcc_lo
	v_cmp_eq_u32_e32 vcc_lo, 15, v104
	v_cndmask_b32_e32 v55, v55, v49, vcc_lo
	v_cmp_eq_u32_e32 vcc_lo, 16, v104
	s_delay_alu instid0(VALU_DEP_2) | instskip(SKIP_1) | instid1(VALU_DEP_2)
	v_cndmask_b32_e32 v55, v55, v50, vcc_lo
	v_cmp_eq_u32_e32 vcc_lo, 17, v104
	v_cndmask_b32_e32 v55, v55, v51, vcc_lo
	v_cmp_eq_u32_e32 vcc_lo, 18, v104
	v_add_nc_u64_e32 v[104:105], 1, v[104:105]
	s_delay_alu instid0(VALU_DEP_3) | instskip(SKIP_2) | instid1(VALU_DEP_2)
	v_cndmask_b32_e32 v55, v55, v52, vcc_lo
	v_cmp_eq_u32_e32 vcc_lo, 0, v53
	s_wait_dscnt 0x0
	v_fmac_f32_e32 v108, v55, v56
	s_or_b32 s2, vcc_lo, s2
	s_delay_alu instid0(SALU_CYCLE_1)
	s_and_not1_b32 exec_lo, exec_lo, s2
	s_cbranch_execnz .LBB18_93
; %bb.94:
	s_or_b32 exec_lo, exec_lo, s2
.LBB18_95:
	s_delay_alu instid0(SALU_CYCLE_1)
	s_or_b32 exec_lo, exec_lo, s0
.LBB18_96:
	s_delay_alu instid0(SALU_CYCLE_1)
	s_or_b32 exec_lo, exec_lo, s5
	v_mov_b32_e32 v45, 0
	ds_load_b32 v45, v45 offset:44
	s_wait_dscnt 0x0
	v_mul_f32_e32 v45, v108, v45
.LBB18_97:
	s_or_b32 exec_lo, exec_lo, s4
	v_cmp_lt_u32_e64 s0, 10, v0
	ds_store_b32 v107, v44
	s_wait_dscnt 0x0
	s_barrier_signal -1
	s_barrier_wait -1
	s_and_saveexec_b32 s4, s0
	s_cbranch_execz .LBB18_113
; %bb.98:
	s_and_not1_b32 vcc_lo, exec_lo, s19
	s_cbranch_vccnz .LBB18_100
; %bb.99:
	v_cmp_eq_u32_e32 vcc_lo, 1, v0
	ds_load_b32 v105, v107
	v_cndmask_b32_e32 v104, v34, v35, vcc_lo
	v_cmp_eq_u32_e32 vcc_lo, 2, v0
	s_delay_alu instid0(VALU_DEP_2) | instskip(SKIP_1) | instid1(VALU_DEP_2)
	v_cndmask_b32_e32 v104, v104, v36, vcc_lo
	v_cmp_eq_u32_e32 vcc_lo, 3, v0
	v_cndmask_b32_e32 v104, v104, v37, vcc_lo
	v_cmp_eq_u32_e32 vcc_lo, 4, v0
	s_delay_alu instid0(VALU_DEP_2) | instskip(SKIP_1) | instid1(VALU_DEP_2)
	v_cndmask_b32_e32 v104, v104, v38, vcc_lo
	v_cmp_eq_u32_e32 vcc_lo, 5, v0
	v_cndmask_b32_e32 v104, v104, v39, vcc_lo
	v_cmp_eq_u32_e32 vcc_lo, 6, v0
	s_delay_alu instid0(VALU_DEP_2) | instskip(SKIP_1) | instid1(VALU_DEP_2)
	v_cndmask_b32_e32 v104, v104, v40, vcc_lo
	v_cmp_eq_u32_e32 vcc_lo, 7, v0
	v_cndmask_b32_e32 v104, v104, v41, vcc_lo
	v_cmp_eq_u32_e32 vcc_lo, 8, v0
	s_delay_alu instid0(VALU_DEP_2) | instskip(SKIP_1) | instid1(VALU_DEP_2)
	v_cndmask_b32_e32 v104, v104, v42, vcc_lo
	v_cmp_eq_u32_e32 vcc_lo, 9, v0
	v_cndmask_b32_e32 v104, v104, v43, vcc_lo
	v_cmp_eq_u32_e32 vcc_lo, 10, v0
	s_delay_alu instid0(VALU_DEP_2) | instskip(SKIP_1) | instid1(VALU_DEP_2)
	v_cndmask_b32_e32 v104, v104, v44, vcc_lo
	v_cmp_eq_u32_e32 vcc_lo, 11, v0
	v_cndmask_b32_e32 v104, v104, v45, vcc_lo
	v_cmp_eq_u32_e32 vcc_lo, 12, v0
	s_delay_alu instid0(VALU_DEP_2) | instskip(SKIP_1) | instid1(VALU_DEP_2)
	v_cndmask_b32_e32 v104, v104, v46, vcc_lo
	v_cmp_eq_u32_e32 vcc_lo, 13, v0
	v_cndmask_b32_e32 v104, v104, v47, vcc_lo
	v_cmp_eq_u32_e32 vcc_lo, 14, v0
	s_delay_alu instid0(VALU_DEP_2) | instskip(SKIP_1) | instid1(VALU_DEP_2)
	v_cndmask_b32_e32 v104, v104, v48, vcc_lo
	v_cmp_eq_u32_e32 vcc_lo, 15, v0
	v_cndmask_b32_e32 v104, v104, v49, vcc_lo
	v_cmp_eq_u32_e32 vcc_lo, 16, v0
	s_delay_alu instid0(VALU_DEP_2) | instskip(SKIP_1) | instid1(VALU_DEP_2)
	v_cndmask_b32_e32 v104, v104, v50, vcc_lo
	v_cmp_eq_u32_e32 vcc_lo, 17, v0
	v_cndmask_b32_e32 v104, v104, v51, vcc_lo
	v_cmp_eq_u32_e32 vcc_lo, 18, v0
	s_delay_alu instid0(VALU_DEP_2) | instskip(SKIP_1) | instid1(VALU_DEP_1)
	v_cndmask_b32_e32 v104, v104, v52, vcc_lo
	s_wait_dscnt 0x0
	v_mul_f32_e32 v108, v104, v105
	s_cbranch_execz .LBB18_101
	s_branch .LBB18_102
.LBB18_100:
                                        ; implicit-def: $vgpr108
.LBB18_101:
	ds_load_b32 v108, v107
.LBB18_102:
	s_and_saveexec_b32 s5, s1
	s_cbranch_execz .LBB18_112
; %bb.103:
	v_dual_add_nc_u32 v104, -12, v0 :: v_dual_add_nc_u32 v105, -11, v0
	s_delay_alu instid0(VALU_DEP_1)
	v_cmp_lt_u32_e32 vcc_lo, 6, v104
	v_mov_b32_e32 v104, 11
	s_and_saveexec_b32 s1, vcc_lo
	s_cbranch_execz .LBB18_107
; %bb.104:
	v_and_b32_e32 v104, -8, v105
	s_mov_b32 s6, 0
	s_mov_b64 s[2:3], 18
	s_movk_i32 s7, 0x7c
	s_delay_alu instid0(VALU_DEP_1)
	v_sub_nc_u32_e32 v106, 0, v104
.LBB18_105:                             ; =>This Inner Loop Header: Depth=1
	s_add_co_i32 m0, s2, -7
	v_movrels_b32_e32 v109, v34
	v_mov_b32_e32 v104, s7
	s_add_co_i32 m0, s2, -6
	s_add_co_i32 s7, s7, 32
	v_movrels_b32_e32 v118, v34
	ds_load_2addr_b32 v[110:111], v104 offset1:1
	ds_load_2addr_b32 v[112:113], v104 offset0:2 offset1:3
	s_add_co_i32 m0, s2, -5
	s_wait_dscnt 0x1
	v_fmac_f32_e32 v108, v109, v110
	ds_load_2addr_b32 v[114:115], v104 offset0:4 offset1:5
	ds_load_2addr_b32 v[116:117], v104 offset0:6 offset1:7
	v_movrels_b32_e32 v104, v34
	s_add_co_i32 m0, s2, -4
	v_fmac_f32_e32 v108, v118, v111
	v_movrels_b32_e32 v109, v34
	s_add_co_i32 m0, s2, -3
	s_wait_dscnt 0x2
	s_delay_alu instid0(VALU_DEP_2) | instskip(SKIP_2) | instid1(VALU_DEP_2)
	v_fmac_f32_e32 v108, v104, v112
	v_movrels_b32_e32 v104, v34
	s_add_co_i32 m0, s2, -2
	v_fmac_f32_e32 v108, v109, v113
	v_movrels_b32_e32 v109, v34
	s_add_co_i32 m0, s2, -1
	s_wait_dscnt 0x1
	s_delay_alu instid0(VALU_DEP_2)
	v_fmac_f32_e32 v108, v104, v114
	v_movrels_b32_e32 v104, v34
	s_mov_b32 m0, s2
	s_add_nc_u64 s[2:3], s[2:3], 8
	v_movrels_b32_e32 v110, v34
	v_dual_fmac_f32 v108, v109, v115 :: v_dual_add_nc_u32 v109, s2, v106
	s_add_co_i32 s8, s2, -7
	s_wait_dscnt 0x0
	s_delay_alu instid0(VALU_DEP_1) | instskip(NEXT) | instid1(VALU_DEP_2)
	v_fmac_f32_e32 v108, v104, v116
	v_cmp_eq_u32_e32 vcc_lo, 18, v109
	s_delay_alu instid0(VALU_DEP_2) | instskip(SKIP_1) | instid1(SALU_CYCLE_1)
	v_dual_mov_b32 v104, s8 :: v_dual_fmac_f32 v108, v110, v117
	s_or_b32 s6, vcc_lo, s6
	s_and_not1_b32 exec_lo, exec_lo, s6
	s_cbranch_execnz .LBB18_105
; %bb.106:
	s_or_b32 exec_lo, exec_lo, s6
.LBB18_107:
	s_delay_alu instid0(SALU_CYCLE_1) | instskip(SKIP_3) | instid1(VALU_DEP_1)
	s_or_b32 exec_lo, exec_lo, s1
	v_and_b32_e32 v53, 7, v105
	s_mov_b32 s2, 0
	s_mov_b32 s1, exec_lo
	v_cmpx_ne_u32_e32 0, v53
	s_cbranch_execz .LBB18_111
; %bb.108:
	v_lshl_add_u32 v54, v104, 2, 0x50
	v_mov_b32_e32 v105, 0
.LBB18_109:                             ; =>This Inner Loop Header: Depth=1
	v_cmp_eq_u32_e32 vcc_lo, 1, v104
	ds_load_b32 v56, v54
	v_dual_add_nc_u32 v53, -1, v53 :: v_dual_add_nc_u32 v54, 4, v54
	v_cndmask_b32_e32 v55, v34, v35, vcc_lo
	v_cmp_eq_u32_e32 vcc_lo, 2, v104
	s_delay_alu instid0(VALU_DEP_2) | instskip(SKIP_1) | instid1(VALU_DEP_2)
	v_cndmask_b32_e32 v55, v55, v36, vcc_lo
	v_cmp_eq_u32_e32 vcc_lo, 3, v104
	v_cndmask_b32_e32 v55, v55, v37, vcc_lo
	v_cmp_eq_u32_e32 vcc_lo, 4, v104
	s_delay_alu instid0(VALU_DEP_2) | instskip(SKIP_1) | instid1(VALU_DEP_2)
	v_cndmask_b32_e32 v55, v55, v38, vcc_lo
	v_cmp_eq_u32_e32 vcc_lo, 5, v104
	;; [unrolled: 5-line block ×8, first 2 shown]
	v_cndmask_b32_e32 v55, v55, v51, vcc_lo
	v_cmp_eq_u32_e32 vcc_lo, 18, v104
	v_add_nc_u64_e32 v[104:105], 1, v[104:105]
	s_delay_alu instid0(VALU_DEP_3) | instskip(SKIP_2) | instid1(VALU_DEP_2)
	v_cndmask_b32_e32 v55, v55, v52, vcc_lo
	v_cmp_eq_u32_e32 vcc_lo, 0, v53
	s_wait_dscnt 0x0
	v_fmac_f32_e32 v108, v55, v56
	s_or_b32 s2, vcc_lo, s2
	s_delay_alu instid0(SALU_CYCLE_1)
	s_and_not1_b32 exec_lo, exec_lo, s2
	s_cbranch_execnz .LBB18_109
; %bb.110:
	s_or_b32 exec_lo, exec_lo, s2
.LBB18_111:
	s_delay_alu instid0(SALU_CYCLE_1)
	s_or_b32 exec_lo, exec_lo, s1
.LBB18_112:
	s_delay_alu instid0(SALU_CYCLE_1)
	s_or_b32 exec_lo, exec_lo, s5
	v_mov_b32_e32 v44, 0
	ds_load_b32 v44, v44 offset:40
	s_wait_dscnt 0x0
	v_mul_f32_e32 v44, v108, v44
.LBB18_113:
	s_or_b32 exec_lo, exec_lo, s4
	v_cmp_lt_u32_e64 s1, 9, v0
	ds_store_b32 v107, v43
	s_wait_dscnt 0x0
	s_barrier_signal -1
	s_barrier_wait -1
	s_and_saveexec_b32 s4, s1
	s_cbranch_execz .LBB18_129
; %bb.114:
	s_and_not1_b32 vcc_lo, exec_lo, s19
	s_cbranch_vccnz .LBB18_116
; %bb.115:
	v_cmp_eq_u32_e32 vcc_lo, 1, v0
	ds_load_b32 v105, v107
	v_cndmask_b32_e32 v104, v34, v35, vcc_lo
	v_cmp_eq_u32_e32 vcc_lo, 2, v0
	s_delay_alu instid0(VALU_DEP_2) | instskip(SKIP_1) | instid1(VALU_DEP_2)
	v_cndmask_b32_e32 v104, v104, v36, vcc_lo
	v_cmp_eq_u32_e32 vcc_lo, 3, v0
	v_cndmask_b32_e32 v104, v104, v37, vcc_lo
	v_cmp_eq_u32_e32 vcc_lo, 4, v0
	s_delay_alu instid0(VALU_DEP_2) | instskip(SKIP_1) | instid1(VALU_DEP_2)
	v_cndmask_b32_e32 v104, v104, v38, vcc_lo
	v_cmp_eq_u32_e32 vcc_lo, 5, v0
	;; [unrolled: 5-line block ×8, first 2 shown]
	v_cndmask_b32_e32 v104, v104, v51, vcc_lo
	v_cmp_eq_u32_e32 vcc_lo, 18, v0
	s_delay_alu instid0(VALU_DEP_2) | instskip(SKIP_1) | instid1(VALU_DEP_1)
	v_cndmask_b32_e32 v104, v104, v52, vcc_lo
	s_wait_dscnt 0x0
	v_mul_f32_e32 v108, v104, v105
	s_cbranch_execz .LBB18_117
	s_branch .LBB18_118
.LBB18_116:
                                        ; implicit-def: $vgpr108
.LBB18_117:
	ds_load_b32 v108, v107
.LBB18_118:
	s_and_saveexec_b32 s5, s0
	s_cbranch_execz .LBB18_128
; %bb.119:
	v_dual_add_nc_u32 v104, -11, v0 :: v_dual_add_nc_u32 v105, -10, v0
	s_delay_alu instid0(VALU_DEP_1)
	v_cmp_lt_u32_e32 vcc_lo, 6, v104
	v_mov_b32_e32 v104, 10
	s_and_saveexec_b32 s0, vcc_lo
	s_cbranch_execz .LBB18_123
; %bb.120:
	v_and_b32_e32 v104, -8, v105
	s_mov_b32 s6, 0
	s_mov_b64 s[2:3], 17
	s_movk_i32 s7, 0x78
	s_delay_alu instid0(VALU_DEP_1)
	v_sub_nc_u32_e32 v106, 0, v104
.LBB18_121:                             ; =>This Inner Loop Header: Depth=1
	s_add_co_i32 m0, s2, -7
	v_movrels_b32_e32 v109, v34
	v_mov_b32_e32 v104, s7
	s_add_co_i32 m0, s2, -6
	s_add_co_i32 s7, s7, 32
	v_movrels_b32_e32 v118, v34
	s_add_co_i32 m0, s2, -5
	ds_load_2addr_b64 v[110:113], v104 offset1:1
	ds_load_2addr_b64 v[114:117], v104 offset0:2 offset1:3
	v_movrels_b32_e32 v104, v34
	s_add_co_i32 m0, s2, -4
	s_wait_dscnt 0x1
	v_fmac_f32_e32 v108, v109, v110
	v_movrels_b32_e32 v109, v34
	s_add_co_i32 m0, s2, -3
	s_delay_alu instid0(VALU_DEP_2) | instskip(NEXT) | instid1(VALU_DEP_1)
	v_fmac_f32_e32 v108, v118, v111
	v_fmac_f32_e32 v108, v104, v112
	v_movrels_b32_e32 v104, v34
	s_add_co_i32 m0, s2, -2
	s_delay_alu instid0(VALU_DEP_2) | instskip(SKIP_3) | instid1(VALU_DEP_2)
	v_fmac_f32_e32 v108, v109, v113
	v_movrels_b32_e32 v109, v34
	s_add_co_i32 m0, s2, -1
	s_wait_dscnt 0x0
	v_fmac_f32_e32 v108, v104, v114
	v_movrels_b32_e32 v104, v34
	s_mov_b32 m0, s2
	s_add_nc_u64 s[2:3], s[2:3], 8
	v_movrels_b32_e32 v110, v34
	v_dual_fmac_f32 v108, v109, v115 :: v_dual_add_nc_u32 v109, s2, v106
	s_add_co_i32 s8, s2, -7
	s_delay_alu instid0(VALU_DEP_1) | instskip(NEXT) | instid1(VALU_DEP_2)
	v_fmac_f32_e32 v108, v104, v116
	v_cmp_eq_u32_e32 vcc_lo, 17, v109
	s_delay_alu instid0(VALU_DEP_2) | instskip(SKIP_1) | instid1(SALU_CYCLE_1)
	v_dual_mov_b32 v104, s8 :: v_dual_fmac_f32 v108, v110, v117
	s_or_b32 s6, vcc_lo, s6
	s_and_not1_b32 exec_lo, exec_lo, s6
	s_cbranch_execnz .LBB18_121
; %bb.122:
	s_or_b32 exec_lo, exec_lo, s6
.LBB18_123:
	s_delay_alu instid0(SALU_CYCLE_1) | instskip(SKIP_3) | instid1(VALU_DEP_1)
	s_or_b32 exec_lo, exec_lo, s0
	v_and_b32_e32 v53, 7, v105
	s_mov_b32 s2, 0
	s_mov_b32 s0, exec_lo
	v_cmpx_ne_u32_e32 0, v53
	s_cbranch_execz .LBB18_127
; %bb.124:
	v_lshl_add_u32 v54, v104, 2, 0x50
	v_mov_b32_e32 v105, 0
.LBB18_125:                             ; =>This Inner Loop Header: Depth=1
	v_cmp_eq_u32_e32 vcc_lo, 1, v104
	ds_load_b32 v56, v54
	v_dual_add_nc_u32 v53, -1, v53 :: v_dual_add_nc_u32 v54, 4, v54
	v_cndmask_b32_e32 v55, v34, v35, vcc_lo
	v_cmp_eq_u32_e32 vcc_lo, 2, v104
	s_delay_alu instid0(VALU_DEP_2) | instskip(SKIP_1) | instid1(VALU_DEP_2)
	v_cndmask_b32_e32 v55, v55, v36, vcc_lo
	v_cmp_eq_u32_e32 vcc_lo, 3, v104
	v_cndmask_b32_e32 v55, v55, v37, vcc_lo
	v_cmp_eq_u32_e32 vcc_lo, 4, v104
	s_delay_alu instid0(VALU_DEP_2) | instskip(SKIP_1) | instid1(VALU_DEP_2)
	v_cndmask_b32_e32 v55, v55, v38, vcc_lo
	v_cmp_eq_u32_e32 vcc_lo, 5, v104
	;; [unrolled: 5-line block ×8, first 2 shown]
	v_cndmask_b32_e32 v55, v55, v51, vcc_lo
	v_cmp_eq_u32_e32 vcc_lo, 18, v104
	v_add_nc_u64_e32 v[104:105], 1, v[104:105]
	s_delay_alu instid0(VALU_DEP_3) | instskip(SKIP_2) | instid1(VALU_DEP_2)
	v_cndmask_b32_e32 v55, v55, v52, vcc_lo
	v_cmp_eq_u32_e32 vcc_lo, 0, v53
	s_wait_dscnt 0x0
	v_fmac_f32_e32 v108, v55, v56
	s_or_b32 s2, vcc_lo, s2
	s_delay_alu instid0(SALU_CYCLE_1)
	s_and_not1_b32 exec_lo, exec_lo, s2
	s_cbranch_execnz .LBB18_125
; %bb.126:
	s_or_b32 exec_lo, exec_lo, s2
.LBB18_127:
	s_delay_alu instid0(SALU_CYCLE_1)
	s_or_b32 exec_lo, exec_lo, s0
.LBB18_128:
	s_delay_alu instid0(SALU_CYCLE_1)
	s_or_b32 exec_lo, exec_lo, s5
	v_mov_b32_e32 v43, 0
	ds_load_b32 v43, v43 offset:36
	s_wait_dscnt 0x0
	v_mul_f32_e32 v43, v108, v43
.LBB18_129:
	s_or_b32 exec_lo, exec_lo, s4
	v_cmp_lt_u32_e64 s0, 8, v0
	ds_store_b32 v107, v42
	s_wait_dscnt 0x0
	s_barrier_signal -1
	s_barrier_wait -1
	s_and_saveexec_b32 s4, s0
	s_cbranch_execz .LBB18_145
; %bb.130:
	s_and_not1_b32 vcc_lo, exec_lo, s19
	s_cbranch_vccnz .LBB18_132
; %bb.131:
	v_cmp_eq_u32_e32 vcc_lo, 1, v0
	ds_load_b32 v105, v107
	v_cndmask_b32_e32 v104, v34, v35, vcc_lo
	v_cmp_eq_u32_e32 vcc_lo, 2, v0
	s_delay_alu instid0(VALU_DEP_2) | instskip(SKIP_1) | instid1(VALU_DEP_2)
	v_cndmask_b32_e32 v104, v104, v36, vcc_lo
	v_cmp_eq_u32_e32 vcc_lo, 3, v0
	v_cndmask_b32_e32 v104, v104, v37, vcc_lo
	v_cmp_eq_u32_e32 vcc_lo, 4, v0
	s_delay_alu instid0(VALU_DEP_2) | instskip(SKIP_1) | instid1(VALU_DEP_2)
	v_cndmask_b32_e32 v104, v104, v38, vcc_lo
	v_cmp_eq_u32_e32 vcc_lo, 5, v0
	;; [unrolled: 5-line block ×8, first 2 shown]
	v_cndmask_b32_e32 v104, v104, v51, vcc_lo
	v_cmp_eq_u32_e32 vcc_lo, 18, v0
	s_delay_alu instid0(VALU_DEP_2) | instskip(SKIP_1) | instid1(VALU_DEP_1)
	v_cndmask_b32_e32 v104, v104, v52, vcc_lo
	s_wait_dscnt 0x0
	v_mul_f32_e32 v108, v104, v105
	s_cbranch_execz .LBB18_133
	s_branch .LBB18_134
.LBB18_132:
                                        ; implicit-def: $vgpr108
.LBB18_133:
	ds_load_b32 v108, v107
.LBB18_134:
	s_and_saveexec_b32 s5, s1
	s_cbranch_execz .LBB18_144
; %bb.135:
	v_dual_add_nc_u32 v104, -10, v0 :: v_dual_add_nc_u32 v105, -9, v0
	s_delay_alu instid0(VALU_DEP_1)
	v_cmp_lt_u32_e32 vcc_lo, 6, v104
	v_mov_b32_e32 v104, 9
	s_and_saveexec_b32 s1, vcc_lo
	s_cbranch_execz .LBB18_139
; %bb.136:
	v_and_b32_e32 v104, -8, v105
	s_mov_b32 s6, 0
	s_mov_b64 s[2:3], 16
	s_movk_i32 s7, 0x74
	s_delay_alu instid0(VALU_DEP_1)
	v_sub_nc_u32_e32 v106, 0, v104
.LBB18_137:                             ; =>This Inner Loop Header: Depth=1
	s_add_co_i32 m0, s2, -7
	v_movrels_b32_e32 v109, v34
	v_mov_b32_e32 v104, s7
	s_add_co_i32 m0, s2, -6
	s_add_co_i32 s7, s7, 32
	v_movrels_b32_e32 v118, v34
	ds_load_2addr_b32 v[110:111], v104 offset1:1
	ds_load_2addr_b32 v[112:113], v104 offset0:2 offset1:3
	s_add_co_i32 m0, s2, -5
	s_wait_dscnt 0x1
	v_fmac_f32_e32 v108, v109, v110
	ds_load_2addr_b32 v[114:115], v104 offset0:4 offset1:5
	ds_load_2addr_b32 v[116:117], v104 offset0:6 offset1:7
	v_movrels_b32_e32 v104, v34
	s_add_co_i32 m0, s2, -4
	v_fmac_f32_e32 v108, v118, v111
	v_movrels_b32_e32 v109, v34
	s_add_co_i32 m0, s2, -3
	s_wait_dscnt 0x2
	s_delay_alu instid0(VALU_DEP_2) | instskip(SKIP_2) | instid1(VALU_DEP_2)
	v_fmac_f32_e32 v108, v104, v112
	v_movrels_b32_e32 v104, v34
	s_add_co_i32 m0, s2, -2
	v_fmac_f32_e32 v108, v109, v113
	v_movrels_b32_e32 v109, v34
	s_add_co_i32 m0, s2, -1
	s_wait_dscnt 0x1
	s_delay_alu instid0(VALU_DEP_2)
	v_fmac_f32_e32 v108, v104, v114
	v_movrels_b32_e32 v104, v34
	s_mov_b32 m0, s2
	s_add_nc_u64 s[2:3], s[2:3], 8
	v_movrels_b32_e32 v110, v34
	v_dual_fmac_f32 v108, v109, v115 :: v_dual_add_nc_u32 v109, s2, v106
	s_add_co_i32 s8, s2, -7
	s_wait_dscnt 0x0
	s_delay_alu instid0(VALU_DEP_1) | instskip(NEXT) | instid1(VALU_DEP_2)
	v_fmac_f32_e32 v108, v104, v116
	v_cmp_eq_u32_e32 vcc_lo, 16, v109
	s_delay_alu instid0(VALU_DEP_2) | instskip(SKIP_1) | instid1(SALU_CYCLE_1)
	v_dual_mov_b32 v104, s8 :: v_dual_fmac_f32 v108, v110, v117
	s_or_b32 s6, vcc_lo, s6
	s_and_not1_b32 exec_lo, exec_lo, s6
	s_cbranch_execnz .LBB18_137
; %bb.138:
	s_or_b32 exec_lo, exec_lo, s6
.LBB18_139:
	s_delay_alu instid0(SALU_CYCLE_1) | instskip(SKIP_3) | instid1(VALU_DEP_1)
	s_or_b32 exec_lo, exec_lo, s1
	v_and_b32_e32 v53, 7, v105
	s_mov_b32 s2, 0
	s_mov_b32 s1, exec_lo
	v_cmpx_ne_u32_e32 0, v53
	s_cbranch_execz .LBB18_143
; %bb.140:
	v_lshl_add_u32 v54, v104, 2, 0x50
	v_mov_b32_e32 v105, 0
.LBB18_141:                             ; =>This Inner Loop Header: Depth=1
	v_cmp_eq_u32_e32 vcc_lo, 1, v104
	ds_load_b32 v56, v54
	v_dual_add_nc_u32 v53, -1, v53 :: v_dual_add_nc_u32 v54, 4, v54
	v_cndmask_b32_e32 v55, v34, v35, vcc_lo
	v_cmp_eq_u32_e32 vcc_lo, 2, v104
	s_delay_alu instid0(VALU_DEP_2) | instskip(SKIP_1) | instid1(VALU_DEP_2)
	v_cndmask_b32_e32 v55, v55, v36, vcc_lo
	v_cmp_eq_u32_e32 vcc_lo, 3, v104
	v_cndmask_b32_e32 v55, v55, v37, vcc_lo
	v_cmp_eq_u32_e32 vcc_lo, 4, v104
	s_delay_alu instid0(VALU_DEP_2) | instskip(SKIP_1) | instid1(VALU_DEP_2)
	v_cndmask_b32_e32 v55, v55, v38, vcc_lo
	v_cmp_eq_u32_e32 vcc_lo, 5, v104
	v_cndmask_b32_e32 v55, v55, v39, vcc_lo
	v_cmp_eq_u32_e32 vcc_lo, 6, v104
	s_delay_alu instid0(VALU_DEP_2) | instskip(SKIP_1) | instid1(VALU_DEP_2)
	v_cndmask_b32_e32 v55, v55, v40, vcc_lo
	v_cmp_eq_u32_e32 vcc_lo, 7, v104
	v_cndmask_b32_e32 v55, v55, v41, vcc_lo
	v_cmp_eq_u32_e32 vcc_lo, 8, v104
	s_delay_alu instid0(VALU_DEP_2) | instskip(SKIP_1) | instid1(VALU_DEP_2)
	v_cndmask_b32_e32 v55, v55, v42, vcc_lo
	v_cmp_eq_u32_e32 vcc_lo, 9, v104
	v_cndmask_b32_e32 v55, v55, v43, vcc_lo
	v_cmp_eq_u32_e32 vcc_lo, 10, v104
	s_delay_alu instid0(VALU_DEP_2) | instskip(SKIP_1) | instid1(VALU_DEP_2)
	v_cndmask_b32_e32 v55, v55, v44, vcc_lo
	v_cmp_eq_u32_e32 vcc_lo, 11, v104
	v_cndmask_b32_e32 v55, v55, v45, vcc_lo
	v_cmp_eq_u32_e32 vcc_lo, 12, v104
	s_delay_alu instid0(VALU_DEP_2) | instskip(SKIP_1) | instid1(VALU_DEP_2)
	v_cndmask_b32_e32 v55, v55, v46, vcc_lo
	v_cmp_eq_u32_e32 vcc_lo, 13, v104
	v_cndmask_b32_e32 v55, v55, v47, vcc_lo
	v_cmp_eq_u32_e32 vcc_lo, 14, v104
	s_delay_alu instid0(VALU_DEP_2) | instskip(SKIP_1) | instid1(VALU_DEP_2)
	v_cndmask_b32_e32 v55, v55, v48, vcc_lo
	v_cmp_eq_u32_e32 vcc_lo, 15, v104
	v_cndmask_b32_e32 v55, v55, v49, vcc_lo
	v_cmp_eq_u32_e32 vcc_lo, 16, v104
	s_delay_alu instid0(VALU_DEP_2) | instskip(SKIP_1) | instid1(VALU_DEP_2)
	v_cndmask_b32_e32 v55, v55, v50, vcc_lo
	v_cmp_eq_u32_e32 vcc_lo, 17, v104
	v_cndmask_b32_e32 v55, v55, v51, vcc_lo
	v_cmp_eq_u32_e32 vcc_lo, 18, v104
	v_add_nc_u64_e32 v[104:105], 1, v[104:105]
	s_delay_alu instid0(VALU_DEP_3) | instskip(SKIP_2) | instid1(VALU_DEP_2)
	v_cndmask_b32_e32 v55, v55, v52, vcc_lo
	v_cmp_eq_u32_e32 vcc_lo, 0, v53
	s_wait_dscnt 0x0
	v_fmac_f32_e32 v108, v55, v56
	s_or_b32 s2, vcc_lo, s2
	s_delay_alu instid0(SALU_CYCLE_1)
	s_and_not1_b32 exec_lo, exec_lo, s2
	s_cbranch_execnz .LBB18_141
; %bb.142:
	s_or_b32 exec_lo, exec_lo, s2
.LBB18_143:
	s_delay_alu instid0(SALU_CYCLE_1)
	s_or_b32 exec_lo, exec_lo, s1
.LBB18_144:
	s_delay_alu instid0(SALU_CYCLE_1)
	s_or_b32 exec_lo, exec_lo, s5
	v_mov_b32_e32 v42, 0
	ds_load_b32 v42, v42 offset:32
	s_wait_dscnt 0x0
	v_mul_f32_e32 v42, v108, v42
.LBB18_145:
	s_or_b32 exec_lo, exec_lo, s4
	v_cmp_lt_u32_e64 s1, 7, v0
	ds_store_b32 v107, v41
	s_wait_dscnt 0x0
	s_barrier_signal -1
	s_barrier_wait -1
	s_and_saveexec_b32 s4, s1
	s_cbranch_execz .LBB18_161
; %bb.146:
	s_and_not1_b32 vcc_lo, exec_lo, s19
	s_cbranch_vccnz .LBB18_148
; %bb.147:
	v_cmp_eq_u32_e32 vcc_lo, 1, v0
	ds_load_b32 v105, v107
	v_cndmask_b32_e32 v104, v34, v35, vcc_lo
	v_cmp_eq_u32_e32 vcc_lo, 2, v0
	s_delay_alu instid0(VALU_DEP_2) | instskip(SKIP_1) | instid1(VALU_DEP_2)
	v_cndmask_b32_e32 v104, v104, v36, vcc_lo
	v_cmp_eq_u32_e32 vcc_lo, 3, v0
	v_cndmask_b32_e32 v104, v104, v37, vcc_lo
	v_cmp_eq_u32_e32 vcc_lo, 4, v0
	s_delay_alu instid0(VALU_DEP_2) | instskip(SKIP_1) | instid1(VALU_DEP_2)
	v_cndmask_b32_e32 v104, v104, v38, vcc_lo
	v_cmp_eq_u32_e32 vcc_lo, 5, v0
	;; [unrolled: 5-line block ×8, first 2 shown]
	v_cndmask_b32_e32 v104, v104, v51, vcc_lo
	v_cmp_eq_u32_e32 vcc_lo, 18, v0
	s_delay_alu instid0(VALU_DEP_2) | instskip(SKIP_1) | instid1(VALU_DEP_1)
	v_cndmask_b32_e32 v104, v104, v52, vcc_lo
	s_wait_dscnt 0x0
	v_mul_f32_e32 v108, v104, v105
	s_cbranch_execz .LBB18_149
	s_branch .LBB18_150
.LBB18_148:
                                        ; implicit-def: $vgpr108
.LBB18_149:
	ds_load_b32 v108, v107
.LBB18_150:
	s_and_saveexec_b32 s5, s0
	s_cbranch_execz .LBB18_160
; %bb.151:
	v_add_nc_u32_e32 v104, -9, v0
	s_delay_alu instid0(VALU_DEP_1)
	v_cmp_lt_u32_e32 vcc_lo, 6, v104
	v_mov_b32_e32 v104, 8
	s_and_saveexec_b32 s0, vcc_lo
	s_cbranch_execz .LBB18_155
; %bb.152:
	v_and_b32_e32 v104, 24, v0
	s_mov_b32 s6, 0
	s_mov_b64 s[2:3], 15
	s_movk_i32 s7, 0x70
	s_delay_alu instid0(VALU_DEP_1)
	v_sub_nc_u32_e32 v106, 0, v104
.LBB18_153:                             ; =>This Inner Loop Header: Depth=1
	s_add_co_i32 m0, s2, -7
	v_movrels_b32_e32 v105, v34
	v_mov_b32_e32 v104, s7
	s_add_co_i32 m0, s2, -6
	s_add_co_i32 s7, s7, 32
	v_movrels_b32_e32 v109, v34
	s_add_co_i32 m0, s2, -5
	ds_load_b128 v[110:113], v104
	ds_load_b128 v[114:117], v104 offset:16
	v_movrels_b32_e32 v104, v34
	s_add_co_i32 m0, s2, -4
	s_wait_dscnt 0x1
	v_fmac_f32_e32 v108, v105, v110
	v_movrels_b32_e32 v105, v34
	s_add_co_i32 m0, s2, -3
	s_delay_alu instid0(VALU_DEP_2) | instskip(NEXT) | instid1(VALU_DEP_1)
	v_fmac_f32_e32 v108, v109, v111
	v_fmac_f32_e32 v108, v104, v112
	v_movrels_b32_e32 v104, v34
	s_add_co_i32 m0, s2, -2
	s_delay_alu instid0(VALU_DEP_2) | instskip(SKIP_3) | instid1(VALU_DEP_2)
	v_fmac_f32_e32 v108, v105, v113
	v_movrels_b32_e32 v105, v34
	s_add_co_i32 m0, s2, -1
	s_wait_dscnt 0x0
	v_fmac_f32_e32 v108, v104, v114
	v_movrels_b32_e32 v104, v34
	s_mov_b32 m0, s2
	s_add_nc_u64 s[2:3], s[2:3], 8
	v_movrels_b32_e32 v109, v34
	v_dual_fmac_f32 v108, v105, v115 :: v_dual_add_nc_u32 v105, s2, v106
	s_add_co_i32 s8, s2, -7
	s_delay_alu instid0(VALU_DEP_1) | instskip(NEXT) | instid1(VALU_DEP_2)
	v_fmac_f32_e32 v108, v104, v116
	v_cmp_eq_u32_e32 vcc_lo, 7, v105
	s_delay_alu instid0(VALU_DEP_2) | instskip(SKIP_1) | instid1(SALU_CYCLE_1)
	v_dual_mov_b32 v104, s8 :: v_dual_fmac_f32 v108, v109, v117
	s_or_b32 s6, vcc_lo, s6
	s_and_not1_b32 exec_lo, exec_lo, s6
	s_cbranch_execnz .LBB18_153
; %bb.154:
	s_or_b32 exec_lo, exec_lo, s6
.LBB18_155:
	s_delay_alu instid0(SALU_CYCLE_1) | instskip(SKIP_3) | instid1(VALU_DEP_1)
	s_or_b32 exec_lo, exec_lo, s0
	v_and_b32_e32 v53, 7, v0
	s_mov_b32 s2, 0
	s_mov_b32 s0, exec_lo
	v_cmpx_ne_u32_e32 0, v53
	s_cbranch_execz .LBB18_159
; %bb.156:
	v_lshl_add_u32 v54, v104, 2, 0x50
	v_mov_b32_e32 v105, 0
.LBB18_157:                             ; =>This Inner Loop Header: Depth=1
	v_cmp_eq_u32_e32 vcc_lo, 1, v104
	ds_load_b32 v56, v54
	v_dual_add_nc_u32 v53, -1, v53 :: v_dual_add_nc_u32 v54, 4, v54
	v_cndmask_b32_e32 v55, v34, v35, vcc_lo
	v_cmp_eq_u32_e32 vcc_lo, 2, v104
	s_delay_alu instid0(VALU_DEP_2) | instskip(SKIP_1) | instid1(VALU_DEP_2)
	v_cndmask_b32_e32 v55, v55, v36, vcc_lo
	v_cmp_eq_u32_e32 vcc_lo, 3, v104
	v_cndmask_b32_e32 v55, v55, v37, vcc_lo
	v_cmp_eq_u32_e32 vcc_lo, 4, v104
	s_delay_alu instid0(VALU_DEP_2) | instskip(SKIP_1) | instid1(VALU_DEP_2)
	v_cndmask_b32_e32 v55, v55, v38, vcc_lo
	v_cmp_eq_u32_e32 vcc_lo, 5, v104
	;; [unrolled: 5-line block ×8, first 2 shown]
	v_cndmask_b32_e32 v55, v55, v51, vcc_lo
	v_cmp_eq_u32_e32 vcc_lo, 18, v104
	v_add_nc_u64_e32 v[104:105], 1, v[104:105]
	s_delay_alu instid0(VALU_DEP_3) | instskip(SKIP_2) | instid1(VALU_DEP_2)
	v_cndmask_b32_e32 v55, v55, v52, vcc_lo
	v_cmp_eq_u32_e32 vcc_lo, 0, v53
	s_wait_dscnt 0x0
	v_fmac_f32_e32 v108, v55, v56
	s_or_b32 s2, vcc_lo, s2
	s_delay_alu instid0(SALU_CYCLE_1)
	s_and_not1_b32 exec_lo, exec_lo, s2
	s_cbranch_execnz .LBB18_157
; %bb.158:
	s_or_b32 exec_lo, exec_lo, s2
.LBB18_159:
	s_delay_alu instid0(SALU_CYCLE_1)
	s_or_b32 exec_lo, exec_lo, s0
.LBB18_160:
	s_delay_alu instid0(SALU_CYCLE_1)
	s_or_b32 exec_lo, exec_lo, s5
	v_mov_b32_e32 v41, 0
	ds_load_b32 v41, v41 offset:28
	s_wait_dscnt 0x0
	v_mul_f32_e32 v41, v108, v41
.LBB18_161:
	s_or_b32 exec_lo, exec_lo, s4
	v_cmp_lt_u32_e64 s0, 6, v0
	ds_store_b32 v107, v40
	s_wait_dscnt 0x0
	s_barrier_signal -1
	s_barrier_wait -1
	s_and_saveexec_b32 s4, s0
	s_cbranch_execz .LBB18_177
; %bb.162:
	s_and_not1_b32 vcc_lo, exec_lo, s19
	s_cbranch_vccnz .LBB18_164
; %bb.163:
	v_cmp_eq_u32_e32 vcc_lo, 1, v0
	ds_load_b32 v105, v107
	v_cndmask_b32_e32 v104, v34, v35, vcc_lo
	v_cmp_eq_u32_e32 vcc_lo, 2, v0
	s_delay_alu instid0(VALU_DEP_2) | instskip(SKIP_1) | instid1(VALU_DEP_2)
	v_cndmask_b32_e32 v104, v104, v36, vcc_lo
	v_cmp_eq_u32_e32 vcc_lo, 3, v0
	v_cndmask_b32_e32 v104, v104, v37, vcc_lo
	v_cmp_eq_u32_e32 vcc_lo, 4, v0
	s_delay_alu instid0(VALU_DEP_2) | instskip(SKIP_1) | instid1(VALU_DEP_2)
	v_cndmask_b32_e32 v104, v104, v38, vcc_lo
	v_cmp_eq_u32_e32 vcc_lo, 5, v0
	;; [unrolled: 5-line block ×8, first 2 shown]
	v_cndmask_b32_e32 v104, v104, v51, vcc_lo
	v_cmp_eq_u32_e32 vcc_lo, 18, v0
	s_delay_alu instid0(VALU_DEP_2) | instskip(SKIP_1) | instid1(VALU_DEP_1)
	v_cndmask_b32_e32 v104, v104, v52, vcc_lo
	s_wait_dscnt 0x0
	v_mul_f32_e32 v108, v104, v105
	s_cbranch_execz .LBB18_165
	s_branch .LBB18_166
.LBB18_164:
                                        ; implicit-def: $vgpr108
.LBB18_165:
	ds_load_b32 v108, v107
.LBB18_166:
	s_and_saveexec_b32 s5, s1
	s_cbranch_execz .LBB18_176
; %bb.167:
	v_dual_add_nc_u32 v104, -8, v0 :: v_dual_add_nc_u32 v105, -7, v0
	s_delay_alu instid0(VALU_DEP_1)
	v_cmp_lt_u32_e32 vcc_lo, 6, v104
	v_mov_b32_e32 v104, 7
	s_and_saveexec_b32 s1, vcc_lo
	s_cbranch_execz .LBB18_171
; %bb.168:
	v_and_b32_e32 v104, -8, v105
	s_mov_b32 s6, 0
	s_mov_b64 s[2:3], 14
	s_movk_i32 s7, 0x6c
	s_delay_alu instid0(VALU_DEP_1)
	v_sub_nc_u32_e32 v106, 0, v104
.LBB18_169:                             ; =>This Inner Loop Header: Depth=1
	s_add_co_i32 m0, s2, -7
	v_movrels_b32_e32 v109, v34
	v_mov_b32_e32 v104, s7
	s_add_co_i32 m0, s2, -6
	s_add_co_i32 s7, s7, 32
	v_movrels_b32_e32 v118, v34
	ds_load_2addr_b32 v[110:111], v104 offset1:1
	ds_load_2addr_b32 v[112:113], v104 offset0:2 offset1:3
	s_add_co_i32 m0, s2, -5
	s_wait_dscnt 0x1
	v_fmac_f32_e32 v108, v109, v110
	ds_load_2addr_b32 v[114:115], v104 offset0:4 offset1:5
	ds_load_2addr_b32 v[116:117], v104 offset0:6 offset1:7
	v_movrels_b32_e32 v104, v34
	s_add_co_i32 m0, s2, -4
	v_fmac_f32_e32 v108, v118, v111
	v_movrels_b32_e32 v109, v34
	s_add_co_i32 m0, s2, -3
	s_wait_dscnt 0x2
	s_delay_alu instid0(VALU_DEP_2) | instskip(SKIP_2) | instid1(VALU_DEP_2)
	v_fmac_f32_e32 v108, v104, v112
	v_movrels_b32_e32 v104, v34
	s_add_co_i32 m0, s2, -2
	v_fmac_f32_e32 v108, v109, v113
	v_movrels_b32_e32 v109, v34
	s_add_co_i32 m0, s2, -1
	s_wait_dscnt 0x1
	s_delay_alu instid0(VALU_DEP_2)
	v_fmac_f32_e32 v108, v104, v114
	v_movrels_b32_e32 v104, v34
	s_mov_b32 m0, s2
	s_add_nc_u64 s[2:3], s[2:3], 8
	v_movrels_b32_e32 v110, v34
	v_dual_fmac_f32 v108, v109, v115 :: v_dual_add_nc_u32 v109, s2, v106
	s_add_co_i32 s8, s2, -7
	s_wait_dscnt 0x0
	s_delay_alu instid0(VALU_DEP_1) | instskip(NEXT) | instid1(VALU_DEP_2)
	v_fmac_f32_e32 v108, v104, v116
	v_cmp_eq_u32_e32 vcc_lo, 14, v109
	s_delay_alu instid0(VALU_DEP_2) | instskip(SKIP_1) | instid1(SALU_CYCLE_1)
	v_dual_mov_b32 v104, s8 :: v_dual_fmac_f32 v108, v110, v117
	s_or_b32 s6, vcc_lo, s6
	s_and_not1_b32 exec_lo, exec_lo, s6
	s_cbranch_execnz .LBB18_169
; %bb.170:
	s_or_b32 exec_lo, exec_lo, s6
.LBB18_171:
	s_delay_alu instid0(SALU_CYCLE_1) | instskip(SKIP_3) | instid1(VALU_DEP_1)
	s_or_b32 exec_lo, exec_lo, s1
	v_and_b32_e32 v53, 7, v105
	s_mov_b32 s2, 0
	s_mov_b32 s1, exec_lo
	v_cmpx_ne_u32_e32 0, v53
	s_cbranch_execz .LBB18_175
; %bb.172:
	v_lshl_add_u32 v54, v104, 2, 0x50
	v_mov_b32_e32 v105, 0
.LBB18_173:                             ; =>This Inner Loop Header: Depth=1
	v_cmp_eq_u32_e32 vcc_lo, 1, v104
	ds_load_b32 v56, v54
	v_dual_add_nc_u32 v53, -1, v53 :: v_dual_add_nc_u32 v54, 4, v54
	v_cndmask_b32_e32 v55, v34, v35, vcc_lo
	v_cmp_eq_u32_e32 vcc_lo, 2, v104
	s_delay_alu instid0(VALU_DEP_2) | instskip(SKIP_1) | instid1(VALU_DEP_2)
	v_cndmask_b32_e32 v55, v55, v36, vcc_lo
	v_cmp_eq_u32_e32 vcc_lo, 3, v104
	v_cndmask_b32_e32 v55, v55, v37, vcc_lo
	v_cmp_eq_u32_e32 vcc_lo, 4, v104
	s_delay_alu instid0(VALU_DEP_2) | instskip(SKIP_1) | instid1(VALU_DEP_2)
	v_cndmask_b32_e32 v55, v55, v38, vcc_lo
	v_cmp_eq_u32_e32 vcc_lo, 5, v104
	;; [unrolled: 5-line block ×8, first 2 shown]
	v_cndmask_b32_e32 v55, v55, v51, vcc_lo
	v_cmp_eq_u32_e32 vcc_lo, 18, v104
	v_add_nc_u64_e32 v[104:105], 1, v[104:105]
	s_delay_alu instid0(VALU_DEP_3) | instskip(SKIP_2) | instid1(VALU_DEP_2)
	v_cndmask_b32_e32 v55, v55, v52, vcc_lo
	v_cmp_eq_u32_e32 vcc_lo, 0, v53
	s_wait_dscnt 0x0
	v_fmac_f32_e32 v108, v55, v56
	s_or_b32 s2, vcc_lo, s2
	s_delay_alu instid0(SALU_CYCLE_1)
	s_and_not1_b32 exec_lo, exec_lo, s2
	s_cbranch_execnz .LBB18_173
; %bb.174:
	s_or_b32 exec_lo, exec_lo, s2
.LBB18_175:
	s_delay_alu instid0(SALU_CYCLE_1)
	s_or_b32 exec_lo, exec_lo, s1
.LBB18_176:
	s_delay_alu instid0(SALU_CYCLE_1)
	s_or_b32 exec_lo, exec_lo, s5
	v_mov_b32_e32 v40, 0
	ds_load_b32 v40, v40 offset:24
	s_wait_dscnt 0x0
	v_mul_f32_e32 v40, v108, v40
.LBB18_177:
	s_or_b32 exec_lo, exec_lo, s4
	v_cmp_lt_u32_e64 s1, 5, v0
	ds_store_b32 v107, v39
	s_wait_dscnt 0x0
	s_barrier_signal -1
	s_barrier_wait -1
	s_and_saveexec_b32 s4, s1
	s_cbranch_execz .LBB18_193
; %bb.178:
	s_and_not1_b32 vcc_lo, exec_lo, s19
	s_cbranch_vccnz .LBB18_180
; %bb.179:
	v_cmp_eq_u32_e32 vcc_lo, 1, v0
	ds_load_b32 v105, v107
	v_cndmask_b32_e32 v104, v34, v35, vcc_lo
	v_cmp_eq_u32_e32 vcc_lo, 2, v0
	s_delay_alu instid0(VALU_DEP_2) | instskip(SKIP_1) | instid1(VALU_DEP_2)
	v_cndmask_b32_e32 v104, v104, v36, vcc_lo
	v_cmp_eq_u32_e32 vcc_lo, 3, v0
	v_cndmask_b32_e32 v104, v104, v37, vcc_lo
	v_cmp_eq_u32_e32 vcc_lo, 4, v0
	s_delay_alu instid0(VALU_DEP_2) | instskip(SKIP_1) | instid1(VALU_DEP_2)
	v_cndmask_b32_e32 v104, v104, v38, vcc_lo
	v_cmp_eq_u32_e32 vcc_lo, 5, v0
	;; [unrolled: 5-line block ×8, first 2 shown]
	v_cndmask_b32_e32 v104, v104, v51, vcc_lo
	v_cmp_eq_u32_e32 vcc_lo, 18, v0
	s_delay_alu instid0(VALU_DEP_2) | instskip(SKIP_1) | instid1(VALU_DEP_1)
	v_cndmask_b32_e32 v104, v104, v52, vcc_lo
	s_wait_dscnt 0x0
	v_mul_f32_e32 v108, v104, v105
	s_cbranch_execz .LBB18_181
	s_branch .LBB18_182
.LBB18_180:
                                        ; implicit-def: $vgpr108
.LBB18_181:
	ds_load_b32 v108, v107
.LBB18_182:
	s_and_saveexec_b32 s5, s0
	s_cbranch_execz .LBB18_192
; %bb.183:
	v_dual_add_nc_u32 v106, -7, v0 :: v_dual_add_nc_u32 v105, -6, v0
	v_mov_b32_e32 v104, 6
	s_mov_b32 s0, exec_lo
	s_delay_alu instid0(VALU_DEP_2)
	v_cmpx_lt_u32_e32 6, v106
	s_cbranch_execz .LBB18_187
; %bb.184:
	v_and_b32_e32 v104, -8, v105
	s_mov_b32 s6, 0
	s_mov_b64 s[2:3], 13
	s_movk_i32 s7, 0x68
	s_delay_alu instid0(VALU_DEP_1)
	v_sub_nc_u32_e32 v106, 0, v104
.LBB18_185:                             ; =>This Inner Loop Header: Depth=1
	s_add_co_i32 m0, s2, -7
	v_movrels_b32_e32 v109, v34
	v_mov_b32_e32 v104, s7
	s_add_co_i32 m0, s2, -6
	s_add_co_i32 s7, s7, 32
	v_movrels_b32_e32 v118, v34
	s_add_co_i32 m0, s2, -5
	ds_load_2addr_b64 v[110:113], v104 offset1:1
	ds_load_2addr_b64 v[114:117], v104 offset0:2 offset1:3
	v_movrels_b32_e32 v104, v34
	s_add_co_i32 m0, s2, -4
	s_wait_dscnt 0x1
	v_fmac_f32_e32 v108, v109, v110
	v_movrels_b32_e32 v109, v34
	s_add_co_i32 m0, s2, -3
	s_delay_alu instid0(VALU_DEP_2) | instskip(NEXT) | instid1(VALU_DEP_1)
	v_fmac_f32_e32 v108, v118, v111
	v_fmac_f32_e32 v108, v104, v112
	v_movrels_b32_e32 v104, v34
	s_add_co_i32 m0, s2, -2
	s_delay_alu instid0(VALU_DEP_2) | instskip(SKIP_3) | instid1(VALU_DEP_2)
	v_fmac_f32_e32 v108, v109, v113
	v_movrels_b32_e32 v109, v34
	s_add_co_i32 m0, s2, -1
	s_wait_dscnt 0x0
	v_fmac_f32_e32 v108, v104, v114
	v_movrels_b32_e32 v104, v34
	s_mov_b32 m0, s2
	s_add_nc_u64 s[2:3], s[2:3], 8
	v_movrels_b32_e32 v110, v34
	v_dual_fmac_f32 v108, v109, v115 :: v_dual_add_nc_u32 v109, s2, v106
	s_add_co_i32 s8, s2, -7
	s_delay_alu instid0(VALU_DEP_1) | instskip(NEXT) | instid1(VALU_DEP_2)
	v_fmac_f32_e32 v108, v104, v116
	v_cmp_eq_u32_e32 vcc_lo, 13, v109
	s_delay_alu instid0(VALU_DEP_2) | instskip(SKIP_1) | instid1(SALU_CYCLE_1)
	v_dual_mov_b32 v104, s8 :: v_dual_fmac_f32 v108, v110, v117
	s_or_b32 s6, vcc_lo, s6
	s_and_not1_b32 exec_lo, exec_lo, s6
	s_cbranch_execnz .LBB18_185
; %bb.186:
	s_or_b32 exec_lo, exec_lo, s6
.LBB18_187:
	s_delay_alu instid0(SALU_CYCLE_1) | instskip(SKIP_3) | instid1(VALU_DEP_1)
	s_or_b32 exec_lo, exec_lo, s0
	v_and_b32_e32 v53, 7, v105
	s_mov_b32 s2, 0
	s_mov_b32 s0, exec_lo
	v_cmpx_ne_u32_e32 0, v53
	s_cbranch_execz .LBB18_191
; %bb.188:
	v_lshl_add_u32 v54, v104, 2, 0x50
	v_mov_b32_e32 v105, 0
.LBB18_189:                             ; =>This Inner Loop Header: Depth=1
	v_cmp_eq_u32_e32 vcc_lo, 1, v104
	ds_load_b32 v56, v54
	v_dual_add_nc_u32 v53, -1, v53 :: v_dual_add_nc_u32 v54, 4, v54
	v_cndmask_b32_e32 v55, v34, v35, vcc_lo
	v_cmp_eq_u32_e32 vcc_lo, 2, v104
	s_delay_alu instid0(VALU_DEP_2) | instskip(SKIP_1) | instid1(VALU_DEP_2)
	v_cndmask_b32_e32 v55, v55, v36, vcc_lo
	v_cmp_eq_u32_e32 vcc_lo, 3, v104
	v_cndmask_b32_e32 v55, v55, v37, vcc_lo
	v_cmp_eq_u32_e32 vcc_lo, 4, v104
	s_delay_alu instid0(VALU_DEP_2) | instskip(SKIP_1) | instid1(VALU_DEP_2)
	v_cndmask_b32_e32 v55, v55, v38, vcc_lo
	v_cmp_eq_u32_e32 vcc_lo, 5, v104
	;; [unrolled: 5-line block ×8, first 2 shown]
	v_cndmask_b32_e32 v55, v55, v51, vcc_lo
	v_cmp_eq_u32_e32 vcc_lo, 18, v104
	v_add_nc_u64_e32 v[104:105], 1, v[104:105]
	s_delay_alu instid0(VALU_DEP_3) | instskip(SKIP_2) | instid1(VALU_DEP_2)
	v_cndmask_b32_e32 v55, v55, v52, vcc_lo
	v_cmp_eq_u32_e32 vcc_lo, 0, v53
	s_wait_dscnt 0x0
	v_fmac_f32_e32 v108, v55, v56
	s_or_b32 s2, vcc_lo, s2
	s_delay_alu instid0(SALU_CYCLE_1)
	s_and_not1_b32 exec_lo, exec_lo, s2
	s_cbranch_execnz .LBB18_189
; %bb.190:
	s_or_b32 exec_lo, exec_lo, s2
.LBB18_191:
	s_delay_alu instid0(SALU_CYCLE_1)
	s_or_b32 exec_lo, exec_lo, s0
.LBB18_192:
	s_delay_alu instid0(SALU_CYCLE_1)
	s_or_b32 exec_lo, exec_lo, s5
	v_mov_b32_e32 v39, 0
	ds_load_b32 v39, v39 offset:20
	s_wait_dscnt 0x0
	v_mul_f32_e32 v39, v108, v39
.LBB18_193:
	s_or_b32 exec_lo, exec_lo, s4
	v_cmp_lt_u32_e64 s0, 4, v0
	ds_store_b32 v107, v38
	s_wait_dscnt 0x0
	s_barrier_signal -1
	s_barrier_wait -1
	s_and_saveexec_b32 s4, s0
	s_cbranch_execz .LBB18_209
; %bb.194:
	s_and_not1_b32 vcc_lo, exec_lo, s19
	s_cbranch_vccnz .LBB18_196
; %bb.195:
	v_cmp_eq_u32_e32 vcc_lo, 1, v0
	ds_load_b32 v105, v107
	v_cndmask_b32_e32 v104, v34, v35, vcc_lo
	v_cmp_eq_u32_e32 vcc_lo, 2, v0
	s_delay_alu instid0(VALU_DEP_2) | instskip(SKIP_1) | instid1(VALU_DEP_2)
	v_cndmask_b32_e32 v104, v104, v36, vcc_lo
	v_cmp_eq_u32_e32 vcc_lo, 3, v0
	v_cndmask_b32_e32 v104, v104, v37, vcc_lo
	v_cmp_eq_u32_e32 vcc_lo, 4, v0
	s_delay_alu instid0(VALU_DEP_2) | instskip(SKIP_1) | instid1(VALU_DEP_2)
	v_cndmask_b32_e32 v104, v104, v38, vcc_lo
	v_cmp_eq_u32_e32 vcc_lo, 5, v0
	;; [unrolled: 5-line block ×8, first 2 shown]
	v_cndmask_b32_e32 v104, v104, v51, vcc_lo
	v_cmp_eq_u32_e32 vcc_lo, 18, v0
	s_delay_alu instid0(VALU_DEP_2) | instskip(SKIP_1) | instid1(VALU_DEP_1)
	v_cndmask_b32_e32 v104, v104, v52, vcc_lo
	s_wait_dscnt 0x0
	v_mul_f32_e32 v108, v104, v105
	s_cbranch_execz .LBB18_197
	s_branch .LBB18_198
.LBB18_196:
                                        ; implicit-def: $vgpr108
.LBB18_197:
	ds_load_b32 v108, v107
.LBB18_198:
	s_and_saveexec_b32 s5, s1
	s_cbranch_execz .LBB18_208
; %bb.199:
	v_dual_add_nc_u32 v104, -6, v0 :: v_dual_add_nc_u32 v105, -5, v0
	s_delay_alu instid0(VALU_DEP_1)
	v_cmp_lt_u32_e32 vcc_lo, 6, v104
	v_mov_b32_e32 v104, 5
	s_and_saveexec_b32 s1, vcc_lo
	s_cbranch_execz .LBB18_203
; %bb.200:
	v_and_b32_e32 v104, -8, v105
	s_mov_b32 s6, 0
	s_mov_b64 s[2:3], 12
	s_movk_i32 s7, 0x64
	s_delay_alu instid0(VALU_DEP_1)
	v_sub_nc_u32_e32 v106, 0, v104
.LBB18_201:                             ; =>This Inner Loop Header: Depth=1
	s_add_co_i32 m0, s2, -7
	v_movrels_b32_e32 v109, v34
	v_mov_b32_e32 v104, s7
	s_add_co_i32 m0, s2, -6
	s_add_co_i32 s7, s7, 32
	v_movrels_b32_e32 v118, v34
	ds_load_2addr_b32 v[110:111], v104 offset1:1
	ds_load_2addr_b32 v[112:113], v104 offset0:2 offset1:3
	s_add_co_i32 m0, s2, -5
	s_wait_dscnt 0x1
	v_fmac_f32_e32 v108, v109, v110
	ds_load_2addr_b32 v[114:115], v104 offset0:4 offset1:5
	ds_load_2addr_b32 v[116:117], v104 offset0:6 offset1:7
	v_movrels_b32_e32 v104, v34
	s_add_co_i32 m0, s2, -4
	v_fmac_f32_e32 v108, v118, v111
	v_movrels_b32_e32 v109, v34
	s_add_co_i32 m0, s2, -3
	s_wait_dscnt 0x2
	s_delay_alu instid0(VALU_DEP_2) | instskip(SKIP_2) | instid1(VALU_DEP_2)
	v_fmac_f32_e32 v108, v104, v112
	v_movrels_b32_e32 v104, v34
	s_add_co_i32 m0, s2, -2
	v_fmac_f32_e32 v108, v109, v113
	v_movrels_b32_e32 v109, v34
	s_add_co_i32 m0, s2, -1
	s_wait_dscnt 0x1
	s_delay_alu instid0(VALU_DEP_2)
	v_fmac_f32_e32 v108, v104, v114
	v_movrels_b32_e32 v104, v34
	s_mov_b32 m0, s2
	s_add_nc_u64 s[2:3], s[2:3], 8
	v_movrels_b32_e32 v110, v34
	v_dual_fmac_f32 v108, v109, v115 :: v_dual_add_nc_u32 v109, s2, v106
	s_add_co_i32 s8, s2, -7
	s_wait_dscnt 0x0
	s_delay_alu instid0(VALU_DEP_1) | instskip(NEXT) | instid1(VALU_DEP_2)
	v_fmac_f32_e32 v108, v104, v116
	v_cmp_eq_u32_e32 vcc_lo, 12, v109
	s_delay_alu instid0(VALU_DEP_2) | instskip(SKIP_1) | instid1(SALU_CYCLE_1)
	v_dual_mov_b32 v104, s8 :: v_dual_fmac_f32 v108, v110, v117
	s_or_b32 s6, vcc_lo, s6
	s_and_not1_b32 exec_lo, exec_lo, s6
	s_cbranch_execnz .LBB18_201
; %bb.202:
	s_or_b32 exec_lo, exec_lo, s6
.LBB18_203:
	s_delay_alu instid0(SALU_CYCLE_1) | instskip(SKIP_3) | instid1(VALU_DEP_1)
	s_or_b32 exec_lo, exec_lo, s1
	v_and_b32_e32 v53, 7, v105
	s_mov_b32 s2, 0
	s_mov_b32 s1, exec_lo
	v_cmpx_ne_u32_e32 0, v53
	s_cbranch_execz .LBB18_207
; %bb.204:
	v_lshl_add_u32 v54, v104, 2, 0x50
	v_mov_b32_e32 v105, 0
.LBB18_205:                             ; =>This Inner Loop Header: Depth=1
	v_cmp_eq_u32_e32 vcc_lo, 1, v104
	ds_load_b32 v56, v54
	v_dual_add_nc_u32 v53, -1, v53 :: v_dual_add_nc_u32 v54, 4, v54
	v_cndmask_b32_e32 v55, v34, v35, vcc_lo
	v_cmp_eq_u32_e32 vcc_lo, 2, v104
	s_delay_alu instid0(VALU_DEP_2) | instskip(SKIP_1) | instid1(VALU_DEP_2)
	v_cndmask_b32_e32 v55, v55, v36, vcc_lo
	v_cmp_eq_u32_e32 vcc_lo, 3, v104
	v_cndmask_b32_e32 v55, v55, v37, vcc_lo
	v_cmp_eq_u32_e32 vcc_lo, 4, v104
	s_delay_alu instid0(VALU_DEP_2) | instskip(SKIP_1) | instid1(VALU_DEP_2)
	v_cndmask_b32_e32 v55, v55, v38, vcc_lo
	v_cmp_eq_u32_e32 vcc_lo, 5, v104
	;; [unrolled: 5-line block ×8, first 2 shown]
	v_cndmask_b32_e32 v55, v55, v51, vcc_lo
	v_cmp_eq_u32_e32 vcc_lo, 18, v104
	v_add_nc_u64_e32 v[104:105], 1, v[104:105]
	s_delay_alu instid0(VALU_DEP_3) | instskip(SKIP_2) | instid1(VALU_DEP_2)
	v_cndmask_b32_e32 v55, v55, v52, vcc_lo
	v_cmp_eq_u32_e32 vcc_lo, 0, v53
	s_wait_dscnt 0x0
	v_fmac_f32_e32 v108, v55, v56
	s_or_b32 s2, vcc_lo, s2
	s_delay_alu instid0(SALU_CYCLE_1)
	s_and_not1_b32 exec_lo, exec_lo, s2
	s_cbranch_execnz .LBB18_205
; %bb.206:
	s_or_b32 exec_lo, exec_lo, s2
.LBB18_207:
	s_delay_alu instid0(SALU_CYCLE_1)
	s_or_b32 exec_lo, exec_lo, s1
.LBB18_208:
	s_delay_alu instid0(SALU_CYCLE_1)
	s_or_b32 exec_lo, exec_lo, s5
	v_mov_b32_e32 v38, 0
	ds_load_b32 v38, v38 offset:16
	s_wait_dscnt 0x0
	v_mul_f32_e32 v38, v108, v38
.LBB18_209:
	s_or_b32 exec_lo, exec_lo, s4
	v_cmp_lt_u32_e64 s1, 3, v0
	ds_store_b32 v107, v37
	s_wait_dscnt 0x0
	s_barrier_signal -1
	s_barrier_wait -1
	s_and_saveexec_b32 s4, s1
	s_cbranch_execz .LBB18_225
; %bb.210:
	s_and_not1_b32 vcc_lo, exec_lo, s19
	s_cbranch_vccnz .LBB18_212
; %bb.211:
	v_cmp_eq_u32_e32 vcc_lo, 1, v0
	ds_load_b32 v105, v107
	v_cndmask_b32_e32 v104, v34, v35, vcc_lo
	v_cmp_eq_u32_e32 vcc_lo, 2, v0
	s_delay_alu instid0(VALU_DEP_2) | instskip(SKIP_1) | instid1(VALU_DEP_2)
	v_cndmask_b32_e32 v104, v104, v36, vcc_lo
	v_cmp_eq_u32_e32 vcc_lo, 3, v0
	v_cndmask_b32_e32 v104, v104, v37, vcc_lo
	v_cmp_eq_u32_e32 vcc_lo, 4, v0
	s_delay_alu instid0(VALU_DEP_2) | instskip(SKIP_1) | instid1(VALU_DEP_2)
	v_cndmask_b32_e32 v104, v104, v38, vcc_lo
	v_cmp_eq_u32_e32 vcc_lo, 5, v0
	;; [unrolled: 5-line block ×8, first 2 shown]
	v_cndmask_b32_e32 v104, v104, v51, vcc_lo
	v_cmp_eq_u32_e32 vcc_lo, 18, v0
	s_delay_alu instid0(VALU_DEP_2) | instskip(SKIP_1) | instid1(VALU_DEP_1)
	v_cndmask_b32_e32 v104, v104, v52, vcc_lo
	s_wait_dscnt 0x0
	v_mul_f32_e32 v108, v104, v105
	s_cbranch_execz .LBB18_213
	s_branch .LBB18_214
.LBB18_212:
                                        ; implicit-def: $vgpr108
.LBB18_213:
	ds_load_b32 v108, v107
.LBB18_214:
	s_and_saveexec_b32 s5, s0
	s_cbranch_execz .LBB18_224
; %bb.215:
	v_dual_add_nc_u32 v104, -5, v0 :: v_dual_add_nc_u32 v105, -4, v0
	s_delay_alu instid0(VALU_DEP_1)
	v_cmp_lt_u32_e32 vcc_lo, 6, v104
	v_mov_b32_e32 v104, 4
	s_and_saveexec_b32 s0, vcc_lo
	s_cbranch_execz .LBB18_219
; %bb.216:
	v_and_b32_e32 v104, -8, v105
	s_mov_b32 s6, 0
	s_mov_b64 s[2:3], 5
	s_movk_i32 s7, 0x60
	s_delay_alu instid0(VALU_DEP_1)
	v_sub_nc_u32_e32 v106, 0, v104
.LBB18_217:                             ; =>This Inner Loop Header: Depth=1
	s_add_co_i32 m0, s2, -1
	v_movrels_b32_e32 v109, v34
	v_mov_b32_e32 v104, s7
	s_mov_b32 m0, s2
	s_add_co_i32 s7, s7, 32
	v_movrels_b32_e32 v118, v34
	s_add_co_i32 m0, s2, 1
	ds_load_b128 v[110:113], v104
	ds_load_b128 v[114:117], v104 offset:16
	v_movrels_b32_e32 v104, v34
	s_add_co_i32 m0, s2, 2
	s_wait_dscnt 0x1
	v_fmac_f32_e32 v108, v109, v110
	v_movrels_b32_e32 v109, v34
	s_add_co_i32 m0, s2, 3
	s_delay_alu instid0(VALU_DEP_2) | instskip(NEXT) | instid1(VALU_DEP_1)
	v_fmac_f32_e32 v108, v118, v111
	v_fmac_f32_e32 v108, v104, v112
	v_movrels_b32_e32 v104, v34
	s_add_co_i32 m0, s2, 4
	s_delay_alu instid0(VALU_DEP_2) | instskip(SKIP_3) | instid1(VALU_DEP_2)
	v_fmac_f32_e32 v108, v109, v113
	v_movrels_b32_e32 v109, v34
	s_add_co_i32 m0, s2, 5
	s_wait_dscnt 0x0
	v_fmac_f32_e32 v108, v104, v114
	v_movrels_b32_e32 v104, v34
	s_add_co_i32 m0, s2, 6
	s_add_nc_u64 s[2:3], s[2:3], 8
	v_movrels_b32_e32 v110, v34
	v_dual_fmac_f32 v108, v109, v115 :: v_dual_add_nc_u32 v109, s2, v106
	s_add_co_i32 s8, s2, -1
	s_delay_alu instid0(VALU_DEP_1) | instskip(NEXT) | instid1(VALU_DEP_2)
	v_fmac_f32_e32 v108, v104, v116
	v_cmp_eq_u32_e32 vcc_lo, 5, v109
	s_delay_alu instid0(VALU_DEP_2) | instskip(SKIP_1) | instid1(SALU_CYCLE_1)
	v_dual_mov_b32 v104, s8 :: v_dual_fmac_f32 v108, v110, v117
	s_or_b32 s6, vcc_lo, s6
	s_and_not1_b32 exec_lo, exec_lo, s6
	s_cbranch_execnz .LBB18_217
; %bb.218:
	s_or_b32 exec_lo, exec_lo, s6
.LBB18_219:
	s_delay_alu instid0(SALU_CYCLE_1) | instskip(SKIP_3) | instid1(VALU_DEP_1)
	s_or_b32 exec_lo, exec_lo, s0
	v_and_b32_e32 v53, 7, v105
	s_mov_b32 s2, 0
	s_mov_b32 s0, exec_lo
	v_cmpx_ne_u32_e32 0, v53
	s_cbranch_execz .LBB18_223
; %bb.220:
	v_lshl_add_u32 v54, v104, 2, 0x50
	v_mov_b32_e32 v105, 0
.LBB18_221:                             ; =>This Inner Loop Header: Depth=1
	v_cmp_eq_u32_e32 vcc_lo, 1, v104
	ds_load_b32 v56, v54
	v_dual_add_nc_u32 v53, -1, v53 :: v_dual_add_nc_u32 v54, 4, v54
	v_cndmask_b32_e32 v55, v34, v35, vcc_lo
	v_cmp_eq_u32_e32 vcc_lo, 2, v104
	s_delay_alu instid0(VALU_DEP_2) | instskip(SKIP_1) | instid1(VALU_DEP_2)
	v_cndmask_b32_e32 v55, v55, v36, vcc_lo
	v_cmp_eq_u32_e32 vcc_lo, 3, v104
	v_cndmask_b32_e32 v55, v55, v37, vcc_lo
	v_cmp_eq_u32_e32 vcc_lo, 4, v104
	s_delay_alu instid0(VALU_DEP_2) | instskip(SKIP_1) | instid1(VALU_DEP_2)
	v_cndmask_b32_e32 v55, v55, v38, vcc_lo
	v_cmp_eq_u32_e32 vcc_lo, 5, v104
	;; [unrolled: 5-line block ×8, first 2 shown]
	v_cndmask_b32_e32 v55, v55, v51, vcc_lo
	v_cmp_eq_u32_e32 vcc_lo, 18, v104
	v_add_nc_u64_e32 v[104:105], 1, v[104:105]
	s_delay_alu instid0(VALU_DEP_3) | instskip(SKIP_2) | instid1(VALU_DEP_2)
	v_cndmask_b32_e32 v55, v55, v52, vcc_lo
	v_cmp_eq_u32_e32 vcc_lo, 0, v53
	s_wait_dscnt 0x0
	v_fmac_f32_e32 v108, v55, v56
	s_or_b32 s2, vcc_lo, s2
	s_delay_alu instid0(SALU_CYCLE_1)
	s_and_not1_b32 exec_lo, exec_lo, s2
	s_cbranch_execnz .LBB18_221
; %bb.222:
	s_or_b32 exec_lo, exec_lo, s2
.LBB18_223:
	s_delay_alu instid0(SALU_CYCLE_1)
	s_or_b32 exec_lo, exec_lo, s0
.LBB18_224:
	s_delay_alu instid0(SALU_CYCLE_1)
	s_or_b32 exec_lo, exec_lo, s5
	v_mov_b32_e32 v37, 0
	ds_load_b32 v37, v37 offset:12
	s_wait_dscnt 0x0
	v_mul_f32_e32 v37, v108, v37
.LBB18_225:
	s_or_b32 exec_lo, exec_lo, s4
	v_cmp_lt_u32_e64 s0, 2, v0
	ds_store_b32 v107, v36
	s_wait_dscnt 0x0
	s_barrier_signal -1
	s_barrier_wait -1
	s_and_saveexec_b32 s4, s0
	s_cbranch_execz .LBB18_241
; %bb.226:
	s_and_not1_b32 vcc_lo, exec_lo, s19
	s_cbranch_vccnz .LBB18_228
; %bb.227:
	v_cmp_eq_u32_e32 vcc_lo, 1, v0
	ds_load_b32 v105, v107
	v_cndmask_b32_e32 v104, v34, v35, vcc_lo
	v_cmp_eq_u32_e32 vcc_lo, 2, v0
	s_delay_alu instid0(VALU_DEP_2) | instskip(SKIP_1) | instid1(VALU_DEP_2)
	v_cndmask_b32_e32 v104, v104, v36, vcc_lo
	v_cmp_eq_u32_e32 vcc_lo, 3, v0
	v_cndmask_b32_e32 v104, v104, v37, vcc_lo
	v_cmp_eq_u32_e32 vcc_lo, 4, v0
	s_delay_alu instid0(VALU_DEP_2) | instskip(SKIP_1) | instid1(VALU_DEP_2)
	v_cndmask_b32_e32 v104, v104, v38, vcc_lo
	v_cmp_eq_u32_e32 vcc_lo, 5, v0
	;; [unrolled: 5-line block ×8, first 2 shown]
	v_cndmask_b32_e32 v104, v104, v51, vcc_lo
	v_cmp_eq_u32_e32 vcc_lo, 18, v0
	s_delay_alu instid0(VALU_DEP_2) | instskip(SKIP_1) | instid1(VALU_DEP_1)
	v_cndmask_b32_e32 v104, v104, v52, vcc_lo
	s_wait_dscnt 0x0
	v_mul_f32_e32 v108, v104, v105
	s_cbranch_execz .LBB18_229
	s_branch .LBB18_230
.LBB18_228:
                                        ; implicit-def: $vgpr108
.LBB18_229:
	ds_load_b32 v108, v107
.LBB18_230:
	s_and_saveexec_b32 s5, s1
	s_cbranch_execz .LBB18_240
; %bb.231:
	v_dual_add_nc_u32 v104, -4, v0 :: v_dual_add_nc_u32 v105, -3, v0
	s_delay_alu instid0(VALU_DEP_1)
	v_cmp_lt_u32_e32 vcc_lo, 6, v104
	v_mov_b32_e32 v104, 3
	s_and_saveexec_b32 s1, vcc_lo
	s_cbranch_execz .LBB18_235
; %bb.232:
	v_and_b32_e32 v104, -8, v105
	s_mov_b32 s6, 0
	s_mov_b64 s[2:3], 10
	s_movk_i32 s7, 0x5c
	s_delay_alu instid0(VALU_DEP_1)
	v_sub_nc_u32_e32 v106, 0, v104
.LBB18_233:                             ; =>This Inner Loop Header: Depth=1
	s_add_co_i32 m0, s2, -7
	v_movrels_b32_e32 v109, v34
	v_mov_b32_e32 v104, s7
	s_add_co_i32 m0, s2, -6
	s_add_co_i32 s7, s7, 32
	v_movrels_b32_e32 v118, v34
	ds_load_2addr_b32 v[110:111], v104 offset1:1
	ds_load_2addr_b32 v[112:113], v104 offset0:2 offset1:3
	s_add_co_i32 m0, s2, -5
	s_wait_dscnt 0x1
	v_fmac_f32_e32 v108, v109, v110
	ds_load_2addr_b32 v[114:115], v104 offset0:4 offset1:5
	ds_load_2addr_b32 v[116:117], v104 offset0:6 offset1:7
	v_movrels_b32_e32 v104, v34
	s_add_co_i32 m0, s2, -4
	v_fmac_f32_e32 v108, v118, v111
	v_movrels_b32_e32 v109, v34
	s_add_co_i32 m0, s2, -3
	s_wait_dscnt 0x2
	s_delay_alu instid0(VALU_DEP_2) | instskip(SKIP_2) | instid1(VALU_DEP_2)
	v_fmac_f32_e32 v108, v104, v112
	v_movrels_b32_e32 v104, v34
	s_add_co_i32 m0, s2, -2
	v_fmac_f32_e32 v108, v109, v113
	v_movrels_b32_e32 v109, v34
	s_add_co_i32 m0, s2, -1
	s_wait_dscnt 0x1
	s_delay_alu instid0(VALU_DEP_2)
	v_fmac_f32_e32 v108, v104, v114
	v_movrels_b32_e32 v104, v34
	s_mov_b32 m0, s2
	s_add_nc_u64 s[2:3], s[2:3], 8
	v_movrels_b32_e32 v110, v34
	v_dual_fmac_f32 v108, v109, v115 :: v_dual_add_nc_u32 v109, s2, v106
	s_add_co_i32 s8, s2, -7
	s_wait_dscnt 0x0
	s_delay_alu instid0(VALU_DEP_1) | instskip(NEXT) | instid1(VALU_DEP_2)
	v_fmac_f32_e32 v108, v104, v116
	v_cmp_eq_u32_e32 vcc_lo, 10, v109
	s_delay_alu instid0(VALU_DEP_2) | instskip(SKIP_1) | instid1(SALU_CYCLE_1)
	v_dual_mov_b32 v104, s8 :: v_dual_fmac_f32 v108, v110, v117
	s_or_b32 s6, vcc_lo, s6
	s_and_not1_b32 exec_lo, exec_lo, s6
	s_cbranch_execnz .LBB18_233
; %bb.234:
	s_or_b32 exec_lo, exec_lo, s6
.LBB18_235:
	s_delay_alu instid0(SALU_CYCLE_1) | instskip(SKIP_3) | instid1(VALU_DEP_1)
	s_or_b32 exec_lo, exec_lo, s1
	v_and_b32_e32 v53, 7, v105
	s_mov_b32 s2, 0
	s_mov_b32 s1, exec_lo
	v_cmpx_ne_u32_e32 0, v53
	s_cbranch_execz .LBB18_239
; %bb.236:
	v_lshl_add_u32 v54, v104, 2, 0x50
	v_mov_b32_e32 v105, 0
.LBB18_237:                             ; =>This Inner Loop Header: Depth=1
	v_cmp_eq_u32_e32 vcc_lo, 1, v104
	ds_load_b32 v56, v54
	v_dual_add_nc_u32 v53, -1, v53 :: v_dual_add_nc_u32 v54, 4, v54
	v_cndmask_b32_e32 v55, v34, v35, vcc_lo
	v_cmp_eq_u32_e32 vcc_lo, 2, v104
	s_delay_alu instid0(VALU_DEP_2) | instskip(SKIP_1) | instid1(VALU_DEP_2)
	v_cndmask_b32_e32 v55, v55, v36, vcc_lo
	v_cmp_eq_u32_e32 vcc_lo, 3, v104
	v_cndmask_b32_e32 v55, v55, v37, vcc_lo
	v_cmp_eq_u32_e32 vcc_lo, 4, v104
	s_delay_alu instid0(VALU_DEP_2) | instskip(SKIP_1) | instid1(VALU_DEP_2)
	v_cndmask_b32_e32 v55, v55, v38, vcc_lo
	v_cmp_eq_u32_e32 vcc_lo, 5, v104
	;; [unrolled: 5-line block ×8, first 2 shown]
	v_cndmask_b32_e32 v55, v55, v51, vcc_lo
	v_cmp_eq_u32_e32 vcc_lo, 18, v104
	v_add_nc_u64_e32 v[104:105], 1, v[104:105]
	s_delay_alu instid0(VALU_DEP_3) | instskip(SKIP_2) | instid1(VALU_DEP_2)
	v_cndmask_b32_e32 v55, v55, v52, vcc_lo
	v_cmp_eq_u32_e32 vcc_lo, 0, v53
	s_wait_dscnt 0x0
	v_fmac_f32_e32 v108, v55, v56
	s_or_b32 s2, vcc_lo, s2
	s_delay_alu instid0(SALU_CYCLE_1)
	s_and_not1_b32 exec_lo, exec_lo, s2
	s_cbranch_execnz .LBB18_237
; %bb.238:
	s_or_b32 exec_lo, exec_lo, s2
.LBB18_239:
	s_delay_alu instid0(SALU_CYCLE_1)
	s_or_b32 exec_lo, exec_lo, s1
.LBB18_240:
	s_delay_alu instid0(SALU_CYCLE_1)
	s_or_b32 exec_lo, exec_lo, s5
	v_mov_b32_e32 v36, 0
	ds_load_b32 v36, v36 offset:8
	s_wait_dscnt 0x0
	v_mul_f32_e32 v36, v108, v36
.LBB18_241:
	s_or_b32 exec_lo, exec_lo, s4
	v_cmp_lt_u32_e64 s1, 1, v0
	ds_store_b32 v107, v35
	s_wait_dscnt 0x0
	s_barrier_signal -1
	s_barrier_wait -1
	s_and_saveexec_b32 s4, s1
	s_cbranch_execz .LBB18_257
; %bb.242:
	s_and_not1_b32 vcc_lo, exec_lo, s19
	s_cbranch_vccnz .LBB18_244
; %bb.243:
	v_cmp_eq_u32_e32 vcc_lo, 1, v0
	ds_load_b32 v105, v107
	v_cndmask_b32_e32 v104, v34, v35, vcc_lo
	v_cmp_eq_u32_e32 vcc_lo, 2, v0
	s_delay_alu instid0(VALU_DEP_2) | instskip(SKIP_1) | instid1(VALU_DEP_2)
	v_cndmask_b32_e32 v104, v104, v36, vcc_lo
	v_cmp_eq_u32_e32 vcc_lo, 3, v0
	v_cndmask_b32_e32 v104, v104, v37, vcc_lo
	v_cmp_eq_u32_e32 vcc_lo, 4, v0
	s_delay_alu instid0(VALU_DEP_2) | instskip(SKIP_1) | instid1(VALU_DEP_2)
	v_cndmask_b32_e32 v104, v104, v38, vcc_lo
	v_cmp_eq_u32_e32 vcc_lo, 5, v0
	;; [unrolled: 5-line block ×8, first 2 shown]
	v_cndmask_b32_e32 v104, v104, v51, vcc_lo
	v_cmp_eq_u32_e32 vcc_lo, 18, v0
	s_delay_alu instid0(VALU_DEP_2) | instskip(SKIP_1) | instid1(VALU_DEP_1)
	v_cndmask_b32_e32 v104, v104, v52, vcc_lo
	s_wait_dscnt 0x0
	v_mul_f32_e32 v108, v104, v105
	s_cbranch_execz .LBB18_245
	s_branch .LBB18_246
.LBB18_244:
                                        ; implicit-def: $vgpr108
.LBB18_245:
	ds_load_b32 v108, v107
.LBB18_246:
	s_and_saveexec_b32 s5, s0
	s_cbranch_execz .LBB18_256
; %bb.247:
	v_dual_add_nc_u32 v104, -3, v0 :: v_dual_add_nc_u32 v105, -2, v0
	s_delay_alu instid0(VALU_DEP_1)
	v_cmp_lt_u32_e32 vcc_lo, 6, v104
	v_mov_b32_e32 v104, 2
	s_and_saveexec_b32 s0, vcc_lo
	s_cbranch_execz .LBB18_251
; %bb.248:
	v_and_b32_e32 v104, -8, v105
	s_mov_b32 s6, 0
	s_mov_b64 s[2:3], 9
	s_movk_i32 s7, 0x58
	s_delay_alu instid0(VALU_DEP_1)
	v_sub_nc_u32_e32 v106, 0, v104
.LBB18_249:                             ; =>This Inner Loop Header: Depth=1
	s_add_co_i32 m0, s2, -7
	v_movrels_b32_e32 v109, v34
	v_mov_b32_e32 v104, s7
	s_add_co_i32 m0, s2, -6
	s_add_co_i32 s7, s7, 32
	v_movrels_b32_e32 v118, v34
	s_add_co_i32 m0, s2, -5
	ds_load_2addr_b64 v[110:113], v104 offset1:1
	ds_load_2addr_b64 v[114:117], v104 offset0:2 offset1:3
	v_movrels_b32_e32 v104, v34
	s_add_co_i32 m0, s2, -4
	s_wait_dscnt 0x1
	v_fmac_f32_e32 v108, v109, v110
	v_movrels_b32_e32 v109, v34
	s_add_co_i32 m0, s2, -3
	s_delay_alu instid0(VALU_DEP_2) | instskip(NEXT) | instid1(VALU_DEP_1)
	v_fmac_f32_e32 v108, v118, v111
	v_fmac_f32_e32 v108, v104, v112
	v_movrels_b32_e32 v104, v34
	s_add_co_i32 m0, s2, -2
	s_delay_alu instid0(VALU_DEP_2) | instskip(SKIP_3) | instid1(VALU_DEP_2)
	v_fmac_f32_e32 v108, v109, v113
	v_movrels_b32_e32 v109, v34
	s_add_co_i32 m0, s2, -1
	s_wait_dscnt 0x0
	v_fmac_f32_e32 v108, v104, v114
	v_movrels_b32_e32 v104, v34
	s_mov_b32 m0, s2
	s_add_nc_u64 s[2:3], s[2:3], 8
	v_movrels_b32_e32 v110, v34
	v_dual_fmac_f32 v108, v109, v115 :: v_dual_add_nc_u32 v109, s2, v106
	s_add_co_i32 s8, s2, -7
	s_delay_alu instid0(VALU_DEP_1) | instskip(NEXT) | instid1(VALU_DEP_2)
	v_fmac_f32_e32 v108, v104, v116
	v_cmp_eq_u32_e32 vcc_lo, 9, v109
	s_delay_alu instid0(VALU_DEP_2) | instskip(SKIP_1) | instid1(SALU_CYCLE_1)
	v_dual_mov_b32 v104, s8 :: v_dual_fmac_f32 v108, v110, v117
	s_or_b32 s6, vcc_lo, s6
	s_and_not1_b32 exec_lo, exec_lo, s6
	s_cbranch_execnz .LBB18_249
; %bb.250:
	s_or_b32 exec_lo, exec_lo, s6
.LBB18_251:
	s_delay_alu instid0(SALU_CYCLE_1) | instskip(SKIP_3) | instid1(VALU_DEP_1)
	s_or_b32 exec_lo, exec_lo, s0
	v_and_b32_e32 v53, 7, v105
	s_mov_b32 s2, 0
	s_mov_b32 s0, exec_lo
	v_cmpx_ne_u32_e32 0, v53
	s_cbranch_execz .LBB18_255
; %bb.252:
	v_lshl_add_u32 v54, v104, 2, 0x50
	v_mov_b32_e32 v105, 0
.LBB18_253:                             ; =>This Inner Loop Header: Depth=1
	v_cmp_eq_u32_e32 vcc_lo, 1, v104
	ds_load_b32 v56, v54
	v_dual_add_nc_u32 v53, -1, v53 :: v_dual_add_nc_u32 v54, 4, v54
	v_cndmask_b32_e32 v55, v34, v35, vcc_lo
	v_cmp_eq_u32_e32 vcc_lo, 2, v104
	s_delay_alu instid0(VALU_DEP_2) | instskip(SKIP_1) | instid1(VALU_DEP_2)
	v_cndmask_b32_e32 v55, v55, v36, vcc_lo
	v_cmp_eq_u32_e32 vcc_lo, 3, v104
	v_cndmask_b32_e32 v55, v55, v37, vcc_lo
	v_cmp_eq_u32_e32 vcc_lo, 4, v104
	s_delay_alu instid0(VALU_DEP_2) | instskip(SKIP_1) | instid1(VALU_DEP_2)
	v_cndmask_b32_e32 v55, v55, v38, vcc_lo
	v_cmp_eq_u32_e32 vcc_lo, 5, v104
	v_cndmask_b32_e32 v55, v55, v39, vcc_lo
	v_cmp_eq_u32_e32 vcc_lo, 6, v104
	s_delay_alu instid0(VALU_DEP_2) | instskip(SKIP_1) | instid1(VALU_DEP_2)
	v_cndmask_b32_e32 v55, v55, v40, vcc_lo
	v_cmp_eq_u32_e32 vcc_lo, 7, v104
	v_cndmask_b32_e32 v55, v55, v41, vcc_lo
	v_cmp_eq_u32_e32 vcc_lo, 8, v104
	s_delay_alu instid0(VALU_DEP_2) | instskip(SKIP_1) | instid1(VALU_DEP_2)
	v_cndmask_b32_e32 v55, v55, v42, vcc_lo
	v_cmp_eq_u32_e32 vcc_lo, 9, v104
	v_cndmask_b32_e32 v55, v55, v43, vcc_lo
	v_cmp_eq_u32_e32 vcc_lo, 10, v104
	s_delay_alu instid0(VALU_DEP_2) | instskip(SKIP_1) | instid1(VALU_DEP_2)
	v_cndmask_b32_e32 v55, v55, v44, vcc_lo
	v_cmp_eq_u32_e32 vcc_lo, 11, v104
	v_cndmask_b32_e32 v55, v55, v45, vcc_lo
	v_cmp_eq_u32_e32 vcc_lo, 12, v104
	s_delay_alu instid0(VALU_DEP_2) | instskip(SKIP_1) | instid1(VALU_DEP_2)
	v_cndmask_b32_e32 v55, v55, v46, vcc_lo
	v_cmp_eq_u32_e32 vcc_lo, 13, v104
	v_cndmask_b32_e32 v55, v55, v47, vcc_lo
	v_cmp_eq_u32_e32 vcc_lo, 14, v104
	s_delay_alu instid0(VALU_DEP_2) | instskip(SKIP_1) | instid1(VALU_DEP_2)
	v_cndmask_b32_e32 v55, v55, v48, vcc_lo
	v_cmp_eq_u32_e32 vcc_lo, 15, v104
	v_cndmask_b32_e32 v55, v55, v49, vcc_lo
	v_cmp_eq_u32_e32 vcc_lo, 16, v104
	s_delay_alu instid0(VALU_DEP_2) | instskip(SKIP_1) | instid1(VALU_DEP_2)
	v_cndmask_b32_e32 v55, v55, v50, vcc_lo
	v_cmp_eq_u32_e32 vcc_lo, 17, v104
	v_cndmask_b32_e32 v55, v55, v51, vcc_lo
	v_cmp_eq_u32_e32 vcc_lo, 18, v104
	v_add_nc_u64_e32 v[104:105], 1, v[104:105]
	s_delay_alu instid0(VALU_DEP_3) | instskip(SKIP_2) | instid1(VALU_DEP_2)
	v_cndmask_b32_e32 v55, v55, v52, vcc_lo
	v_cmp_eq_u32_e32 vcc_lo, 0, v53
	s_wait_dscnt 0x0
	v_fmac_f32_e32 v108, v55, v56
	s_or_b32 s2, vcc_lo, s2
	s_delay_alu instid0(SALU_CYCLE_1)
	s_and_not1_b32 exec_lo, exec_lo, s2
	s_cbranch_execnz .LBB18_253
; %bb.254:
	s_or_b32 exec_lo, exec_lo, s2
.LBB18_255:
	s_delay_alu instid0(SALU_CYCLE_1)
	s_or_b32 exec_lo, exec_lo, s0
.LBB18_256:
	s_delay_alu instid0(SALU_CYCLE_1)
	s_or_b32 exec_lo, exec_lo, s5
	v_mov_b32_e32 v35, 0
	ds_load_b32 v35, v35 offset:4
	s_wait_dscnt 0x0
	v_mul_f32_e32 v35, v108, v35
.LBB18_257:
	s_or_b32 exec_lo, exec_lo, s4
	s_mov_b32 s2, 0
	s_mov_b32 s3, exec_lo
	ds_store_b32 v107, v34
	s_wait_dscnt 0x0
	s_barrier_signal -1
	s_barrier_wait -1
	v_cmpx_ne_u32_e32 0, v0
	s_cbranch_execz .LBB18_273
; %bb.258:
	s_and_not1_b32 vcc_lo, exec_lo, s19
	s_cbranch_vccnz .LBB18_260
; %bb.259:
	v_cmp_eq_u32_e32 vcc_lo, 1, v0
	ds_load_b32 v105, v107
	v_cndmask_b32_e32 v104, v34, v35, vcc_lo
	v_cmp_eq_u32_e32 vcc_lo, 2, v0
	s_delay_alu instid0(VALU_DEP_2) | instskip(SKIP_1) | instid1(VALU_DEP_2)
	v_cndmask_b32_e32 v104, v104, v36, vcc_lo
	v_cmp_eq_u32_e32 vcc_lo, 3, v0
	v_cndmask_b32_e32 v104, v104, v37, vcc_lo
	v_cmp_eq_u32_e32 vcc_lo, 4, v0
	s_delay_alu instid0(VALU_DEP_2) | instskip(SKIP_1) | instid1(VALU_DEP_2)
	v_cndmask_b32_e32 v104, v104, v38, vcc_lo
	v_cmp_eq_u32_e32 vcc_lo, 5, v0
	;; [unrolled: 5-line block ×8, first 2 shown]
	v_cndmask_b32_e32 v104, v104, v51, vcc_lo
	v_cmp_eq_u32_e32 vcc_lo, 18, v0
	s_delay_alu instid0(VALU_DEP_2) | instskip(SKIP_1) | instid1(VALU_DEP_1)
	v_cndmask_b32_e32 v104, v104, v52, vcc_lo
	s_wait_dscnt 0x0
	v_mul_f32_e32 v108, v104, v105
	s_cbranch_execz .LBB18_261
	s_branch .LBB18_262
.LBB18_260:
                                        ; implicit-def: $vgpr108
.LBB18_261:
	ds_load_b32 v108, v107
.LBB18_262:
	s_and_saveexec_b32 s4, s1
	s_cbranch_execz .LBB18_272
; %bb.263:
	v_dual_add_nc_u32 v104, -2, v0 :: v_dual_add_nc_u32 v105, -1, v0
	s_delay_alu instid0(VALU_DEP_1)
	v_cmp_lt_u32_e32 vcc_lo, 6, v104
	v_mov_b32_e32 v104, 1
	s_and_saveexec_b32 s5, vcc_lo
	s_cbranch_execz .LBB18_267
; %bb.264:
	v_and_b32_e32 v104, -8, v105
	s_mov_b32 s6, 0
	s_mov_b64 s[0:1], 8
	s_movk_i32 s7, 0x54
	s_delay_alu instid0(VALU_DEP_1)
	v_sub_nc_u32_e32 v106, 0, v104
.LBB18_265:                             ; =>This Inner Loop Header: Depth=1
	s_add_co_i32 m0, s0, -7
	v_movrels_b32_e32 v109, v34
	v_mov_b32_e32 v104, s7
	s_add_co_i32 m0, s0, -6
	s_add_co_i32 s7, s7, 32
	v_movrels_b32_e32 v118, v34
	ds_load_2addr_b32 v[110:111], v104 offset1:1
	ds_load_2addr_b32 v[112:113], v104 offset0:2 offset1:3
	s_add_co_i32 m0, s0, -5
	s_wait_dscnt 0x1
	v_fmac_f32_e32 v108, v109, v110
	ds_load_2addr_b32 v[114:115], v104 offset0:4 offset1:5
	ds_load_2addr_b32 v[116:117], v104 offset0:6 offset1:7
	v_movrels_b32_e32 v104, v34
	s_add_co_i32 m0, s0, -4
	v_fmac_f32_e32 v108, v118, v111
	v_movrels_b32_e32 v109, v34
	s_add_co_i32 m0, s0, -3
	s_wait_dscnt 0x2
	s_delay_alu instid0(VALU_DEP_2) | instskip(SKIP_2) | instid1(VALU_DEP_2)
	v_fmac_f32_e32 v108, v104, v112
	v_movrels_b32_e32 v104, v34
	s_add_co_i32 m0, s0, -2
	v_fmac_f32_e32 v108, v109, v113
	v_movrels_b32_e32 v109, v34
	s_add_co_i32 m0, s0, -1
	s_wait_dscnt 0x1
	s_delay_alu instid0(VALU_DEP_2)
	v_fmac_f32_e32 v108, v104, v114
	v_movrels_b32_e32 v104, v34
	s_mov_b32 m0, s0
	s_add_nc_u64 s[0:1], s[0:1], 8
	v_movrels_b32_e32 v110, v34
	v_dual_fmac_f32 v108, v109, v115 :: v_dual_add_nc_u32 v109, s0, v106
	s_add_co_i32 s8, s0, -7
	s_wait_dscnt 0x0
	s_delay_alu instid0(VALU_DEP_1) | instskip(NEXT) | instid1(VALU_DEP_2)
	v_fmac_f32_e32 v108, v104, v116
	v_cmp_eq_u32_e32 vcc_lo, 8, v109
	s_delay_alu instid0(VALU_DEP_2) | instskip(SKIP_1) | instid1(SALU_CYCLE_1)
	v_dual_mov_b32 v104, s8 :: v_dual_fmac_f32 v108, v110, v117
	s_or_b32 s6, vcc_lo, s6
	s_and_not1_b32 exec_lo, exec_lo, s6
	s_cbranch_execnz .LBB18_265
; %bb.266:
	s_or_b32 exec_lo, exec_lo, s6
.LBB18_267:
	s_delay_alu instid0(SALU_CYCLE_1) | instskip(SKIP_3) | instid1(VALU_DEP_1)
	s_or_b32 exec_lo, exec_lo, s5
	v_and_b32_e32 v53, 7, v105
	s_mov_b32 s1, 0
	s_mov_b32 s0, exec_lo
	v_cmpx_ne_u32_e32 0, v53
	s_cbranch_execz .LBB18_271
; %bb.268:
	v_lshl_add_u32 v54, v104, 2, 0x50
	v_mov_b32_e32 v105, 0
.LBB18_269:                             ; =>This Inner Loop Header: Depth=1
	v_cmp_eq_u32_e32 vcc_lo, 1, v104
	ds_load_b32 v56, v54
	v_dual_add_nc_u32 v53, -1, v53 :: v_dual_add_nc_u32 v54, 4, v54
	v_cndmask_b32_e32 v55, v34, v35, vcc_lo
	v_cmp_eq_u32_e32 vcc_lo, 2, v104
	s_delay_alu instid0(VALU_DEP_2) | instskip(SKIP_1) | instid1(VALU_DEP_2)
	v_cndmask_b32_e32 v55, v55, v36, vcc_lo
	v_cmp_eq_u32_e32 vcc_lo, 3, v104
	v_cndmask_b32_e32 v55, v55, v37, vcc_lo
	v_cmp_eq_u32_e32 vcc_lo, 4, v104
	s_delay_alu instid0(VALU_DEP_2) | instskip(SKIP_1) | instid1(VALU_DEP_2)
	v_cndmask_b32_e32 v55, v55, v38, vcc_lo
	v_cmp_eq_u32_e32 vcc_lo, 5, v104
	;; [unrolled: 5-line block ×8, first 2 shown]
	v_cndmask_b32_e32 v55, v55, v51, vcc_lo
	v_cmp_eq_u32_e32 vcc_lo, 18, v104
	v_add_nc_u64_e32 v[104:105], 1, v[104:105]
	s_delay_alu instid0(VALU_DEP_3) | instskip(SKIP_2) | instid1(VALU_DEP_2)
	v_cndmask_b32_e32 v55, v55, v52, vcc_lo
	v_cmp_eq_u32_e32 vcc_lo, 0, v53
	s_wait_dscnt 0x0
	v_fmac_f32_e32 v108, v55, v56
	s_or_b32 s1, vcc_lo, s1
	s_delay_alu instid0(SALU_CYCLE_1)
	s_and_not1_b32 exec_lo, exec_lo, s1
	s_cbranch_execnz .LBB18_269
; %bb.270:
	s_or_b32 exec_lo, exec_lo, s1
.LBB18_271:
	s_delay_alu instid0(SALU_CYCLE_1)
	s_or_b32 exec_lo, exec_lo, s0
.LBB18_272:
	s_delay_alu instid0(SALU_CYCLE_1)
	s_or_b32 exec_lo, exec_lo, s4
	v_mov_b32_e32 v34, 0
	ds_load_b32 v34, v34
	s_wait_dscnt 0x0
	v_mul_f32_e32 v34, v108, v34
.LBB18_273:
	s_or_b32 exec_lo, exec_lo, s3
	s_delay_alu instid0(SALU_CYCLE_1)
	s_and_b32 vcc_lo, exec_lo, s2
	s_cbranch_vccz .LBB18_457
.LBB18_274:
	v_cmp_eq_u32_e64 s0, 0, v0
	s_wait_loadcnt 0x12
	ds_store_b32 v107, v3
	s_wait_loadcnt_dscnt 0x0
	s_barrier_signal -1
	s_barrier_wait -1
	s_and_saveexec_b32 s1, s0
	s_cbranch_execz .LBB18_280
; %bb.275:
	s_and_b32 vcc_lo, exec_lo, s19
	s_cbranch_vccz .LBB18_277
; %bb.276:
	v_cmp_eq_u32_e32 vcc_lo, 1, v0
	ds_load_b32 v21, v107
	v_cndmask_b32_e32 v3, v2, v3, vcc_lo
	v_cmp_eq_u32_e32 vcc_lo, 2, v0
	s_delay_alu instid0(VALU_DEP_2) | instskip(SKIP_1) | instid1(VALU_DEP_2)
	v_cndmask_b32_e32 v3, v3, v4, vcc_lo
	v_cmp_eq_u32_e32 vcc_lo, 3, v0
	v_cndmask_b32_e32 v3, v3, v5, vcc_lo
	v_cmp_eq_u32_e32 vcc_lo, 4, v0
	s_delay_alu instid0(VALU_DEP_2) | instskip(SKIP_1) | instid1(VALU_DEP_2)
	v_cndmask_b32_e32 v3, v3, v6, vcc_lo
	v_cmp_eq_u32_e32 vcc_lo, 5, v0
	;; [unrolled: 5-line block ×8, first 2 shown]
	v_cndmask_b32_e32 v3, v3, v19, vcc_lo
	v_cmp_eq_u32_e32 vcc_lo, 18, v0
	s_delay_alu instid0(VALU_DEP_2) | instskip(SKIP_1) | instid1(VALU_DEP_1)
	v_cndmask_b32_e32 v3, v3, v20, vcc_lo
	s_wait_dscnt 0x0
	v_mul_f32_e32 v3, v3, v21
	s_cbranch_execz .LBB18_278
	s_branch .LBB18_279
.LBB18_277:
                                        ; implicit-def: $vgpr3
.LBB18_278:
	ds_load_b32 v3, v107
.LBB18_279:
	v_mov_b32_e32 v21, 0
	ds_load_b32 v21, v21 offset:4
	s_wait_dscnt 0x0
	v_mul_f32_e32 v3, v3, v21
.LBB18_280:
	s_or_b32 exec_lo, exec_lo, s1
	v_cndmask_b32_e64 v34, 0, 1, s19
	s_mov_b32 s1, exec_lo
	ds_store_b32 v107, v4
	s_wait_dscnt 0x0
	s_barrier_signal -1
	s_barrier_wait -1
	v_cmpx_gt_u32_e32 2, v0
	s_cbranch_execz .LBB18_286
; %bb.281:
	s_and_not1_b32 vcc_lo, exec_lo, s19
	s_cbranch_vccnz .LBB18_283
; %bb.282:
	v_cmp_eq_u32_e32 vcc_lo, 1, v0
	v_cndmask_b32_e32 v21, v2, v3, vcc_lo
	v_cmp_eq_u32_e32 vcc_lo, 2, v0
	s_delay_alu instid0(VALU_DEP_2) | instskip(SKIP_4) | instid1(VALU_DEP_2)
	v_cndmask_b32_e32 v4, v21, v4, vcc_lo
	v_cmp_eq_u32_e32 vcc_lo, 3, v0
	ds_load_b32 v21, v107
	v_cndmask_b32_e32 v4, v4, v5, vcc_lo
	v_cmp_eq_u32_e32 vcc_lo, 4, v0
	v_cndmask_b32_e32 v4, v4, v6, vcc_lo
	v_cmp_eq_u32_e32 vcc_lo, 5, v0
	s_delay_alu instid0(VALU_DEP_2) | instskip(SKIP_1) | instid1(VALU_DEP_2)
	v_cndmask_b32_e32 v4, v4, v7, vcc_lo
	v_cmp_eq_u32_e32 vcc_lo, 6, v0
	v_cndmask_b32_e32 v4, v4, v8, vcc_lo
	v_cmp_eq_u32_e32 vcc_lo, 7, v0
	s_delay_alu instid0(VALU_DEP_2) | instskip(SKIP_1) | instid1(VALU_DEP_2)
	;; [unrolled: 5-line block ×7, first 2 shown]
	v_cndmask_b32_e32 v4, v4, v19, vcc_lo
	v_cmp_eq_u32_e32 vcc_lo, 18, v0
	v_cndmask_b32_e32 v4, v4, v20, vcc_lo
	s_wait_dscnt 0x0
	s_delay_alu instid0(VALU_DEP_1)
	v_mul_f32_e32 v4, v4, v21
	s_cbranch_execz .LBB18_284
	s_branch .LBB18_285
.LBB18_283:
                                        ; implicit-def: $vgpr4
.LBB18_284:
	ds_load_b32 v4, v107
.LBB18_285:
	v_mov_b32_e32 v21, 0
	ds_load_2addr_b32 v[22:23], v21 offset0:2 offset1:21
	s_wait_dscnt 0x0
	v_fma_f32 v21, v3, v23, v4
	s_delay_alu instid0(VALU_DEP_1) | instskip(NEXT) | instid1(VALU_DEP_1)
	v_cndmask_b32_e64 v4, v4, v21, s0
	v_mul_f32_e32 v4, v4, v22
.LBB18_286:
	s_or_b32 exec_lo, exec_lo, s1
	v_add_nc_u32_e32 v35, 1, v0
	v_cmp_gt_u32_e64 s1, 3, v0
	ds_store_b32 v107, v5
	s_wait_dscnt 0x0
	s_barrier_signal -1
	s_barrier_wait -1
	s_and_saveexec_b32 s2, s1
	s_cbranch_execz .LBB18_294
; %bb.287:
	v_cmp_ne_u32_e32 vcc_lo, 1, v34
	s_cbranch_vccnz .LBB18_289
; %bb.288:
	v_cmp_eq_u32_e32 vcc_lo, 1, v0
	ds_load_b32 v22, v107
	v_cndmask_b32_e32 v21, v2, v3, vcc_lo
	v_cmp_eq_u32_e32 vcc_lo, 2, v0
	s_delay_alu instid0(VALU_DEP_2) | instskip(SKIP_1) | instid1(VALU_DEP_2)
	v_cndmask_b32_e32 v21, v21, v4, vcc_lo
	v_cmp_eq_u32_e32 vcc_lo, 3, v0
	v_cndmask_b32_e32 v21, v21, v5, vcc_lo
	v_cmp_eq_u32_e32 vcc_lo, 4, v0
	s_delay_alu instid0(VALU_DEP_2) | instskip(SKIP_1) | instid1(VALU_DEP_2)
	v_cndmask_b32_e32 v21, v21, v6, vcc_lo
	v_cmp_eq_u32_e32 vcc_lo, 5, v0
	;; [unrolled: 5-line block ×8, first 2 shown]
	v_cndmask_b32_e32 v21, v21, v19, vcc_lo
	v_cmp_eq_u32_e32 vcc_lo, 18, v0
	s_delay_alu instid0(VALU_DEP_2) | instskip(SKIP_1) | instid1(VALU_DEP_1)
	v_cndmask_b32_e32 v21, v21, v20, vcc_lo
	s_wait_dscnt 0x0
	v_mul_f32_e32 v21, v21, v22
	s_cbranch_execz .LBB18_290
	s_branch .LBB18_291
.LBB18_289:
                                        ; implicit-def: $vgpr21
.LBB18_290:
	ds_load_b32 v21, v107
.LBB18_291:
	s_mov_b32 s3, exec_lo
	v_cmpx_ne_u32_e32 2, v0
	s_cbranch_execz .LBB18_293
; %bb.292:
	v_cmp_eq_u32_e32 vcc_lo, 1, v35
	v_dual_mov_b32 v23, 0 :: v_dual_cndmask_b32 v22, v2, v3
	v_cmp_eq_u32_e32 vcc_lo, 2, v35
	ds_load_b32 v23, v23 offset:88
	v_cndmask_b32_e32 v22, v22, v4, vcc_lo
	v_cmp_eq_u32_e32 vcc_lo, 3, v35
	s_delay_alu instid0(VALU_DEP_2) | instskip(SKIP_4) | instid1(VALU_DEP_2)
	v_cndmask_b32_e32 v5, v22, v5, vcc_lo
	v_cmp_eq_u32_e32 vcc_lo, 4, v35
	ds_load_b32 v22, v107 offset:4
	v_cndmask_b32_e32 v5, v5, v6, vcc_lo
	v_cmp_eq_u32_e32 vcc_lo, 5, v35
	v_cndmask_b32_e32 v5, v5, v7, vcc_lo
	v_cmp_eq_u32_e32 vcc_lo, 6, v35
	s_delay_alu instid0(VALU_DEP_2) | instskip(SKIP_1) | instid1(VALU_DEP_2)
	v_cndmask_b32_e32 v5, v5, v8, vcc_lo
	v_cmp_eq_u32_e32 vcc_lo, 7, v35
	v_cndmask_b32_e32 v5, v5, v9, vcc_lo
	v_cmp_eq_u32_e32 vcc_lo, 8, v35
	s_delay_alu instid0(VALU_DEP_2) | instskip(SKIP_1) | instid1(VALU_DEP_2)
	;; [unrolled: 5-line block ×6, first 2 shown]
	v_cndmask_b32_e32 v5, v5, v18, vcc_lo
	v_cmp_eq_u32_e32 vcc_lo, 17, v35
	v_cndmask_b32_e32 v5, v5, v19, vcc_lo
	v_cmp_eq_u32_e32 vcc_lo, 18, v35
	s_delay_alu instid0(VALU_DEP_2) | instskip(SKIP_1) | instid1(VALU_DEP_1)
	v_cndmask_b32_e32 v5, v5, v20, vcc_lo
	s_wait_dscnt 0x0
	v_fmac_f32_e32 v21, v5, v22
	s_delay_alu instid0(VALU_DEP_1) | instskip(NEXT) | instid1(VALU_DEP_1)
	v_fma_f32 v5, v4, v23, v21
	v_cndmask_b32_e64 v21, v21, v5, s0
.LBB18_293:
	s_or_b32 exec_lo, exec_lo, s3
	v_mov_b32_e32 v5, 0
	ds_load_b32 v5, v5 offset:12
	s_wait_dscnt 0x0
	v_mul_f32_e32 v5, v21, v5
.LBB18_294:
	s_or_b32 exec_lo, exec_lo, s2
	s_delay_alu instid0(SALU_CYCLE_1)
	s_mov_b32 s2, exec_lo
	ds_store_b32 v107, v6
	s_wait_dscnt 0x0
	s_barrier_signal -1
	s_barrier_wait -1
	v_cmpx_gt_u32_e32 4, v0
	s_cbranch_execz .LBB18_304
; %bb.295:
	v_cmp_ne_u32_e32 vcc_lo, 1, v34
	s_cbranch_vccnz .LBB18_297
; %bb.296:
	v_cmp_eq_u32_e32 vcc_lo, 1, v0
	ds_load_b32 v22, v107
	v_cndmask_b32_e32 v21, v2, v3, vcc_lo
	v_cmp_eq_u32_e32 vcc_lo, 2, v0
	s_delay_alu instid0(VALU_DEP_2) | instskip(SKIP_1) | instid1(VALU_DEP_2)
	v_cndmask_b32_e32 v21, v21, v4, vcc_lo
	v_cmp_eq_u32_e32 vcc_lo, 3, v0
	v_cndmask_b32_e32 v21, v21, v5, vcc_lo
	v_cmp_eq_u32_e32 vcc_lo, 4, v0
	s_delay_alu instid0(VALU_DEP_2) | instskip(SKIP_1) | instid1(VALU_DEP_2)
	v_cndmask_b32_e32 v21, v21, v6, vcc_lo
	v_cmp_eq_u32_e32 vcc_lo, 5, v0
	;; [unrolled: 5-line block ×8, first 2 shown]
	v_cndmask_b32_e32 v21, v21, v19, vcc_lo
	v_cmp_eq_u32_e32 vcc_lo, 18, v0
	s_delay_alu instid0(VALU_DEP_2) | instskip(SKIP_1) | instid1(VALU_DEP_1)
	v_cndmask_b32_e32 v21, v21, v20, vcc_lo
	s_wait_dscnt 0x0
	v_mul_f32_e32 v21, v21, v22
	s_cbranch_execz .LBB18_298
	s_branch .LBB18_299
.LBB18_297:
                                        ; implicit-def: $vgpr21
.LBB18_298:
	ds_load_b32 v21, v107
.LBB18_299:
	s_mov_b32 s3, exec_lo
	v_cmpx_ne_u32_e32 3, v0
	s_cbranch_execz .LBB18_303
; %bb.300:
	v_mov_b64_e32 v[22:23], v[0:1]
	v_lshl_add_u32 v24, v0, 2, 0x54
	s_mov_b32 s4, 0
.LBB18_301:                             ; =>This Inner Loop Header: Depth=1
	s_delay_alu instid0(VALU_DEP_2)
	v_add_nc_u64_e32 v[22:23], 1, v[22:23]
	ds_load_b32 v26, v24
	v_add_nc_u32_e32 v24, 4, v24
	v_cmp_eq_u32_e32 vcc_lo, 1, v22
	v_cndmask_b32_e32 v25, v2, v3, vcc_lo
	v_cmp_eq_u32_e32 vcc_lo, 2, v22
	s_delay_alu instid0(VALU_DEP_2) | instskip(SKIP_1) | instid1(VALU_DEP_2)
	v_cndmask_b32_e32 v25, v25, v4, vcc_lo
	v_cmp_eq_u32_e32 vcc_lo, 3, v22
	v_cndmask_b32_e32 v25, v25, v5, vcc_lo
	v_cmp_eq_u32_e32 vcc_lo, 4, v22
	s_delay_alu instid0(VALU_DEP_2) | instskip(SKIP_1) | instid1(VALU_DEP_2)
	v_cndmask_b32_e32 v25, v25, v6, vcc_lo
	v_cmp_eq_u32_e32 vcc_lo, 5, v22
	v_cndmask_b32_e32 v25, v25, v7, vcc_lo
	v_cmp_eq_u32_e32 vcc_lo, 6, v22
	s_delay_alu instid0(VALU_DEP_2) | instskip(SKIP_1) | instid1(VALU_DEP_2)
	v_cndmask_b32_e32 v25, v25, v8, vcc_lo
	v_cmp_eq_u32_e32 vcc_lo, 7, v22
	v_cndmask_b32_e32 v25, v25, v9, vcc_lo
	v_cmp_eq_u32_e32 vcc_lo, 8, v22
	s_delay_alu instid0(VALU_DEP_2) | instskip(SKIP_1) | instid1(VALU_DEP_2)
	v_cndmask_b32_e32 v25, v25, v10, vcc_lo
	v_cmp_eq_u32_e32 vcc_lo, 9, v22
	v_cndmask_b32_e32 v25, v25, v11, vcc_lo
	v_cmp_eq_u32_e32 vcc_lo, 10, v22
	s_delay_alu instid0(VALU_DEP_2) | instskip(SKIP_1) | instid1(VALU_DEP_2)
	v_cndmask_b32_e32 v25, v25, v12, vcc_lo
	v_cmp_eq_u32_e32 vcc_lo, 11, v22
	v_cndmask_b32_e32 v25, v25, v13, vcc_lo
	v_cmp_eq_u32_e32 vcc_lo, 12, v22
	s_delay_alu instid0(VALU_DEP_2) | instskip(SKIP_1) | instid1(VALU_DEP_2)
	v_cndmask_b32_e32 v25, v25, v14, vcc_lo
	v_cmp_eq_u32_e32 vcc_lo, 13, v22
	v_cndmask_b32_e32 v25, v25, v15, vcc_lo
	v_cmp_eq_u32_e32 vcc_lo, 14, v22
	s_delay_alu instid0(VALU_DEP_2) | instskip(SKIP_1) | instid1(VALU_DEP_2)
	v_cndmask_b32_e32 v25, v25, v16, vcc_lo
	v_cmp_eq_u32_e32 vcc_lo, 15, v22
	v_cndmask_b32_e32 v25, v25, v17, vcc_lo
	v_cmp_eq_u32_e32 vcc_lo, 16, v22
	s_delay_alu instid0(VALU_DEP_2) | instskip(SKIP_1) | instid1(VALU_DEP_2)
	v_cndmask_b32_e32 v25, v25, v18, vcc_lo
	v_cmp_eq_u32_e32 vcc_lo, 17, v22
	v_cndmask_b32_e32 v25, v25, v19, vcc_lo
	v_cmp_eq_u32_e32 vcc_lo, 18, v22
	s_delay_alu instid0(VALU_DEP_2) | instskip(SKIP_2) | instid1(VALU_DEP_2)
	v_cndmask_b32_e32 v25, v25, v20, vcc_lo
	v_cmp_lt_u32_e32 vcc_lo, 2, v22
	s_wait_dscnt 0x0
	v_fmac_f32_e32 v21, v25, v26
	s_or_b32 s4, vcc_lo, s4
	s_delay_alu instid0(SALU_CYCLE_1)
	s_and_not1_b32 exec_lo, exec_lo, s4
	s_cbranch_execnz .LBB18_301
; %bb.302:
	s_or_b32 exec_lo, exec_lo, s4
.LBB18_303:
	s_delay_alu instid0(SALU_CYCLE_1)
	s_or_b32 exec_lo, exec_lo, s3
	v_mov_b32_e32 v6, 0
	ds_load_b32 v6, v6 offset:16
	s_wait_dscnt 0x0
	v_mul_f32_e32 v6, v21, v6
.LBB18_304:
	s_or_b32 exec_lo, exec_lo, s2
	v_cmp_gt_u32_e64 s2, 5, v0
	ds_store_b32 v107, v7
	s_wait_dscnt 0x0
	s_barrier_signal -1
	s_barrier_wait -1
	s_and_saveexec_b32 s3, s2
	s_cbranch_execz .LBB18_314
; %bb.305:
	v_cmp_ne_u32_e32 vcc_lo, 1, v34
	s_cbranch_vccnz .LBB18_307
; %bb.306:
	v_cmp_eq_u32_e32 vcc_lo, 1, v0
	ds_load_b32 v22, v107
	v_cndmask_b32_e32 v21, v2, v3, vcc_lo
	v_cmp_eq_u32_e32 vcc_lo, 2, v0
	s_delay_alu instid0(VALU_DEP_2) | instskip(SKIP_1) | instid1(VALU_DEP_2)
	v_cndmask_b32_e32 v21, v21, v4, vcc_lo
	v_cmp_eq_u32_e32 vcc_lo, 3, v0
	v_cndmask_b32_e32 v21, v21, v5, vcc_lo
	v_cmp_eq_u32_e32 vcc_lo, 4, v0
	s_delay_alu instid0(VALU_DEP_2) | instskip(SKIP_1) | instid1(VALU_DEP_2)
	v_cndmask_b32_e32 v21, v21, v6, vcc_lo
	v_cmp_eq_u32_e32 vcc_lo, 5, v0
	;; [unrolled: 5-line block ×8, first 2 shown]
	v_cndmask_b32_e32 v21, v21, v19, vcc_lo
	v_cmp_eq_u32_e32 vcc_lo, 18, v0
	s_delay_alu instid0(VALU_DEP_2) | instskip(SKIP_1) | instid1(VALU_DEP_1)
	v_cndmask_b32_e32 v21, v21, v20, vcc_lo
	s_wait_dscnt 0x0
	v_mul_f32_e32 v21, v21, v22
	s_cbranch_execz .LBB18_308
	s_branch .LBB18_309
.LBB18_307:
                                        ; implicit-def: $vgpr21
.LBB18_308:
	ds_load_b32 v21, v107
.LBB18_309:
	s_mov_b32 s4, exec_lo
	v_cmpx_ne_u32_e32 4, v0
	s_cbranch_execz .LBB18_313
; %bb.310:
	v_mov_b64_e32 v[22:23], v[0:1]
	v_lshl_add_u32 v24, v0, 2, 0x54
	s_mov_b32 s5, 0
.LBB18_311:                             ; =>This Inner Loop Header: Depth=1
	s_delay_alu instid0(VALU_DEP_2)
	v_add_nc_u64_e32 v[22:23], 1, v[22:23]
	ds_load_b32 v26, v24
	v_add_nc_u32_e32 v24, 4, v24
	v_cmp_eq_u32_e32 vcc_lo, 1, v22
	v_cndmask_b32_e32 v25, v2, v3, vcc_lo
	v_cmp_eq_u32_e32 vcc_lo, 2, v22
	s_delay_alu instid0(VALU_DEP_2) | instskip(SKIP_1) | instid1(VALU_DEP_2)
	v_cndmask_b32_e32 v25, v25, v4, vcc_lo
	v_cmp_eq_u32_e32 vcc_lo, 3, v22
	v_cndmask_b32_e32 v25, v25, v5, vcc_lo
	v_cmp_eq_u32_e32 vcc_lo, 4, v22
	s_delay_alu instid0(VALU_DEP_2) | instskip(SKIP_1) | instid1(VALU_DEP_2)
	v_cndmask_b32_e32 v25, v25, v6, vcc_lo
	;; [unrolled: 5-line block ×8, first 2 shown]
	v_cmp_eq_u32_e32 vcc_lo, 17, v22
	v_cndmask_b32_e32 v25, v25, v19, vcc_lo
	v_cmp_eq_u32_e32 vcc_lo, 18, v22
	s_delay_alu instid0(VALU_DEP_2) | instskip(SKIP_2) | instid1(VALU_DEP_2)
	v_cndmask_b32_e32 v25, v25, v20, vcc_lo
	v_cmp_lt_u32_e32 vcc_lo, 3, v22
	s_wait_dscnt 0x0
	v_fmac_f32_e32 v21, v25, v26
	s_or_b32 s5, vcc_lo, s5
	s_delay_alu instid0(SALU_CYCLE_1)
	s_and_not1_b32 exec_lo, exec_lo, s5
	s_cbranch_execnz .LBB18_311
; %bb.312:
	s_or_b32 exec_lo, exec_lo, s5
.LBB18_313:
	s_delay_alu instid0(SALU_CYCLE_1)
	s_or_b32 exec_lo, exec_lo, s4
	v_mov_b32_e32 v7, 0
	ds_load_b32 v7, v7 offset:20
	s_wait_dscnt 0x0
	v_mul_f32_e32 v7, v21, v7
.LBB18_314:
	s_or_b32 exec_lo, exec_lo, s3
	s_delay_alu instid0(SALU_CYCLE_1)
	s_mov_b32 s3, exec_lo
	ds_store_b32 v107, v8
	s_wait_dscnt 0x0
	s_barrier_signal -1
	s_barrier_wait -1
	v_cmpx_gt_u32_e32 6, v0
	s_cbranch_execz .LBB18_324
; %bb.315:
	v_cmp_ne_u32_e32 vcc_lo, 1, v34
	s_cbranch_vccnz .LBB18_317
; %bb.316:
	v_cmp_eq_u32_e32 vcc_lo, 1, v0
	ds_load_b32 v22, v107
	v_cndmask_b32_e32 v21, v2, v3, vcc_lo
	v_cmp_eq_u32_e32 vcc_lo, 2, v0
	s_delay_alu instid0(VALU_DEP_2) | instskip(SKIP_1) | instid1(VALU_DEP_2)
	v_cndmask_b32_e32 v21, v21, v4, vcc_lo
	v_cmp_eq_u32_e32 vcc_lo, 3, v0
	v_cndmask_b32_e32 v21, v21, v5, vcc_lo
	v_cmp_eq_u32_e32 vcc_lo, 4, v0
	s_delay_alu instid0(VALU_DEP_2) | instskip(SKIP_1) | instid1(VALU_DEP_2)
	v_cndmask_b32_e32 v21, v21, v6, vcc_lo
	v_cmp_eq_u32_e32 vcc_lo, 5, v0
	;; [unrolled: 5-line block ×8, first 2 shown]
	v_cndmask_b32_e32 v21, v21, v19, vcc_lo
	v_cmp_eq_u32_e32 vcc_lo, 18, v0
	s_delay_alu instid0(VALU_DEP_2) | instskip(SKIP_1) | instid1(VALU_DEP_1)
	v_cndmask_b32_e32 v21, v21, v20, vcc_lo
	s_wait_dscnt 0x0
	v_mul_f32_e32 v21, v21, v22
	s_cbranch_execz .LBB18_318
	s_branch .LBB18_319
.LBB18_317:
                                        ; implicit-def: $vgpr21
.LBB18_318:
	ds_load_b32 v21, v107
.LBB18_319:
	s_mov_b32 s4, exec_lo
	v_cmpx_ne_u32_e32 5, v0
	s_cbranch_execz .LBB18_323
; %bb.320:
	v_mov_b64_e32 v[22:23], v[0:1]
	v_lshl_add_u32 v24, v0, 2, 0x54
	s_mov_b32 s5, 0
.LBB18_321:                             ; =>This Inner Loop Header: Depth=1
	s_delay_alu instid0(VALU_DEP_2)
	v_add_nc_u64_e32 v[22:23], 1, v[22:23]
	ds_load_b32 v26, v24
	v_add_nc_u32_e32 v24, 4, v24
	v_cmp_eq_u32_e32 vcc_lo, 1, v22
	v_cndmask_b32_e32 v25, v2, v3, vcc_lo
	v_cmp_eq_u32_e32 vcc_lo, 2, v22
	s_delay_alu instid0(VALU_DEP_2) | instskip(SKIP_1) | instid1(VALU_DEP_2)
	v_cndmask_b32_e32 v25, v25, v4, vcc_lo
	v_cmp_eq_u32_e32 vcc_lo, 3, v22
	v_cndmask_b32_e32 v25, v25, v5, vcc_lo
	v_cmp_eq_u32_e32 vcc_lo, 4, v22
	s_delay_alu instid0(VALU_DEP_2) | instskip(SKIP_1) | instid1(VALU_DEP_2)
	v_cndmask_b32_e32 v25, v25, v6, vcc_lo
	;; [unrolled: 5-line block ×8, first 2 shown]
	v_cmp_eq_u32_e32 vcc_lo, 17, v22
	v_cndmask_b32_e32 v25, v25, v19, vcc_lo
	v_cmp_eq_u32_e32 vcc_lo, 18, v22
	s_delay_alu instid0(VALU_DEP_2) | instskip(SKIP_2) | instid1(VALU_DEP_2)
	v_cndmask_b32_e32 v25, v25, v20, vcc_lo
	v_cmp_lt_u32_e32 vcc_lo, 4, v22
	s_wait_dscnt 0x0
	v_fmac_f32_e32 v21, v25, v26
	s_or_b32 s5, vcc_lo, s5
	s_delay_alu instid0(SALU_CYCLE_1)
	s_and_not1_b32 exec_lo, exec_lo, s5
	s_cbranch_execnz .LBB18_321
; %bb.322:
	s_or_b32 exec_lo, exec_lo, s5
.LBB18_323:
	s_delay_alu instid0(SALU_CYCLE_1)
	s_or_b32 exec_lo, exec_lo, s4
	v_mov_b32_e32 v8, 0
	ds_load_b32 v8, v8 offset:24
	s_wait_dscnt 0x0
	v_mul_f32_e32 v8, v21, v8
.LBB18_324:
	s_or_b32 exec_lo, exec_lo, s3
	v_cmp_gt_u32_e64 s3, 7, v0
	ds_store_b32 v107, v9
	s_wait_dscnt 0x0
	s_barrier_signal -1
	s_barrier_wait -1
	s_and_saveexec_b32 s4, s3
	s_cbranch_execz .LBB18_334
; %bb.325:
	v_cmp_ne_u32_e32 vcc_lo, 1, v34
	s_cbranch_vccnz .LBB18_327
; %bb.326:
	v_cmp_eq_u32_e32 vcc_lo, 1, v0
	ds_load_b32 v22, v107
	v_cndmask_b32_e32 v21, v2, v3, vcc_lo
	v_cmp_eq_u32_e32 vcc_lo, 2, v0
	s_delay_alu instid0(VALU_DEP_2) | instskip(SKIP_1) | instid1(VALU_DEP_2)
	v_cndmask_b32_e32 v21, v21, v4, vcc_lo
	v_cmp_eq_u32_e32 vcc_lo, 3, v0
	v_cndmask_b32_e32 v21, v21, v5, vcc_lo
	v_cmp_eq_u32_e32 vcc_lo, 4, v0
	s_delay_alu instid0(VALU_DEP_2) | instskip(SKIP_1) | instid1(VALU_DEP_2)
	v_cndmask_b32_e32 v21, v21, v6, vcc_lo
	v_cmp_eq_u32_e32 vcc_lo, 5, v0
	;; [unrolled: 5-line block ×8, first 2 shown]
	v_cndmask_b32_e32 v21, v21, v19, vcc_lo
	v_cmp_eq_u32_e32 vcc_lo, 18, v0
	s_delay_alu instid0(VALU_DEP_2) | instskip(SKIP_1) | instid1(VALU_DEP_1)
	v_cndmask_b32_e32 v21, v21, v20, vcc_lo
	s_wait_dscnt 0x0
	v_mul_f32_e32 v21, v21, v22
	s_cbranch_execz .LBB18_328
	s_branch .LBB18_329
.LBB18_327:
                                        ; implicit-def: $vgpr21
.LBB18_328:
	ds_load_b32 v21, v107
.LBB18_329:
	s_mov_b32 s5, exec_lo
	v_cmpx_ne_u32_e32 6, v0
	s_cbranch_execz .LBB18_333
; %bb.330:
	v_mov_b64_e32 v[22:23], v[0:1]
	v_lshl_add_u32 v24, v0, 2, 0x54
	s_mov_b32 s6, 0
.LBB18_331:                             ; =>This Inner Loop Header: Depth=1
	s_delay_alu instid0(VALU_DEP_2)
	v_add_nc_u64_e32 v[22:23], 1, v[22:23]
	ds_load_b32 v26, v24
	v_add_nc_u32_e32 v24, 4, v24
	v_cmp_eq_u32_e32 vcc_lo, 1, v22
	v_cndmask_b32_e32 v25, v2, v3, vcc_lo
	v_cmp_eq_u32_e32 vcc_lo, 2, v22
	s_delay_alu instid0(VALU_DEP_2) | instskip(SKIP_1) | instid1(VALU_DEP_2)
	v_cndmask_b32_e32 v25, v25, v4, vcc_lo
	v_cmp_eq_u32_e32 vcc_lo, 3, v22
	v_cndmask_b32_e32 v25, v25, v5, vcc_lo
	v_cmp_eq_u32_e32 vcc_lo, 4, v22
	s_delay_alu instid0(VALU_DEP_2) | instskip(SKIP_1) | instid1(VALU_DEP_2)
	v_cndmask_b32_e32 v25, v25, v6, vcc_lo
	;; [unrolled: 5-line block ×8, first 2 shown]
	v_cmp_eq_u32_e32 vcc_lo, 17, v22
	v_cndmask_b32_e32 v25, v25, v19, vcc_lo
	v_cmp_eq_u32_e32 vcc_lo, 18, v22
	s_delay_alu instid0(VALU_DEP_2) | instskip(SKIP_2) | instid1(VALU_DEP_2)
	v_cndmask_b32_e32 v25, v25, v20, vcc_lo
	v_cmp_lt_u32_e32 vcc_lo, 5, v22
	s_wait_dscnt 0x0
	v_fmac_f32_e32 v21, v25, v26
	s_or_b32 s6, vcc_lo, s6
	s_delay_alu instid0(SALU_CYCLE_1)
	s_and_not1_b32 exec_lo, exec_lo, s6
	s_cbranch_execnz .LBB18_331
; %bb.332:
	s_or_b32 exec_lo, exec_lo, s6
.LBB18_333:
	s_delay_alu instid0(SALU_CYCLE_1)
	s_or_b32 exec_lo, exec_lo, s5
	v_mov_b32_e32 v9, 0
	ds_load_b32 v9, v9 offset:28
	s_wait_dscnt 0x0
	v_mul_f32_e32 v9, v21, v9
.LBB18_334:
	s_or_b32 exec_lo, exec_lo, s4
	s_delay_alu instid0(SALU_CYCLE_1)
	s_mov_b32 s4, exec_lo
	ds_store_b32 v107, v10
	s_wait_dscnt 0x0
	s_barrier_signal -1
	s_barrier_wait -1
	v_cmpx_gt_u32_e32 8, v0
	s_cbranch_execz .LBB18_344
; %bb.335:
	v_cmp_ne_u32_e32 vcc_lo, 1, v34
	s_cbranch_vccnz .LBB18_337
; %bb.336:
	v_cmp_eq_u32_e32 vcc_lo, 1, v0
	ds_load_b32 v22, v107
	v_cndmask_b32_e32 v21, v2, v3, vcc_lo
	v_cmp_eq_u32_e32 vcc_lo, 2, v0
	s_delay_alu instid0(VALU_DEP_2) | instskip(SKIP_1) | instid1(VALU_DEP_2)
	v_cndmask_b32_e32 v21, v21, v4, vcc_lo
	v_cmp_eq_u32_e32 vcc_lo, 3, v0
	v_cndmask_b32_e32 v21, v21, v5, vcc_lo
	v_cmp_eq_u32_e32 vcc_lo, 4, v0
	s_delay_alu instid0(VALU_DEP_2) | instskip(SKIP_1) | instid1(VALU_DEP_2)
	v_cndmask_b32_e32 v21, v21, v6, vcc_lo
	v_cmp_eq_u32_e32 vcc_lo, 5, v0
	;; [unrolled: 5-line block ×8, first 2 shown]
	v_cndmask_b32_e32 v21, v21, v19, vcc_lo
	v_cmp_eq_u32_e32 vcc_lo, 18, v0
	s_delay_alu instid0(VALU_DEP_2) | instskip(SKIP_1) | instid1(VALU_DEP_1)
	v_cndmask_b32_e32 v21, v21, v20, vcc_lo
	s_wait_dscnt 0x0
	v_mul_f32_e32 v21, v21, v22
	s_cbranch_execz .LBB18_338
	s_branch .LBB18_339
.LBB18_337:
                                        ; implicit-def: $vgpr21
.LBB18_338:
	ds_load_b32 v21, v107
.LBB18_339:
	s_mov_b32 s5, exec_lo
	v_cmpx_ne_u32_e32 7, v0
	s_cbranch_execz .LBB18_343
; %bb.340:
	v_mov_b64_e32 v[22:23], v[0:1]
	v_lshl_add_u32 v24, v0, 2, 0x54
	s_mov_b32 s6, 0
.LBB18_341:                             ; =>This Inner Loop Header: Depth=1
	s_delay_alu instid0(VALU_DEP_2)
	v_add_nc_u64_e32 v[22:23], 1, v[22:23]
	ds_load_b32 v26, v24
	v_add_nc_u32_e32 v24, 4, v24
	v_cmp_eq_u32_e32 vcc_lo, 1, v22
	v_cndmask_b32_e32 v25, v2, v3, vcc_lo
	v_cmp_eq_u32_e32 vcc_lo, 2, v22
	s_delay_alu instid0(VALU_DEP_2) | instskip(SKIP_1) | instid1(VALU_DEP_2)
	v_cndmask_b32_e32 v25, v25, v4, vcc_lo
	v_cmp_eq_u32_e32 vcc_lo, 3, v22
	v_cndmask_b32_e32 v25, v25, v5, vcc_lo
	v_cmp_eq_u32_e32 vcc_lo, 4, v22
	s_delay_alu instid0(VALU_DEP_2) | instskip(SKIP_1) | instid1(VALU_DEP_2)
	v_cndmask_b32_e32 v25, v25, v6, vcc_lo
	;; [unrolled: 5-line block ×8, first 2 shown]
	v_cmp_eq_u32_e32 vcc_lo, 17, v22
	v_cndmask_b32_e32 v25, v25, v19, vcc_lo
	v_cmp_eq_u32_e32 vcc_lo, 18, v22
	s_delay_alu instid0(VALU_DEP_2) | instskip(SKIP_2) | instid1(VALU_DEP_2)
	v_cndmask_b32_e32 v25, v25, v20, vcc_lo
	v_cmp_lt_u32_e32 vcc_lo, 6, v22
	s_wait_dscnt 0x0
	v_fmac_f32_e32 v21, v25, v26
	s_or_b32 s6, vcc_lo, s6
	s_delay_alu instid0(SALU_CYCLE_1)
	s_and_not1_b32 exec_lo, exec_lo, s6
	s_cbranch_execnz .LBB18_341
; %bb.342:
	s_or_b32 exec_lo, exec_lo, s6
.LBB18_343:
	s_delay_alu instid0(SALU_CYCLE_1)
	s_or_b32 exec_lo, exec_lo, s5
	v_mov_b32_e32 v10, 0
	ds_load_b32 v10, v10 offset:32
	s_wait_dscnt 0x0
	v_mul_f32_e32 v10, v21, v10
.LBB18_344:
	s_or_b32 exec_lo, exec_lo, s4
	s_delay_alu instid0(SALU_CYCLE_1)
	s_mov_b32 s4, exec_lo
	ds_store_b32 v107, v11
	s_wait_dscnt 0x0
	s_barrier_signal -1
	s_barrier_wait -1
	v_cmpx_gt_u32_e32 9, v0
	s_cbranch_execz .LBB18_366
; %bb.345:
	v_cmp_ne_u32_e32 vcc_lo, 1, v34
	s_cbranch_vccnz .LBB18_347
; %bb.346:
	v_cmp_eq_u32_e32 vcc_lo, 1, v0
	ds_load_b32 v22, v107
	v_cndmask_b32_e32 v21, v2, v3, vcc_lo
	v_cmp_eq_u32_e32 vcc_lo, 2, v0
	s_delay_alu instid0(VALU_DEP_2) | instskip(SKIP_1) | instid1(VALU_DEP_2)
	v_cndmask_b32_e32 v21, v21, v4, vcc_lo
	v_cmp_eq_u32_e32 vcc_lo, 3, v0
	v_cndmask_b32_e32 v21, v21, v5, vcc_lo
	v_cmp_eq_u32_e32 vcc_lo, 4, v0
	s_delay_alu instid0(VALU_DEP_2) | instskip(SKIP_1) | instid1(VALU_DEP_2)
	v_cndmask_b32_e32 v21, v21, v6, vcc_lo
	v_cmp_eq_u32_e32 vcc_lo, 5, v0
	;; [unrolled: 5-line block ×8, first 2 shown]
	v_cndmask_b32_e32 v21, v21, v19, vcc_lo
	v_cmp_eq_u32_e32 vcc_lo, 18, v0
	s_delay_alu instid0(VALU_DEP_2) | instskip(SKIP_1) | instid1(VALU_DEP_1)
	v_cndmask_b32_e32 v21, v21, v20, vcc_lo
	s_wait_dscnt 0x0
	v_mul_f32_e32 v21, v21, v22
	s_cbranch_execz .LBB18_348
	s_branch .LBB18_349
.LBB18_347:
                                        ; implicit-def: $vgpr21
.LBB18_348:
	ds_load_b32 v21, v107
.LBB18_349:
	s_mov_b32 s5, exec_lo
	v_cmpx_ne_u32_e32 8, v0
	s_cbranch_execz .LBB18_365
; %bb.350:
	v_cmp_eq_u32_e32 vcc_lo, 1, v35
	ds_load_b32 v23, v107 offset:4
	v_cndmask_b32_e32 v22, v2, v3, vcc_lo
	v_cmp_eq_u32_e32 vcc_lo, 2, v35
	s_delay_alu instid0(VALU_DEP_2) | instskip(SKIP_1) | instid1(VALU_DEP_2)
	v_cndmask_b32_e32 v22, v22, v4, vcc_lo
	v_cmp_eq_u32_e32 vcc_lo, 3, v35
	v_cndmask_b32_e32 v22, v22, v5, vcc_lo
	v_cmp_eq_u32_e32 vcc_lo, 4, v35
	s_delay_alu instid0(VALU_DEP_2) | instskip(SKIP_1) | instid1(VALU_DEP_2)
	v_cndmask_b32_e32 v22, v22, v6, vcc_lo
	v_cmp_eq_u32_e32 vcc_lo, 5, v35
	;; [unrolled: 5-line block ×8, first 2 shown]
	v_cndmask_b32_e32 v22, v22, v19, vcc_lo
	v_cmp_eq_u32_e32 vcc_lo, 18, v35
	s_delay_alu instid0(VALU_DEP_2) | instskip(SKIP_1) | instid1(VALU_DEP_1)
	v_cndmask_b32_e32 v22, v22, v20, vcc_lo
	s_wait_dscnt 0x0
	v_fmac_f32_e32 v21, v22, v23
	s_and_saveexec_b32 s6, s3
	s_cbranch_execz .LBB18_364
; %bb.351:
	v_add_nc_u32_e32 v22, 2, v0
	ds_load_b32 v24, v107 offset:8
	s_mov_b32 s3, exec_lo
	v_cmp_eq_u32_e32 vcc_lo, 1, v22
	v_cndmask_b32_e32 v23, v2, v3, vcc_lo
	v_cmp_eq_u32_e32 vcc_lo, 2, v22
	s_delay_alu instid0(VALU_DEP_2) | instskip(SKIP_1) | instid1(VALU_DEP_2)
	v_cndmask_b32_e32 v23, v23, v4, vcc_lo
	v_cmp_eq_u32_e32 vcc_lo, 3, v22
	v_cndmask_b32_e32 v23, v23, v5, vcc_lo
	v_cmp_eq_u32_e32 vcc_lo, 4, v22
	s_delay_alu instid0(VALU_DEP_2) | instskip(SKIP_1) | instid1(VALU_DEP_2)
	v_cndmask_b32_e32 v23, v23, v6, vcc_lo
	;; [unrolled: 5-line block ×8, first 2 shown]
	v_cmp_eq_u32_e32 vcc_lo, 17, v22
	v_cndmask_b32_e32 v23, v23, v19, vcc_lo
	v_cmp_eq_u32_e32 vcc_lo, 18, v22
	s_delay_alu instid0(VALU_DEP_2) | instskip(SKIP_1) | instid1(VALU_DEP_1)
	v_cndmask_b32_e32 v22, v23, v20, vcc_lo
	s_wait_dscnt 0x0
	v_fmac_f32_e32 v21, v22, v24
	v_cmpx_ne_u32_e32 6, v0
	s_cbranch_execz .LBB18_363
; %bb.352:
	v_add_nc_u32_e32 v22, 3, v0
	ds_load_b32 v24, v107 offset:12
	v_cmp_eq_u32_e32 vcc_lo, 1, v22
	v_cndmask_b32_e32 v23, v2, v3, vcc_lo
	v_cmp_eq_u32_e32 vcc_lo, 2, v22
	s_delay_alu instid0(VALU_DEP_2) | instskip(SKIP_1) | instid1(VALU_DEP_2)
	v_cndmask_b32_e32 v23, v23, v4, vcc_lo
	v_cmp_eq_u32_e32 vcc_lo, 3, v22
	v_cndmask_b32_e32 v23, v23, v5, vcc_lo
	v_cmp_eq_u32_e32 vcc_lo, 4, v22
	s_delay_alu instid0(VALU_DEP_2) | instskip(SKIP_1) | instid1(VALU_DEP_2)
	v_cndmask_b32_e32 v23, v23, v6, vcc_lo
	;; [unrolled: 5-line block ×8, first 2 shown]
	v_cmp_eq_u32_e32 vcc_lo, 17, v22
	v_cndmask_b32_e32 v23, v23, v19, vcc_lo
	v_cmp_eq_u32_e32 vcc_lo, 18, v22
	s_delay_alu instid0(VALU_DEP_2) | instskip(SKIP_1) | instid1(VALU_DEP_1)
	v_cndmask_b32_e32 v22, v23, v20, vcc_lo
	s_wait_dscnt 0x0
	v_fmac_f32_e32 v21, v22, v24
	s_and_saveexec_b32 s7, s2
	s_cbranch_execz .LBB18_362
; %bb.353:
	v_add_nc_u32_e32 v22, 4, v0
	ds_load_b32 v24, v107 offset:16
	s_mov_b32 s2, exec_lo
	v_cmp_eq_u32_e32 vcc_lo, 1, v22
	v_cndmask_b32_e32 v23, v2, v3, vcc_lo
	v_cmp_eq_u32_e32 vcc_lo, 2, v22
	s_delay_alu instid0(VALU_DEP_2) | instskip(SKIP_1) | instid1(VALU_DEP_2)
	v_cndmask_b32_e32 v23, v23, v4, vcc_lo
	v_cmp_eq_u32_e32 vcc_lo, 3, v22
	v_cndmask_b32_e32 v23, v23, v5, vcc_lo
	v_cmp_eq_u32_e32 vcc_lo, 4, v22
	s_delay_alu instid0(VALU_DEP_2) | instskip(SKIP_1) | instid1(VALU_DEP_2)
	v_cndmask_b32_e32 v23, v23, v6, vcc_lo
	;; [unrolled: 5-line block ×8, first 2 shown]
	v_cmp_eq_u32_e32 vcc_lo, 17, v22
	v_cndmask_b32_e32 v23, v23, v19, vcc_lo
	v_cmp_eq_u32_e32 vcc_lo, 18, v22
	s_delay_alu instid0(VALU_DEP_2) | instskip(SKIP_1) | instid1(VALU_DEP_1)
	v_cndmask_b32_e32 v22, v23, v20, vcc_lo
	s_wait_dscnt 0x0
	v_fmac_f32_e32 v21, v22, v24
	v_cmpx_ne_u32_e32 4, v0
	s_cbranch_execz .LBB18_361
; %bb.354:
	v_add_nc_u32_e32 v22, 5, v0
	ds_load_b32 v24, v107 offset:20
	v_cmp_eq_u32_e32 vcc_lo, 1, v22
	v_cndmask_b32_e32 v23, v2, v3, vcc_lo
	v_cmp_eq_u32_e32 vcc_lo, 2, v22
	s_delay_alu instid0(VALU_DEP_2) | instskip(SKIP_1) | instid1(VALU_DEP_2)
	v_cndmask_b32_e32 v23, v23, v4, vcc_lo
	v_cmp_eq_u32_e32 vcc_lo, 3, v22
	v_cndmask_b32_e32 v23, v23, v5, vcc_lo
	v_cmp_eq_u32_e32 vcc_lo, 4, v22
	s_delay_alu instid0(VALU_DEP_2) | instskip(SKIP_1) | instid1(VALU_DEP_2)
	v_cndmask_b32_e32 v23, v23, v6, vcc_lo
	;; [unrolled: 5-line block ×8, first 2 shown]
	v_cmp_eq_u32_e32 vcc_lo, 17, v22
	v_cndmask_b32_e32 v23, v23, v19, vcc_lo
	v_cmp_eq_u32_e32 vcc_lo, 18, v22
	s_delay_alu instid0(VALU_DEP_2) | instskip(SKIP_1) | instid1(VALU_DEP_1)
	v_cndmask_b32_e32 v22, v23, v20, vcc_lo
	s_wait_dscnt 0x0
	v_fmac_f32_e32 v21, v22, v24
	s_and_saveexec_b32 s8, s1
	s_cbranch_execz .LBB18_360
; %bb.355:
	v_add_nc_u32_e32 v22, 6, v0
	ds_load_b32 v24, v107 offset:24
	s_mov_b32 s1, exec_lo
	v_cmp_eq_u32_e32 vcc_lo, 1, v22
	v_cndmask_b32_e32 v23, v2, v3, vcc_lo
	v_cmp_eq_u32_e32 vcc_lo, 2, v22
	s_delay_alu instid0(VALU_DEP_2) | instskip(SKIP_1) | instid1(VALU_DEP_2)
	v_cndmask_b32_e32 v23, v23, v4, vcc_lo
	v_cmp_eq_u32_e32 vcc_lo, 3, v22
	v_cndmask_b32_e32 v23, v23, v5, vcc_lo
	v_cmp_eq_u32_e32 vcc_lo, 4, v22
	s_delay_alu instid0(VALU_DEP_2) | instskip(SKIP_1) | instid1(VALU_DEP_2)
	v_cndmask_b32_e32 v23, v23, v6, vcc_lo
	;; [unrolled: 5-line block ×8, first 2 shown]
	v_cmp_eq_u32_e32 vcc_lo, 17, v22
	v_cndmask_b32_e32 v23, v23, v19, vcc_lo
	v_cmp_eq_u32_e32 vcc_lo, 18, v22
	s_delay_alu instid0(VALU_DEP_2) | instskip(SKIP_1) | instid1(VALU_DEP_1)
	v_cndmask_b32_e32 v22, v23, v20, vcc_lo
	s_wait_dscnt 0x0
	v_fmac_f32_e32 v21, v22, v24
	v_cmpx_ne_u32_e32 2, v0
	s_cbranch_execz .LBB18_359
; %bb.356:
	v_add_nc_u32_e32 v22, 7, v0
	s_delay_alu instid0(VALU_DEP_1) | instskip(SKIP_2) | instid1(VALU_DEP_2)
	v_cmp_eq_u32_e32 vcc_lo, 1, v22
	v_cndmask_b32_e32 v23, v2, v3, vcc_lo
	v_cmp_eq_u32_e32 vcc_lo, 2, v22
	v_cndmask_b32_e32 v23, v23, v4, vcc_lo
	v_cmp_eq_u32_e32 vcc_lo, 3, v22
	s_delay_alu instid0(VALU_DEP_2) | instskip(SKIP_1) | instid1(VALU_DEP_2)
	v_cndmask_b32_e32 v23, v23, v5, vcc_lo
	v_cmp_eq_u32_e32 vcc_lo, 4, v22
	v_cndmask_b32_e32 v23, v23, v6, vcc_lo
	v_cmp_eq_u32_e32 vcc_lo, 5, v22
	s_delay_alu instid0(VALU_DEP_2) | instskip(SKIP_1) | instid1(VALU_DEP_2)
	;; [unrolled: 5-line block ×3, first 2 shown]
	v_cndmask_b32_e32 v23, v23, v9, vcc_lo
	v_cmp_eq_u32_e32 vcc_lo, 8, v22
	v_cndmask_b32_e32 v23, v23, v10, vcc_lo
	v_cmp_eq_u32_e32 vcc_lo, 9, v22
	s_delay_alu instid0(VALU_DEP_2) | instskip(SKIP_4) | instid1(VALU_DEP_2)
	v_cndmask_b32_e32 v11, v23, v11, vcc_lo
	v_cmp_eq_u32_e32 vcc_lo, 10, v22
	ds_load_b32 v23, v107 offset:28
	v_cndmask_b32_e32 v11, v11, v12, vcc_lo
	v_cmp_eq_u32_e32 vcc_lo, 11, v22
	v_cndmask_b32_e32 v11, v11, v13, vcc_lo
	v_cmp_eq_u32_e32 vcc_lo, 12, v22
	s_delay_alu instid0(VALU_DEP_2) | instskip(SKIP_1) | instid1(VALU_DEP_2)
	v_cndmask_b32_e32 v11, v11, v14, vcc_lo
	v_cmp_eq_u32_e32 vcc_lo, 13, v22
	v_cndmask_b32_e32 v11, v11, v15, vcc_lo
	v_cmp_eq_u32_e32 vcc_lo, 14, v22
	s_delay_alu instid0(VALU_DEP_2) | instskip(SKIP_1) | instid1(VALU_DEP_2)
	;; [unrolled: 5-line block ×3, first 2 shown]
	v_cndmask_b32_e32 v11, v11, v18, vcc_lo
	v_cmp_eq_u32_e32 vcc_lo, 17, v22
	v_cndmask_b32_e32 v11, v11, v19, vcc_lo
	v_cmp_eq_u32_e32 vcc_lo, 18, v22
	s_delay_alu instid0(VALU_DEP_2) | instskip(SKIP_1) | instid1(VALU_DEP_1)
	v_cndmask_b32_e32 v11, v11, v20, vcc_lo
	s_wait_dscnt 0x0
	v_fmac_f32_e32 v21, v11, v23
	s_and_saveexec_b32 s9, s0
	s_cbranch_execz .LBB18_358
; %bb.357:
	ds_load_b32 v11, v107 offset:32
	s_wait_dscnt 0x0
	v_fmac_f32_e32 v21, v10, v11
.LBB18_358:
	s_or_b32 exec_lo, exec_lo, s9
.LBB18_359:
	s_delay_alu instid0(SALU_CYCLE_1)
	s_or_b32 exec_lo, exec_lo, s1
.LBB18_360:
	s_delay_alu instid0(SALU_CYCLE_1)
	s_or_b32 exec_lo, exec_lo, s8
.LBB18_361:
	s_delay_alu instid0(SALU_CYCLE_1)
	s_or_b32 exec_lo, exec_lo, s2
.LBB18_362:
	s_delay_alu instid0(SALU_CYCLE_1)
	s_or_b32 exec_lo, exec_lo, s7
.LBB18_363:
	s_delay_alu instid0(SALU_CYCLE_1)
	s_or_b32 exec_lo, exec_lo, s3
.LBB18_364:
	s_delay_alu instid0(SALU_CYCLE_1)
	s_or_b32 exec_lo, exec_lo, s6
.LBB18_365:
	s_delay_alu instid0(SALU_CYCLE_1)
	s_or_b32 exec_lo, exec_lo, s5
	v_mov_b32_e32 v11, 0
	ds_load_b32 v11, v11 offset:36
	s_wait_dscnt 0x0
	v_mul_f32_e32 v11, v21, v11
.LBB18_366:
	s_or_b32 exec_lo, exec_lo, s4
	s_delay_alu instid0(SALU_CYCLE_1)
	s_mov_b32 s0, exec_lo
	ds_store_b32 v107, v12
	s_wait_dscnt 0x0
	s_barrier_signal -1
	s_barrier_wait -1
	v_cmpx_gt_u32_e32 10, v0
	s_cbranch_execz .LBB18_376
; %bb.367:
	v_cmp_ne_u32_e32 vcc_lo, 1, v34
	s_cbranch_vccnz .LBB18_369
; %bb.368:
	v_cmp_eq_u32_e32 vcc_lo, 1, v0
	ds_load_b32 v22, v107
	v_cndmask_b32_e32 v21, v2, v3, vcc_lo
	v_cmp_eq_u32_e32 vcc_lo, 2, v0
	s_delay_alu instid0(VALU_DEP_2) | instskip(SKIP_1) | instid1(VALU_DEP_2)
	v_cndmask_b32_e32 v21, v21, v4, vcc_lo
	v_cmp_eq_u32_e32 vcc_lo, 3, v0
	v_cndmask_b32_e32 v21, v21, v5, vcc_lo
	v_cmp_eq_u32_e32 vcc_lo, 4, v0
	s_delay_alu instid0(VALU_DEP_2) | instskip(SKIP_1) | instid1(VALU_DEP_2)
	v_cndmask_b32_e32 v21, v21, v6, vcc_lo
	v_cmp_eq_u32_e32 vcc_lo, 5, v0
	;; [unrolled: 5-line block ×8, first 2 shown]
	v_cndmask_b32_e32 v21, v21, v19, vcc_lo
	v_cmp_eq_u32_e32 vcc_lo, 18, v0
	s_delay_alu instid0(VALU_DEP_2) | instskip(SKIP_1) | instid1(VALU_DEP_1)
	v_cndmask_b32_e32 v21, v21, v20, vcc_lo
	s_wait_dscnt 0x0
	v_mul_f32_e32 v21, v21, v22
	s_cbranch_execz .LBB18_370
	s_branch .LBB18_371
.LBB18_369:
                                        ; implicit-def: $vgpr21
.LBB18_370:
	ds_load_b32 v21, v107
.LBB18_371:
	s_mov_b32 s1, exec_lo
	v_cmpx_ne_u32_e32 9, v0
	s_cbranch_execz .LBB18_375
; %bb.372:
	v_mov_b64_e32 v[22:23], v[0:1]
	v_lshl_add_u32 v24, v0, 2, 0x54
	s_mov_b32 s2, 0
.LBB18_373:                             ; =>This Inner Loop Header: Depth=1
	s_delay_alu instid0(VALU_DEP_2)
	v_add_nc_u64_e32 v[22:23], 1, v[22:23]
	ds_load_b32 v26, v24
	v_add_nc_u32_e32 v24, 4, v24
	v_cmp_eq_u32_e32 vcc_lo, 1, v22
	v_cndmask_b32_e32 v25, v2, v3, vcc_lo
	v_cmp_eq_u32_e32 vcc_lo, 2, v22
	s_delay_alu instid0(VALU_DEP_2) | instskip(SKIP_1) | instid1(VALU_DEP_2)
	v_cndmask_b32_e32 v25, v25, v4, vcc_lo
	v_cmp_eq_u32_e32 vcc_lo, 3, v22
	v_cndmask_b32_e32 v25, v25, v5, vcc_lo
	v_cmp_eq_u32_e32 vcc_lo, 4, v22
	s_delay_alu instid0(VALU_DEP_2) | instskip(SKIP_1) | instid1(VALU_DEP_2)
	v_cndmask_b32_e32 v25, v25, v6, vcc_lo
	;; [unrolled: 5-line block ×8, first 2 shown]
	v_cmp_eq_u32_e32 vcc_lo, 17, v22
	v_cndmask_b32_e32 v25, v25, v19, vcc_lo
	v_cmp_eq_u32_e32 vcc_lo, 18, v22
	s_delay_alu instid0(VALU_DEP_2) | instskip(SKIP_2) | instid1(VALU_DEP_2)
	v_cndmask_b32_e32 v25, v25, v20, vcc_lo
	v_cmp_lt_u32_e32 vcc_lo, 8, v22
	s_wait_dscnt 0x0
	v_fmac_f32_e32 v21, v25, v26
	s_or_b32 s2, vcc_lo, s2
	s_delay_alu instid0(SALU_CYCLE_1)
	s_and_not1_b32 exec_lo, exec_lo, s2
	s_cbranch_execnz .LBB18_373
; %bb.374:
	s_or_b32 exec_lo, exec_lo, s2
.LBB18_375:
	s_delay_alu instid0(SALU_CYCLE_1)
	s_or_b32 exec_lo, exec_lo, s1
	v_mov_b32_e32 v12, 0
	ds_load_b32 v12, v12 offset:40
	s_wait_dscnt 0x0
	v_mul_f32_e32 v12, v21, v12
.LBB18_376:
	s_or_b32 exec_lo, exec_lo, s0
	s_delay_alu instid0(SALU_CYCLE_1)
	s_mov_b32 s0, exec_lo
	ds_store_b32 v107, v13
	s_wait_dscnt 0x0
	s_barrier_signal -1
	s_barrier_wait -1
	v_cmpx_gt_u32_e32 11, v0
	s_cbranch_execz .LBB18_386
; %bb.377:
	v_cmp_ne_u32_e32 vcc_lo, 1, v34
	s_cbranch_vccnz .LBB18_379
; %bb.378:
	v_cmp_eq_u32_e32 vcc_lo, 1, v0
	ds_load_b32 v22, v107
	v_cndmask_b32_e32 v21, v2, v3, vcc_lo
	v_cmp_eq_u32_e32 vcc_lo, 2, v0
	s_delay_alu instid0(VALU_DEP_2) | instskip(SKIP_1) | instid1(VALU_DEP_2)
	v_cndmask_b32_e32 v21, v21, v4, vcc_lo
	v_cmp_eq_u32_e32 vcc_lo, 3, v0
	v_cndmask_b32_e32 v21, v21, v5, vcc_lo
	v_cmp_eq_u32_e32 vcc_lo, 4, v0
	s_delay_alu instid0(VALU_DEP_2) | instskip(SKIP_1) | instid1(VALU_DEP_2)
	v_cndmask_b32_e32 v21, v21, v6, vcc_lo
	v_cmp_eq_u32_e32 vcc_lo, 5, v0
	;; [unrolled: 5-line block ×8, first 2 shown]
	v_cndmask_b32_e32 v21, v21, v19, vcc_lo
	v_cmp_eq_u32_e32 vcc_lo, 18, v0
	s_delay_alu instid0(VALU_DEP_2) | instskip(SKIP_1) | instid1(VALU_DEP_1)
	v_cndmask_b32_e32 v21, v21, v20, vcc_lo
	s_wait_dscnt 0x0
	v_mul_f32_e32 v21, v21, v22
	s_cbranch_execz .LBB18_380
	s_branch .LBB18_381
.LBB18_379:
                                        ; implicit-def: $vgpr21
.LBB18_380:
	ds_load_b32 v21, v107
.LBB18_381:
	s_mov_b32 s1, exec_lo
	v_cmpx_ne_u32_e32 10, v0
	s_cbranch_execz .LBB18_385
; %bb.382:
	v_mov_b64_e32 v[22:23], v[0:1]
	v_lshl_add_u32 v24, v0, 2, 0x54
	s_mov_b32 s2, 0
.LBB18_383:                             ; =>This Inner Loop Header: Depth=1
	s_delay_alu instid0(VALU_DEP_2)
	v_add_nc_u64_e32 v[22:23], 1, v[22:23]
	ds_load_b32 v26, v24
	v_add_nc_u32_e32 v24, 4, v24
	v_cmp_eq_u32_e32 vcc_lo, 1, v22
	v_cndmask_b32_e32 v25, v2, v3, vcc_lo
	v_cmp_eq_u32_e32 vcc_lo, 2, v22
	s_delay_alu instid0(VALU_DEP_2) | instskip(SKIP_1) | instid1(VALU_DEP_2)
	v_cndmask_b32_e32 v25, v25, v4, vcc_lo
	v_cmp_eq_u32_e32 vcc_lo, 3, v22
	v_cndmask_b32_e32 v25, v25, v5, vcc_lo
	v_cmp_eq_u32_e32 vcc_lo, 4, v22
	s_delay_alu instid0(VALU_DEP_2) | instskip(SKIP_1) | instid1(VALU_DEP_2)
	v_cndmask_b32_e32 v25, v25, v6, vcc_lo
	;; [unrolled: 5-line block ×8, first 2 shown]
	v_cmp_eq_u32_e32 vcc_lo, 17, v22
	v_cndmask_b32_e32 v25, v25, v19, vcc_lo
	v_cmp_eq_u32_e32 vcc_lo, 18, v22
	s_delay_alu instid0(VALU_DEP_2) | instskip(SKIP_2) | instid1(VALU_DEP_2)
	v_cndmask_b32_e32 v25, v25, v20, vcc_lo
	v_cmp_lt_u32_e32 vcc_lo, 9, v22
	s_wait_dscnt 0x0
	v_fmac_f32_e32 v21, v25, v26
	s_or_b32 s2, vcc_lo, s2
	s_delay_alu instid0(SALU_CYCLE_1)
	s_and_not1_b32 exec_lo, exec_lo, s2
	s_cbranch_execnz .LBB18_383
; %bb.384:
	s_or_b32 exec_lo, exec_lo, s2
.LBB18_385:
	s_delay_alu instid0(SALU_CYCLE_1)
	s_or_b32 exec_lo, exec_lo, s1
	v_mov_b32_e32 v13, 0
	ds_load_b32 v13, v13 offset:44
	s_wait_dscnt 0x0
	v_mul_f32_e32 v13, v21, v13
.LBB18_386:
	s_or_b32 exec_lo, exec_lo, s0
	s_delay_alu instid0(SALU_CYCLE_1)
	s_mov_b32 s0, exec_lo
	ds_store_b32 v107, v14
	s_wait_dscnt 0x0
	s_barrier_signal -1
	s_barrier_wait -1
	v_cmpx_gt_u32_e32 12, v0
	s_cbranch_execz .LBB18_396
; %bb.387:
	v_cmp_ne_u32_e32 vcc_lo, 1, v34
	s_cbranch_vccnz .LBB18_389
; %bb.388:
	v_cmp_eq_u32_e32 vcc_lo, 1, v0
	ds_load_b32 v22, v107
	v_cndmask_b32_e32 v21, v2, v3, vcc_lo
	v_cmp_eq_u32_e32 vcc_lo, 2, v0
	s_delay_alu instid0(VALU_DEP_2) | instskip(SKIP_1) | instid1(VALU_DEP_2)
	v_cndmask_b32_e32 v21, v21, v4, vcc_lo
	v_cmp_eq_u32_e32 vcc_lo, 3, v0
	v_cndmask_b32_e32 v21, v21, v5, vcc_lo
	v_cmp_eq_u32_e32 vcc_lo, 4, v0
	s_delay_alu instid0(VALU_DEP_2) | instskip(SKIP_1) | instid1(VALU_DEP_2)
	v_cndmask_b32_e32 v21, v21, v6, vcc_lo
	v_cmp_eq_u32_e32 vcc_lo, 5, v0
	;; [unrolled: 5-line block ×8, first 2 shown]
	v_cndmask_b32_e32 v21, v21, v19, vcc_lo
	v_cmp_eq_u32_e32 vcc_lo, 18, v0
	s_delay_alu instid0(VALU_DEP_2) | instskip(SKIP_1) | instid1(VALU_DEP_1)
	v_cndmask_b32_e32 v21, v21, v20, vcc_lo
	s_wait_dscnt 0x0
	v_mul_f32_e32 v21, v21, v22
	s_cbranch_execz .LBB18_390
	s_branch .LBB18_391
.LBB18_389:
                                        ; implicit-def: $vgpr21
.LBB18_390:
	ds_load_b32 v21, v107
.LBB18_391:
	s_mov_b32 s1, exec_lo
	v_cmpx_ne_u32_e32 11, v0
	s_cbranch_execz .LBB18_395
; %bb.392:
	v_mov_b64_e32 v[22:23], v[0:1]
	v_lshl_add_u32 v24, v0, 2, 0x54
	s_mov_b32 s2, 0
.LBB18_393:                             ; =>This Inner Loop Header: Depth=1
	s_delay_alu instid0(VALU_DEP_2)
	v_add_nc_u64_e32 v[22:23], 1, v[22:23]
	ds_load_b32 v26, v24
	v_add_nc_u32_e32 v24, 4, v24
	v_cmp_eq_u32_e32 vcc_lo, 1, v22
	v_cndmask_b32_e32 v25, v2, v3, vcc_lo
	v_cmp_eq_u32_e32 vcc_lo, 2, v22
	s_delay_alu instid0(VALU_DEP_2) | instskip(SKIP_1) | instid1(VALU_DEP_2)
	v_cndmask_b32_e32 v25, v25, v4, vcc_lo
	v_cmp_eq_u32_e32 vcc_lo, 3, v22
	v_cndmask_b32_e32 v25, v25, v5, vcc_lo
	v_cmp_eq_u32_e32 vcc_lo, 4, v22
	s_delay_alu instid0(VALU_DEP_2) | instskip(SKIP_1) | instid1(VALU_DEP_2)
	v_cndmask_b32_e32 v25, v25, v6, vcc_lo
	;; [unrolled: 5-line block ×8, first 2 shown]
	v_cmp_eq_u32_e32 vcc_lo, 17, v22
	v_cndmask_b32_e32 v25, v25, v19, vcc_lo
	v_cmp_eq_u32_e32 vcc_lo, 18, v22
	s_delay_alu instid0(VALU_DEP_2) | instskip(SKIP_2) | instid1(VALU_DEP_2)
	v_cndmask_b32_e32 v25, v25, v20, vcc_lo
	v_cmp_lt_u32_e32 vcc_lo, 10, v22
	s_wait_dscnt 0x0
	v_fmac_f32_e32 v21, v25, v26
	s_or_b32 s2, vcc_lo, s2
	s_delay_alu instid0(SALU_CYCLE_1)
	s_and_not1_b32 exec_lo, exec_lo, s2
	s_cbranch_execnz .LBB18_393
; %bb.394:
	s_or_b32 exec_lo, exec_lo, s2
.LBB18_395:
	s_delay_alu instid0(SALU_CYCLE_1)
	s_or_b32 exec_lo, exec_lo, s1
	v_mov_b32_e32 v14, 0
	ds_load_b32 v14, v14 offset:48
	s_wait_dscnt 0x0
	v_mul_f32_e32 v14, v21, v14
.LBB18_396:
	s_or_b32 exec_lo, exec_lo, s0
	s_delay_alu instid0(SALU_CYCLE_1)
	s_mov_b32 s0, exec_lo
	ds_store_b32 v107, v15
	s_wait_dscnt 0x0
	s_barrier_signal -1
	s_barrier_wait -1
	v_cmpx_gt_u32_e32 13, v0
	s_cbranch_execz .LBB18_406
; %bb.397:
	v_cmp_ne_u32_e32 vcc_lo, 1, v34
	s_cbranch_vccnz .LBB18_399
; %bb.398:
	v_cmp_eq_u32_e32 vcc_lo, 1, v0
	ds_load_b32 v22, v107
	v_cndmask_b32_e32 v21, v2, v3, vcc_lo
	v_cmp_eq_u32_e32 vcc_lo, 2, v0
	s_delay_alu instid0(VALU_DEP_2) | instskip(SKIP_1) | instid1(VALU_DEP_2)
	v_cndmask_b32_e32 v21, v21, v4, vcc_lo
	v_cmp_eq_u32_e32 vcc_lo, 3, v0
	v_cndmask_b32_e32 v21, v21, v5, vcc_lo
	v_cmp_eq_u32_e32 vcc_lo, 4, v0
	s_delay_alu instid0(VALU_DEP_2) | instskip(SKIP_1) | instid1(VALU_DEP_2)
	v_cndmask_b32_e32 v21, v21, v6, vcc_lo
	v_cmp_eq_u32_e32 vcc_lo, 5, v0
	;; [unrolled: 5-line block ×8, first 2 shown]
	v_cndmask_b32_e32 v21, v21, v19, vcc_lo
	v_cmp_eq_u32_e32 vcc_lo, 18, v0
	s_delay_alu instid0(VALU_DEP_2) | instskip(SKIP_1) | instid1(VALU_DEP_1)
	v_cndmask_b32_e32 v21, v21, v20, vcc_lo
	s_wait_dscnt 0x0
	v_mul_f32_e32 v21, v21, v22
	s_cbranch_execz .LBB18_400
	s_branch .LBB18_401
.LBB18_399:
                                        ; implicit-def: $vgpr21
.LBB18_400:
	ds_load_b32 v21, v107
.LBB18_401:
	s_mov_b32 s1, exec_lo
	v_cmpx_ne_u32_e32 12, v0
	s_cbranch_execz .LBB18_405
; %bb.402:
	v_mov_b64_e32 v[22:23], v[0:1]
	v_lshl_add_u32 v24, v0, 2, 0x54
	s_mov_b32 s2, 0
.LBB18_403:                             ; =>This Inner Loop Header: Depth=1
	s_delay_alu instid0(VALU_DEP_2)
	v_add_nc_u64_e32 v[22:23], 1, v[22:23]
	ds_load_b32 v26, v24
	v_add_nc_u32_e32 v24, 4, v24
	v_cmp_eq_u32_e32 vcc_lo, 1, v22
	v_cndmask_b32_e32 v25, v2, v3, vcc_lo
	v_cmp_eq_u32_e32 vcc_lo, 2, v22
	s_delay_alu instid0(VALU_DEP_2) | instskip(SKIP_1) | instid1(VALU_DEP_2)
	v_cndmask_b32_e32 v25, v25, v4, vcc_lo
	v_cmp_eq_u32_e32 vcc_lo, 3, v22
	v_cndmask_b32_e32 v25, v25, v5, vcc_lo
	v_cmp_eq_u32_e32 vcc_lo, 4, v22
	s_delay_alu instid0(VALU_DEP_2) | instskip(SKIP_1) | instid1(VALU_DEP_2)
	v_cndmask_b32_e32 v25, v25, v6, vcc_lo
	;; [unrolled: 5-line block ×8, first 2 shown]
	v_cmp_eq_u32_e32 vcc_lo, 17, v22
	v_cndmask_b32_e32 v25, v25, v19, vcc_lo
	v_cmp_eq_u32_e32 vcc_lo, 18, v22
	s_delay_alu instid0(VALU_DEP_2) | instskip(SKIP_2) | instid1(VALU_DEP_2)
	v_cndmask_b32_e32 v25, v25, v20, vcc_lo
	v_cmp_lt_u32_e32 vcc_lo, 11, v22
	s_wait_dscnt 0x0
	v_fmac_f32_e32 v21, v25, v26
	s_or_b32 s2, vcc_lo, s2
	s_delay_alu instid0(SALU_CYCLE_1)
	s_and_not1_b32 exec_lo, exec_lo, s2
	s_cbranch_execnz .LBB18_403
; %bb.404:
	s_or_b32 exec_lo, exec_lo, s2
.LBB18_405:
	s_delay_alu instid0(SALU_CYCLE_1)
	s_or_b32 exec_lo, exec_lo, s1
	v_mov_b32_e32 v15, 0
	ds_load_b32 v15, v15 offset:52
	s_wait_dscnt 0x0
	v_mul_f32_e32 v15, v21, v15
.LBB18_406:
	s_or_b32 exec_lo, exec_lo, s0
	s_delay_alu instid0(SALU_CYCLE_1)
	s_mov_b32 s0, exec_lo
	ds_store_b32 v107, v16
	s_wait_dscnt 0x0
	s_barrier_signal -1
	s_barrier_wait -1
	v_cmpx_gt_u32_e32 14, v0
	s_cbranch_execz .LBB18_416
; %bb.407:
	v_cmp_ne_u32_e32 vcc_lo, 1, v34
	s_cbranch_vccnz .LBB18_409
; %bb.408:
	v_cmp_eq_u32_e32 vcc_lo, 1, v0
	ds_load_b32 v22, v107
	v_cndmask_b32_e32 v21, v2, v3, vcc_lo
	v_cmp_eq_u32_e32 vcc_lo, 2, v0
	s_delay_alu instid0(VALU_DEP_2) | instskip(SKIP_1) | instid1(VALU_DEP_2)
	v_cndmask_b32_e32 v21, v21, v4, vcc_lo
	v_cmp_eq_u32_e32 vcc_lo, 3, v0
	v_cndmask_b32_e32 v21, v21, v5, vcc_lo
	v_cmp_eq_u32_e32 vcc_lo, 4, v0
	s_delay_alu instid0(VALU_DEP_2) | instskip(SKIP_1) | instid1(VALU_DEP_2)
	v_cndmask_b32_e32 v21, v21, v6, vcc_lo
	v_cmp_eq_u32_e32 vcc_lo, 5, v0
	;; [unrolled: 5-line block ×8, first 2 shown]
	v_cndmask_b32_e32 v21, v21, v19, vcc_lo
	v_cmp_eq_u32_e32 vcc_lo, 18, v0
	s_delay_alu instid0(VALU_DEP_2) | instskip(SKIP_1) | instid1(VALU_DEP_1)
	v_cndmask_b32_e32 v21, v21, v20, vcc_lo
	s_wait_dscnt 0x0
	v_mul_f32_e32 v21, v21, v22
	s_cbranch_execz .LBB18_410
	s_branch .LBB18_411
.LBB18_409:
                                        ; implicit-def: $vgpr21
.LBB18_410:
	ds_load_b32 v21, v107
.LBB18_411:
	s_mov_b32 s1, exec_lo
	v_cmpx_ne_u32_e32 13, v0
	s_cbranch_execz .LBB18_415
; %bb.412:
	v_mov_b64_e32 v[22:23], v[0:1]
	v_lshl_add_u32 v24, v0, 2, 0x54
	s_mov_b32 s2, 0
.LBB18_413:                             ; =>This Inner Loop Header: Depth=1
	s_delay_alu instid0(VALU_DEP_2)
	v_add_nc_u64_e32 v[22:23], 1, v[22:23]
	ds_load_b32 v26, v24
	v_add_nc_u32_e32 v24, 4, v24
	v_cmp_eq_u32_e32 vcc_lo, 1, v22
	v_cndmask_b32_e32 v25, v2, v3, vcc_lo
	v_cmp_eq_u32_e32 vcc_lo, 2, v22
	s_delay_alu instid0(VALU_DEP_2) | instskip(SKIP_1) | instid1(VALU_DEP_2)
	v_cndmask_b32_e32 v25, v25, v4, vcc_lo
	v_cmp_eq_u32_e32 vcc_lo, 3, v22
	v_cndmask_b32_e32 v25, v25, v5, vcc_lo
	v_cmp_eq_u32_e32 vcc_lo, 4, v22
	s_delay_alu instid0(VALU_DEP_2) | instskip(SKIP_1) | instid1(VALU_DEP_2)
	v_cndmask_b32_e32 v25, v25, v6, vcc_lo
	;; [unrolled: 5-line block ×8, first 2 shown]
	v_cmp_eq_u32_e32 vcc_lo, 17, v22
	v_cndmask_b32_e32 v25, v25, v19, vcc_lo
	v_cmp_eq_u32_e32 vcc_lo, 18, v22
	s_delay_alu instid0(VALU_DEP_2) | instskip(SKIP_2) | instid1(VALU_DEP_2)
	v_cndmask_b32_e32 v25, v25, v20, vcc_lo
	v_cmp_lt_u32_e32 vcc_lo, 12, v22
	s_wait_dscnt 0x0
	v_fmac_f32_e32 v21, v25, v26
	s_or_b32 s2, vcc_lo, s2
	s_delay_alu instid0(SALU_CYCLE_1)
	s_and_not1_b32 exec_lo, exec_lo, s2
	s_cbranch_execnz .LBB18_413
; %bb.414:
	s_or_b32 exec_lo, exec_lo, s2
.LBB18_415:
	s_delay_alu instid0(SALU_CYCLE_1)
	s_or_b32 exec_lo, exec_lo, s1
	v_mov_b32_e32 v16, 0
	ds_load_b32 v16, v16 offset:56
	s_wait_dscnt 0x0
	v_mul_f32_e32 v16, v21, v16
.LBB18_416:
	s_or_b32 exec_lo, exec_lo, s0
	s_delay_alu instid0(SALU_CYCLE_1)
	s_mov_b32 s0, exec_lo
	ds_store_b32 v107, v17
	s_wait_dscnt 0x0
	s_barrier_signal -1
	s_barrier_wait -1
	v_cmpx_gt_u32_e32 15, v0
	s_cbranch_execz .LBB18_426
; %bb.417:
	v_cmp_ne_u32_e32 vcc_lo, 1, v34
	s_cbranch_vccnz .LBB18_419
; %bb.418:
	v_cmp_eq_u32_e32 vcc_lo, 1, v0
	ds_load_b32 v22, v107
	v_cndmask_b32_e32 v21, v2, v3, vcc_lo
	v_cmp_eq_u32_e32 vcc_lo, 2, v0
	s_delay_alu instid0(VALU_DEP_2) | instskip(SKIP_1) | instid1(VALU_DEP_2)
	v_cndmask_b32_e32 v21, v21, v4, vcc_lo
	v_cmp_eq_u32_e32 vcc_lo, 3, v0
	v_cndmask_b32_e32 v21, v21, v5, vcc_lo
	v_cmp_eq_u32_e32 vcc_lo, 4, v0
	s_delay_alu instid0(VALU_DEP_2) | instskip(SKIP_1) | instid1(VALU_DEP_2)
	v_cndmask_b32_e32 v21, v21, v6, vcc_lo
	v_cmp_eq_u32_e32 vcc_lo, 5, v0
	;; [unrolled: 5-line block ×8, first 2 shown]
	v_cndmask_b32_e32 v21, v21, v19, vcc_lo
	v_cmp_eq_u32_e32 vcc_lo, 18, v0
	s_delay_alu instid0(VALU_DEP_2) | instskip(SKIP_1) | instid1(VALU_DEP_1)
	v_cndmask_b32_e32 v21, v21, v20, vcc_lo
	s_wait_dscnt 0x0
	v_mul_f32_e32 v21, v21, v22
	s_cbranch_execz .LBB18_420
	s_branch .LBB18_421
.LBB18_419:
                                        ; implicit-def: $vgpr21
.LBB18_420:
	ds_load_b32 v21, v107
.LBB18_421:
	s_mov_b32 s1, exec_lo
	v_cmpx_ne_u32_e32 14, v0
	s_cbranch_execz .LBB18_425
; %bb.422:
	v_mov_b64_e32 v[22:23], v[0:1]
	v_lshl_add_u32 v24, v0, 2, 0x54
	s_mov_b32 s2, 0
.LBB18_423:                             ; =>This Inner Loop Header: Depth=1
	s_delay_alu instid0(VALU_DEP_2)
	v_add_nc_u64_e32 v[22:23], 1, v[22:23]
	ds_load_b32 v26, v24
	v_add_nc_u32_e32 v24, 4, v24
	v_cmp_eq_u32_e32 vcc_lo, 1, v22
	v_cndmask_b32_e32 v25, v2, v3, vcc_lo
	v_cmp_eq_u32_e32 vcc_lo, 2, v22
	s_delay_alu instid0(VALU_DEP_2) | instskip(SKIP_1) | instid1(VALU_DEP_2)
	v_cndmask_b32_e32 v25, v25, v4, vcc_lo
	v_cmp_eq_u32_e32 vcc_lo, 3, v22
	v_cndmask_b32_e32 v25, v25, v5, vcc_lo
	v_cmp_eq_u32_e32 vcc_lo, 4, v22
	s_delay_alu instid0(VALU_DEP_2) | instskip(SKIP_1) | instid1(VALU_DEP_2)
	v_cndmask_b32_e32 v25, v25, v6, vcc_lo
	;; [unrolled: 5-line block ×8, first 2 shown]
	v_cmp_eq_u32_e32 vcc_lo, 17, v22
	v_cndmask_b32_e32 v25, v25, v19, vcc_lo
	v_cmp_eq_u32_e32 vcc_lo, 18, v22
	s_delay_alu instid0(VALU_DEP_2) | instskip(SKIP_2) | instid1(VALU_DEP_2)
	v_cndmask_b32_e32 v25, v25, v20, vcc_lo
	v_cmp_lt_u32_e32 vcc_lo, 13, v22
	s_wait_dscnt 0x0
	v_fmac_f32_e32 v21, v25, v26
	s_or_b32 s2, vcc_lo, s2
	s_delay_alu instid0(SALU_CYCLE_1)
	s_and_not1_b32 exec_lo, exec_lo, s2
	s_cbranch_execnz .LBB18_423
; %bb.424:
	s_or_b32 exec_lo, exec_lo, s2
.LBB18_425:
	s_delay_alu instid0(SALU_CYCLE_1)
	s_or_b32 exec_lo, exec_lo, s1
	v_mov_b32_e32 v17, 0
	ds_load_b32 v17, v17 offset:60
	s_wait_dscnt 0x0
	v_mul_f32_e32 v17, v21, v17
.LBB18_426:
	s_or_b32 exec_lo, exec_lo, s0
	s_delay_alu instid0(SALU_CYCLE_1)
	s_mov_b32 s0, exec_lo
	ds_store_b32 v107, v18
	s_wait_dscnt 0x0
	s_barrier_signal -1
	s_barrier_wait -1
	v_cmpx_gt_u32_e32 16, v0
	s_cbranch_execz .LBB18_436
; %bb.427:
	v_cmp_ne_u32_e32 vcc_lo, 1, v34
	s_cbranch_vccnz .LBB18_429
; %bb.428:
	v_cmp_eq_u32_e32 vcc_lo, 1, v0
	ds_load_b32 v22, v107
	v_cndmask_b32_e32 v21, v2, v3, vcc_lo
	v_cmp_eq_u32_e32 vcc_lo, 2, v0
	s_delay_alu instid0(VALU_DEP_2) | instskip(SKIP_1) | instid1(VALU_DEP_2)
	v_cndmask_b32_e32 v21, v21, v4, vcc_lo
	v_cmp_eq_u32_e32 vcc_lo, 3, v0
	v_cndmask_b32_e32 v21, v21, v5, vcc_lo
	v_cmp_eq_u32_e32 vcc_lo, 4, v0
	s_delay_alu instid0(VALU_DEP_2) | instskip(SKIP_1) | instid1(VALU_DEP_2)
	v_cndmask_b32_e32 v21, v21, v6, vcc_lo
	v_cmp_eq_u32_e32 vcc_lo, 5, v0
	;; [unrolled: 5-line block ×8, first 2 shown]
	v_cndmask_b32_e32 v21, v21, v19, vcc_lo
	v_cmp_eq_u32_e32 vcc_lo, 18, v0
	s_delay_alu instid0(VALU_DEP_2) | instskip(SKIP_1) | instid1(VALU_DEP_1)
	v_cndmask_b32_e32 v21, v21, v20, vcc_lo
	s_wait_dscnt 0x0
	v_mul_f32_e32 v21, v21, v22
	s_cbranch_execz .LBB18_430
	s_branch .LBB18_431
.LBB18_429:
                                        ; implicit-def: $vgpr21
.LBB18_430:
	ds_load_b32 v21, v107
.LBB18_431:
	s_mov_b32 s1, exec_lo
	v_cmpx_ne_u32_e32 15, v0
	s_cbranch_execz .LBB18_435
; %bb.432:
	v_mov_b64_e32 v[22:23], v[0:1]
	v_lshl_add_u32 v24, v0, 2, 0x54
	s_mov_b32 s2, 0
.LBB18_433:                             ; =>This Inner Loop Header: Depth=1
	s_delay_alu instid0(VALU_DEP_2)
	v_add_nc_u64_e32 v[22:23], 1, v[22:23]
	ds_load_b32 v26, v24
	v_add_nc_u32_e32 v24, 4, v24
	v_cmp_eq_u32_e32 vcc_lo, 1, v22
	v_cndmask_b32_e32 v25, v2, v3, vcc_lo
	v_cmp_eq_u32_e32 vcc_lo, 2, v22
	s_delay_alu instid0(VALU_DEP_2) | instskip(SKIP_1) | instid1(VALU_DEP_2)
	v_cndmask_b32_e32 v25, v25, v4, vcc_lo
	v_cmp_eq_u32_e32 vcc_lo, 3, v22
	v_cndmask_b32_e32 v25, v25, v5, vcc_lo
	v_cmp_eq_u32_e32 vcc_lo, 4, v22
	s_delay_alu instid0(VALU_DEP_2) | instskip(SKIP_1) | instid1(VALU_DEP_2)
	v_cndmask_b32_e32 v25, v25, v6, vcc_lo
	;; [unrolled: 5-line block ×8, first 2 shown]
	v_cmp_eq_u32_e32 vcc_lo, 17, v22
	v_cndmask_b32_e32 v25, v25, v19, vcc_lo
	v_cmp_eq_u32_e32 vcc_lo, 18, v22
	s_delay_alu instid0(VALU_DEP_2) | instskip(SKIP_2) | instid1(VALU_DEP_2)
	v_cndmask_b32_e32 v25, v25, v20, vcc_lo
	v_cmp_lt_u32_e32 vcc_lo, 14, v22
	s_wait_dscnt 0x0
	v_fmac_f32_e32 v21, v25, v26
	s_or_b32 s2, vcc_lo, s2
	s_delay_alu instid0(SALU_CYCLE_1)
	s_and_not1_b32 exec_lo, exec_lo, s2
	s_cbranch_execnz .LBB18_433
; %bb.434:
	s_or_b32 exec_lo, exec_lo, s2
.LBB18_435:
	s_delay_alu instid0(SALU_CYCLE_1)
	s_or_b32 exec_lo, exec_lo, s1
	v_mov_b32_e32 v18, 0
	ds_load_b32 v18, v18 offset:64
	s_wait_dscnt 0x0
	v_mul_f32_e32 v18, v21, v18
.LBB18_436:
	s_or_b32 exec_lo, exec_lo, s0
	v_cmp_gt_u32_e64 s0, 17, v0
	ds_store_b32 v107, v19
	s_wait_dscnt 0x0
	s_barrier_signal -1
	s_barrier_wait -1
	s_and_saveexec_b32 s1, s0
	s_cbranch_execz .LBB18_446
; %bb.437:
	v_cmp_ne_u32_e32 vcc_lo, 1, v34
	s_cbranch_vccnz .LBB18_439
; %bb.438:
	v_cmp_eq_u32_e32 vcc_lo, 1, v0
	ds_load_b32 v22, v107
	v_cndmask_b32_e32 v21, v2, v3, vcc_lo
	v_cmp_eq_u32_e32 vcc_lo, 2, v0
	s_delay_alu instid0(VALU_DEP_2) | instskip(SKIP_1) | instid1(VALU_DEP_2)
	v_cndmask_b32_e32 v21, v21, v4, vcc_lo
	v_cmp_eq_u32_e32 vcc_lo, 3, v0
	v_cndmask_b32_e32 v21, v21, v5, vcc_lo
	v_cmp_eq_u32_e32 vcc_lo, 4, v0
	s_delay_alu instid0(VALU_DEP_2) | instskip(SKIP_1) | instid1(VALU_DEP_2)
	v_cndmask_b32_e32 v21, v21, v6, vcc_lo
	v_cmp_eq_u32_e32 vcc_lo, 5, v0
	;; [unrolled: 5-line block ×8, first 2 shown]
	v_cndmask_b32_e32 v21, v21, v19, vcc_lo
	v_cmp_eq_u32_e32 vcc_lo, 18, v0
	s_delay_alu instid0(VALU_DEP_2) | instskip(SKIP_1) | instid1(VALU_DEP_1)
	v_cndmask_b32_e32 v21, v21, v20, vcc_lo
	s_wait_dscnt 0x0
	v_mul_f32_e32 v21, v21, v22
	s_cbranch_execz .LBB18_440
	s_branch .LBB18_441
.LBB18_439:
                                        ; implicit-def: $vgpr21
.LBB18_440:
	ds_load_b32 v21, v107
.LBB18_441:
	s_mov_b32 s2, exec_lo
	v_cmpx_ne_u32_e32 16, v0
	s_cbranch_execz .LBB18_445
; %bb.442:
	v_mov_b64_e32 v[22:23], v[0:1]
	v_lshl_add_u32 v24, v0, 2, 0x54
	s_mov_b32 s3, 0
.LBB18_443:                             ; =>This Inner Loop Header: Depth=1
	s_delay_alu instid0(VALU_DEP_2)
	v_add_nc_u64_e32 v[22:23], 1, v[22:23]
	ds_load_b32 v26, v24
	v_add_nc_u32_e32 v24, 4, v24
	v_cmp_eq_u32_e32 vcc_lo, 1, v22
	v_cndmask_b32_e32 v25, v2, v3, vcc_lo
	v_cmp_eq_u32_e32 vcc_lo, 2, v22
	s_delay_alu instid0(VALU_DEP_2) | instskip(SKIP_1) | instid1(VALU_DEP_2)
	v_cndmask_b32_e32 v25, v25, v4, vcc_lo
	v_cmp_eq_u32_e32 vcc_lo, 3, v22
	v_cndmask_b32_e32 v25, v25, v5, vcc_lo
	v_cmp_eq_u32_e32 vcc_lo, 4, v22
	s_delay_alu instid0(VALU_DEP_2) | instskip(SKIP_1) | instid1(VALU_DEP_2)
	v_cndmask_b32_e32 v25, v25, v6, vcc_lo
	;; [unrolled: 5-line block ×8, first 2 shown]
	v_cmp_eq_u32_e32 vcc_lo, 17, v22
	v_cndmask_b32_e32 v25, v25, v19, vcc_lo
	v_cmp_eq_u32_e32 vcc_lo, 18, v22
	s_delay_alu instid0(VALU_DEP_2) | instskip(SKIP_2) | instid1(VALU_DEP_2)
	v_cndmask_b32_e32 v25, v25, v20, vcc_lo
	v_cmp_lt_u32_e32 vcc_lo, 15, v22
	s_wait_dscnt 0x0
	v_fmac_f32_e32 v21, v25, v26
	s_or_b32 s3, vcc_lo, s3
	s_delay_alu instid0(SALU_CYCLE_1)
	s_and_not1_b32 exec_lo, exec_lo, s3
	s_cbranch_execnz .LBB18_443
; %bb.444:
	s_or_b32 exec_lo, exec_lo, s3
.LBB18_445:
	s_delay_alu instid0(SALU_CYCLE_1)
	s_or_b32 exec_lo, exec_lo, s2
	v_mov_b32_e32 v19, 0
	ds_load_b32 v19, v19 offset:68
	s_wait_dscnt 0x0
	v_mul_f32_e32 v19, v21, v19
.LBB18_446:
	s_or_b32 exec_lo, exec_lo, s1
	s_delay_alu instid0(SALU_CYCLE_1)
	s_mov_b32 s1, exec_lo
	ds_store_b32 v107, v20
	s_wait_dscnt 0x0
	s_barrier_signal -1
	s_barrier_wait -1
	v_cmpx_ne_u32_e32 18, v0
	s_cbranch_execz .LBB18_456
; %bb.447:
	v_cmp_ne_u32_e32 vcc_lo, 1, v34
	s_cbranch_vccnz .LBB18_449
; %bb.448:
	v_cmp_eq_u32_e32 vcc_lo, 1, v0
	ds_load_b32 v22, v107
	v_cndmask_b32_e32 v21, v2, v3, vcc_lo
	v_cmp_eq_u32_e32 vcc_lo, 2, v0
	s_delay_alu instid0(VALU_DEP_2) | instskip(SKIP_1) | instid1(VALU_DEP_2)
	v_cndmask_b32_e32 v21, v21, v4, vcc_lo
	v_cmp_eq_u32_e32 vcc_lo, 3, v0
	v_cndmask_b32_e32 v21, v21, v5, vcc_lo
	v_cmp_eq_u32_e32 vcc_lo, 4, v0
	s_delay_alu instid0(VALU_DEP_2) | instskip(SKIP_1) | instid1(VALU_DEP_2)
	v_cndmask_b32_e32 v21, v21, v6, vcc_lo
	v_cmp_eq_u32_e32 vcc_lo, 5, v0
	;; [unrolled: 5-line block ×8, first 2 shown]
	v_cndmask_b32_e32 v21, v21, v19, vcc_lo
	v_cmp_eq_u32_e32 vcc_lo, 18, v0
	s_delay_alu instid0(VALU_DEP_2) | instskip(SKIP_1) | instid1(VALU_DEP_1)
	v_cndmask_b32_e32 v21, v21, v20, vcc_lo
	s_wait_dscnt 0x0
	v_mul_f32_e32 v21, v21, v22
	s_cbranch_execz .LBB18_450
	s_branch .LBB18_451
.LBB18_449:
                                        ; implicit-def: $vgpr21
.LBB18_450:
	ds_load_b32 v21, v107
.LBB18_451:
	s_and_saveexec_b32 s2, s0
	s_cbranch_execz .LBB18_455
; %bb.452:
	v_lshl_add_u32 v22, v0, 2, 0x54
	s_mov_b32 s0, 0
.LBB18_453:                             ; =>This Inner Loop Header: Depth=1
	v_add_nc_u64_e32 v[0:1], 1, v[0:1]
	ds_load_b32 v24, v22
	v_add_nc_u32_e32 v22, 4, v22
	v_cmp_eq_u32_e32 vcc_lo, 1, v0
	v_cndmask_b32_e32 v23, v2, v3, vcc_lo
	v_cmp_eq_u32_e32 vcc_lo, 2, v0
	s_delay_alu instid0(VALU_DEP_2) | instskip(SKIP_1) | instid1(VALU_DEP_2)
	v_cndmask_b32_e32 v23, v23, v4, vcc_lo
	v_cmp_eq_u32_e32 vcc_lo, 3, v0
	v_cndmask_b32_e32 v23, v23, v5, vcc_lo
	v_cmp_eq_u32_e32 vcc_lo, 4, v0
	s_delay_alu instid0(VALU_DEP_2) | instskip(SKIP_1) | instid1(VALU_DEP_2)
	v_cndmask_b32_e32 v23, v23, v6, vcc_lo
	;; [unrolled: 5-line block ×8, first 2 shown]
	v_cmp_eq_u32_e32 vcc_lo, 17, v0
	v_cndmask_b32_e32 v23, v23, v19, vcc_lo
	v_cmp_eq_u32_e32 vcc_lo, 18, v0
	s_delay_alu instid0(VALU_DEP_2) | instskip(SKIP_2) | instid1(VALU_DEP_2)
	v_cndmask_b32_e32 v23, v23, v20, vcc_lo
	v_cmp_lt_u32_e32 vcc_lo, 16, v0
	s_wait_dscnt 0x0
	v_fmac_f32_e32 v21, v23, v24
	s_or_b32 s0, vcc_lo, s0
	s_delay_alu instid0(SALU_CYCLE_1)
	s_and_not1_b32 exec_lo, exec_lo, s0
	s_cbranch_execnz .LBB18_453
; %bb.454:
	s_or_b32 exec_lo, exec_lo, s0
.LBB18_455:
	s_delay_alu instid0(SALU_CYCLE_1)
	s_or_b32 exec_lo, exec_lo, s2
	v_mov_b32_e32 v0, 0
	ds_load_b32 v0, v0 offset:72
	s_wait_dscnt 0x0
	v_mul_f32_e32 v20, v21, v0
.LBB18_456:
	s_or_b32 exec_lo, exec_lo, s1
	v_mov_b64_e32 v[64:65], v[32:33]
	s_delay_alu instid0(VALU_DEP_2)
	v_mov_b64_e32 v[52:53], v[20:21]
	v_mov_b64_e32 v[50:51], v[18:19]
	;; [unrolled: 1-line block ×15, first 2 shown]
.LBB18_457:
	s_wait_xcnt 0x2
	v_lshl_add_u64 v[0:1], v[66:67], 2, s[22:23]
	s_wait_loadcnt 0x2
	v_lshl_add_u64 v[2:3], v[68:69], 2, s[22:23]
	v_lshl_add_u64 v[4:5], v[70:71], 2, s[22:23]
	;; [unrolled: 1-line block ×8, first 2 shown]
	s_wait_loadcnt 0x1
	v_lshl_add_u64 v[18:19], v[84:85], 2, s[22:23]
	s_wait_loadcnt 0x0
	v_lshl_add_u64 v[20:21], v[86:87], 2, s[22:23]
	v_lshl_add_u64 v[22:23], v[90:91], 2, s[22:23]
	v_lshl_add_u64 v[24:25], v[92:93], 2, s[22:23]
	v_lshl_add_u64 v[26:27], v[96:97], 2, s[22:23]
	v_lshl_add_u64 v[28:29], v[98:99], 2, s[22:23]
	v_lshl_add_u64 v[30:31], v[100:101], 2, s[22:23]
	v_lshl_add_u64 v[32:33], v[102:103], 2, s[22:23]
	s_clause 0x12
	global_store_b32 v[88:89], v34, off
	global_store_b32 v[94:95], v35, off
	;; [unrolled: 1-line block ×19, first 2 shown]
.LBB18_458:
	s_sendmsg sendmsg(MSG_DEALLOC_VGPRS)
	s_endpgm
	.section	.rodata,"a",@progbits
	.p2align	6, 0x0
	.amdhsa_kernel _ZN9rocsolver6v33100L18trti2_kernel_smallILi19EfPfEEv13rocblas_fill_17rocblas_diagonal_T1_iil
		.amdhsa_group_segment_fixed_size 156
		.amdhsa_private_segment_fixed_size 0
		.amdhsa_kernarg_size 32
		.amdhsa_user_sgpr_count 2
		.amdhsa_user_sgpr_dispatch_ptr 0
		.amdhsa_user_sgpr_queue_ptr 0
		.amdhsa_user_sgpr_kernarg_segment_ptr 1
		.amdhsa_user_sgpr_dispatch_id 0
		.amdhsa_user_sgpr_kernarg_preload_length 0
		.amdhsa_user_sgpr_kernarg_preload_offset 0
		.amdhsa_user_sgpr_private_segment_size 0
		.amdhsa_wavefront_size32 1
		.amdhsa_uses_dynamic_stack 0
		.amdhsa_enable_private_segment 0
		.amdhsa_system_sgpr_workgroup_id_x 1
		.amdhsa_system_sgpr_workgroup_id_y 0
		.amdhsa_system_sgpr_workgroup_id_z 0
		.amdhsa_system_sgpr_workgroup_info 0
		.amdhsa_system_vgpr_workitem_id 0
		.amdhsa_next_free_vgpr 119
		.amdhsa_next_free_sgpr 28
		.amdhsa_named_barrier_count 0
		.amdhsa_reserve_vcc 1
		.amdhsa_float_round_mode_32 0
		.amdhsa_float_round_mode_16_64 0
		.amdhsa_float_denorm_mode_32 3
		.amdhsa_float_denorm_mode_16_64 3
		.amdhsa_fp16_overflow 0
		.amdhsa_memory_ordered 1
		.amdhsa_forward_progress 1
		.amdhsa_inst_pref_size 207
		.amdhsa_round_robin_scheduling 0
		.amdhsa_exception_fp_ieee_invalid_op 0
		.amdhsa_exception_fp_denorm_src 0
		.amdhsa_exception_fp_ieee_div_zero 0
		.amdhsa_exception_fp_ieee_overflow 0
		.amdhsa_exception_fp_ieee_underflow 0
		.amdhsa_exception_fp_ieee_inexact 0
		.amdhsa_exception_int_div_zero 0
	.end_amdhsa_kernel
	.section	.text._ZN9rocsolver6v33100L18trti2_kernel_smallILi19EfPfEEv13rocblas_fill_17rocblas_diagonal_T1_iil,"axG",@progbits,_ZN9rocsolver6v33100L18trti2_kernel_smallILi19EfPfEEv13rocblas_fill_17rocblas_diagonal_T1_iil,comdat
.Lfunc_end18:
	.size	_ZN9rocsolver6v33100L18trti2_kernel_smallILi19EfPfEEv13rocblas_fill_17rocblas_diagonal_T1_iil, .Lfunc_end18-_ZN9rocsolver6v33100L18trti2_kernel_smallILi19EfPfEEv13rocblas_fill_17rocblas_diagonal_T1_iil
                                        ; -- End function
	.set _ZN9rocsolver6v33100L18trti2_kernel_smallILi19EfPfEEv13rocblas_fill_17rocblas_diagonal_T1_iil.num_vgpr, 119
	.set _ZN9rocsolver6v33100L18trti2_kernel_smallILi19EfPfEEv13rocblas_fill_17rocblas_diagonal_T1_iil.num_agpr, 0
	.set _ZN9rocsolver6v33100L18trti2_kernel_smallILi19EfPfEEv13rocblas_fill_17rocblas_diagonal_T1_iil.numbered_sgpr, 28
	.set _ZN9rocsolver6v33100L18trti2_kernel_smallILi19EfPfEEv13rocblas_fill_17rocblas_diagonal_T1_iil.num_named_barrier, 0
	.set _ZN9rocsolver6v33100L18trti2_kernel_smallILi19EfPfEEv13rocblas_fill_17rocblas_diagonal_T1_iil.private_seg_size, 0
	.set _ZN9rocsolver6v33100L18trti2_kernel_smallILi19EfPfEEv13rocblas_fill_17rocblas_diagonal_T1_iil.uses_vcc, 1
	.set _ZN9rocsolver6v33100L18trti2_kernel_smallILi19EfPfEEv13rocblas_fill_17rocblas_diagonal_T1_iil.uses_flat_scratch, 0
	.set _ZN9rocsolver6v33100L18trti2_kernel_smallILi19EfPfEEv13rocblas_fill_17rocblas_diagonal_T1_iil.has_dyn_sized_stack, 0
	.set _ZN9rocsolver6v33100L18trti2_kernel_smallILi19EfPfEEv13rocblas_fill_17rocblas_diagonal_T1_iil.has_recursion, 0
	.set _ZN9rocsolver6v33100L18trti2_kernel_smallILi19EfPfEEv13rocblas_fill_17rocblas_diagonal_T1_iil.has_indirect_call, 0
	.section	.AMDGPU.csdata,"",@progbits
; Kernel info:
; codeLenInByte = 26416
; TotalNumSgprs: 30
; NumVgprs: 119
; ScratchSize: 0
; MemoryBound: 0
; FloatMode: 240
; IeeeMode: 1
; LDSByteSize: 156 bytes/workgroup (compile time only)
; SGPRBlocks: 0
; VGPRBlocks: 7
; NumSGPRsForWavesPerEU: 30
; NumVGPRsForWavesPerEU: 119
; NamedBarCnt: 0
; Occupancy: 8
; WaveLimiterHint : 0
; COMPUTE_PGM_RSRC2:SCRATCH_EN: 0
; COMPUTE_PGM_RSRC2:USER_SGPR: 2
; COMPUTE_PGM_RSRC2:TRAP_HANDLER: 0
; COMPUTE_PGM_RSRC2:TGID_X_EN: 1
; COMPUTE_PGM_RSRC2:TGID_Y_EN: 0
; COMPUTE_PGM_RSRC2:TGID_Z_EN: 0
; COMPUTE_PGM_RSRC2:TIDIG_COMP_CNT: 0
	.section	.text._ZN9rocsolver6v33100L18trti2_kernel_smallILi20EfPfEEv13rocblas_fill_17rocblas_diagonal_T1_iil,"axG",@progbits,_ZN9rocsolver6v33100L18trti2_kernel_smallILi20EfPfEEv13rocblas_fill_17rocblas_diagonal_T1_iil,comdat
	.globl	_ZN9rocsolver6v33100L18trti2_kernel_smallILi20EfPfEEv13rocblas_fill_17rocblas_diagonal_T1_iil ; -- Begin function _ZN9rocsolver6v33100L18trti2_kernel_smallILi20EfPfEEv13rocblas_fill_17rocblas_diagonal_T1_iil
	.p2align	8
	.type	_ZN9rocsolver6v33100L18trti2_kernel_smallILi20EfPfEEv13rocblas_fill_17rocblas_diagonal_T1_iil,@function
_ZN9rocsolver6v33100L18trti2_kernel_smallILi20EfPfEEv13rocblas_fill_17rocblas_diagonal_T1_iil: ; @_ZN9rocsolver6v33100L18trti2_kernel_smallILi20EfPfEEv13rocblas_fill_17rocblas_diagonal_T1_iil
; %bb.0:
	s_mov_b32 s2, exec_lo
	v_cmpx_gt_u32_e32 20, v0
	s_cbranch_execz .LBB19_484
; %bb.1:
	s_load_b256 s[20:27], s[0:1], 0x0
	s_wait_xcnt 0x0
	s_bfe_u32 s0, ttmp6, 0x4000c
	s_and_b32 s1, ttmp6, 15
	s_add_co_i32 s0, s0, 1
	s_getreg_b32 s2, hwreg(HW_REG_IB_STS2, 6, 4)
	s_mul_i32 s0, ttmp9, s0
	v_mov_b32_e32 v1, 0
	s_add_co_i32 s0, s1, s0
	s_delay_alu instid0(VALU_DEP_1)
	v_dual_mov_b32 v35, v1 :: v_dual_lshlrev_b32 v34, 2, v0
	s_wait_kmcnt 0x0
	v_add3_u32 v66, s25, s25, v0
	s_ashr_i32 s1, s24, 31
	s_cmp_eq_u32 s2, 0
	s_cselect_b32 s2, ttmp9, s0
	s_delay_alu instid0(VALU_DEP_1)
	v_add_nc_u32_e32 v68, s25, v66
	s_ashr_i32 s3, s2, 31
	s_mov_b32 s0, s24
	s_mul_u64 s[2:3], s[26:27], s[2:3]
	s_lshl_b64 s[0:1], s[0:1], 2
	v_add_nc_u32_e32 v70, s25, v68
	s_lshl_b64 s[2:3], s[2:3], 2
	s_delay_alu instid0(SALU_CYCLE_1) | instskip(NEXT) | instid1(VALU_DEP_1)
	s_add_nc_u64 s[2:3], s[22:23], s[2:3]
	v_add_nc_u32_e32 v72, s25, v70
	s_add_nc_u64 s[22:23], s[2:3], s[0:1]
	s_mov_b32 s0, s25
	s_ashr_i32 s1, s25, 31
	s_cmp_lg_u32 s21, 0x84
	v_add_nc_u32_e32 v74, s25, v72
	s_cselect_b32 s24, -1, 0
	s_cmp_eq_u32 s21, 0x84
	v_add_nc_u64_e32 v[90:91], s[22:23], v[34:35]
	s_delay_alu instid0(VALU_DEP_2) | instskip(NEXT) | instid1(VALU_DEP_1)
	v_dual_mov_b32 v35, -1.0 :: v_dual_add_nc_u32 v76, s25, v74
	v_add_nc_u32_e32 v78, s25, v76
	s_delay_alu instid0(VALU_DEP_3)
	v_lshl_add_u64 v[96:97], s[0:1], 2, v[90:91]
	s_clause 0x7
	global_load_b32 v3, v[96:97], off
	global_load_b32 v4, v66, s[22:23] scale_offset
	global_load_b32 v5, v68, s[22:23] scale_offset
	;; [unrolled: 1-line block ×7, first 2 shown]
	v_add_nc_u32_e32 v80, s25, v78
	v_cmp_eq_u32_e64 s0, 0, v0
	s_delay_alu instid0(VALU_DEP_2) | instskip(NEXT) | instid1(VALU_DEP_1)
	v_add_nc_u32_e32 v82, s25, v80
	v_add_nc_u32_e32 v84, s25, v82
	s_delay_alu instid0(VALU_DEP_1) | instskip(NEXT) | instid1(VALU_DEP_1)
	v_add_nc_u32_e32 v86, s25, v84
	v_add_nc_u32_e32 v88, s25, v86
	s_delay_alu instid0(VALU_DEP_1) | instskip(NEXT) | instid1(VALU_DEP_1)
	;; [unrolled: 3-line block ×4, first 2 shown]
	v_add_nc_u32_e32 v102, s25, v100
	v_add_nc_u32_e32 v104, s25, v102
	s_clause 0xb
	global_load_b32 v11, v80, s[22:23] scale_offset
	global_load_b32 v12, v82, s[22:23] scale_offset
	;; [unrolled: 1-line block ×12, first 2 shown]
	s_cbranch_scc1 .LBB19_3
; %bb.2:
	v_cmp_eq_u32_e64 s1, 1, v0
	v_cmp_eq_u32_e64 s2, 2, v0
	v_cmp_eq_u32_e64 s3, 3, v0
	v_cmp_eq_u32_e64 s4, 4, v0
	v_cmp_eq_u32_e64 s5, 5, v0
	s_wait_loadcnt 0x3
	v_cndmask_b32_e64 v22, v2, v3, s1
	v_cmp_eq_u32_e64 s6, 6, v0
	v_cmp_eq_u32_e64 s7, 7, v0
	v_cmp_eq_u32_e64 s8, 8, v0
	v_cmp_eq_u32_e64 s9, 9, v0
	v_cndmask_b32_e64 v22, v22, v4, s2
	v_cmp_eq_u32_e64 s10, 10, v0
	v_cmp_eq_u32_e64 s11, 11, v0
	v_cmp_eq_u32_e64 s12, 12, v0
	v_cmp_eq_u32_e64 s13, 13, v0
	;; [unrolled: 5-line block ×3, first 2 shown]
	v_cndmask_b32_e64 v22, v22, v6, s4
	v_cmp_eq_u32_e64 s18, 18, v0
	v_cmp_eq_u32_e64 s19, 19, v0
	s_delay_alu instid0(VALU_DEP_3) | instskip(NEXT) | instid1(VALU_DEP_1)
	v_cndmask_b32_e64 v22, v22, v7, s5
	v_cndmask_b32_e64 v22, v22, v8, s6
	s_delay_alu instid0(VALU_DEP_1) | instskip(NEXT) | instid1(VALU_DEP_1)
	v_cndmask_b32_e64 v22, v22, v9, s7
	v_cndmask_b32_e64 v22, v22, v10, s8
	s_delay_alu instid0(VALU_DEP_1) | instskip(NEXT) | instid1(VALU_DEP_1)
	;; [unrolled: 3-line block ×5, first 2 shown]
	v_cndmask_b32_e64 v22, v22, v17, s15
	v_cndmask_b32_e64 v22, v22, v18, s16
	s_wait_loadcnt 0x2
	s_delay_alu instid0(VALU_DEP_1) | instskip(SKIP_1) | instid1(VALU_DEP_1)
	v_cndmask_b32_e64 v22, v22, v19, s17
	s_wait_loadcnt 0x1
	v_cndmask_b32_e64 v22, v22, v20, s18
	s_wait_loadcnt 0x0
	s_delay_alu instid0(VALU_DEP_1) | instskip(NEXT) | instid1(VALU_DEP_1)
	v_cndmask_b32_e64 v22, v22, v21, s19
	v_div_scale_f32 v23, null, v22, v22, 1.0
	v_div_scale_f32 v26, vcc_lo, 1.0, v22, 1.0
	s_delay_alu instid0(VALU_DEP_2) | instskip(SKIP_1) | instid1(TRANS32_DEP_1)
	v_rcp_f32_e32 v24, v23
	v_nop
	v_fma_f32 v25, -v23, v24, 1.0
	s_delay_alu instid0(VALU_DEP_1) | instskip(NEXT) | instid1(VALU_DEP_1)
	v_fmac_f32_e32 v24, v25, v24
	v_mul_f32_e32 v25, v26, v24
	s_delay_alu instid0(VALU_DEP_1) | instskip(NEXT) | instid1(VALU_DEP_1)
	v_fma_f32 v27, -v23, v25, v26
	v_fmac_f32_e32 v25, v27, v24
	s_delay_alu instid0(VALU_DEP_1) | instskip(NEXT) | instid1(VALU_DEP_1)
	v_fma_f32 v23, -v23, v25, v26
	v_div_fmas_f32 v23, v23, v24, v25
	s_delay_alu instid0(VALU_DEP_1) | instskip(NEXT) | instid1(VALU_DEP_1)
	v_div_fixup_f32 v22, v23, v22, 1.0
	v_dual_cndmask_b32 v21, v21, v22, s19 :: v_dual_cndmask_b32 v20, v20, v22, s18
	v_dual_cndmask_b32 v19, v19, v22, s17 :: v_dual_cndmask_b32 v18, v18, v22, s16
	;; [unrolled: 1-line block ×10, first 2 shown]
	v_xor_b32_e32 v35, 0x80000000, v22
.LBB19_3:
	v_dual_ashrrev_i32 v67, 31, v66 :: v_dual_ashrrev_i32 v69, 31, v68
	v_dual_ashrrev_i32 v71, 31, v70 :: v_dual_ashrrev_i32 v73, 31, v72
	v_dual_ashrrev_i32 v75, 31, v74 :: v_dual_ashrrev_i32 v77, 31, v76
	v_dual_ashrrev_i32 v79, 31, v78 :: v_dual_ashrrev_i32 v81, 31, v80
	v_dual_ashrrev_i32 v83, 31, v82 :: v_dual_ashrrev_i32 v85, 31, v84
	v_dual_ashrrev_i32 v87, 31, v86 :: v_dual_ashrrev_i32 v89, 31, v88
	v_dual_ashrrev_i32 v93, 31, v92 :: v_dual_ashrrev_i32 v95, 31, v94
	v_dual_ashrrev_i32 v99, 31, v98 :: v_dual_ashrrev_i32 v101, 31, v100
	v_dual_ashrrev_i32 v103, 31, v102 :: v_dual_ashrrev_i32 v105, 31, v104
	v_add_nc_u32_e32 v109, 0x50, v34
	s_cmp_eq_u32 s20, 0x79
	ds_store_b32 v34, v35
	s_cbranch_scc1 .LBB19_7
; %bb.4:
	s_wait_loadcnt 0x0
	v_mov_b64_e32 v[64:65], v[32:33]
	v_mov_b64_e32 v[62:63], v[30:31]
	;; [unrolled: 1-line block ×16, first 2 shown]
	v_cmp_eq_u32_e64 s0, 19, v0
	ds_store_b32 v109, v20
	s_wait_dscnt 0x0
	s_barrier_signal -1
	s_barrier_wait -1
	s_and_saveexec_b32 s1, s0
	s_cbranch_execz .LBB19_11
; %bb.5:
	s_and_b32 vcc_lo, exec_lo, s24
	s_cbranch_vccz .LBB19_8
; %bb.6:
	v_cmp_eq_u32_e32 vcc_lo, 1, v0
	ds_load_b32 v35, v109
	v_cndmask_b32_e32 v34, v2, v3, vcc_lo
	v_cmp_eq_u32_e32 vcc_lo, 2, v0
	s_delay_alu instid0(VALU_DEP_2) | instskip(SKIP_1) | instid1(VALU_DEP_2)
	v_cndmask_b32_e32 v34, v34, v4, vcc_lo
	v_cmp_eq_u32_e32 vcc_lo, 3, v0
	v_cndmask_b32_e32 v34, v34, v5, vcc_lo
	v_cmp_eq_u32_e32 vcc_lo, 4, v0
	s_delay_alu instid0(VALU_DEP_2) | instskip(SKIP_1) | instid1(VALU_DEP_2)
	v_cndmask_b32_e32 v34, v34, v6, vcc_lo
	v_cmp_eq_u32_e32 vcc_lo, 5, v0
	;; [unrolled: 5-line block ×9, first 2 shown]
	v_cndmask_b32_e32 v34, v34, v21, vcc_lo
	s_wait_dscnt 0x0
	s_delay_alu instid0(VALU_DEP_1)
	v_mul_f32_e32 v52, v34, v35
	s_cbranch_execz .LBB19_9
	s_branch .LBB19_10
.LBB19_7:
                                        ; implicit-def: $vgpr34_vgpr35_vgpr36_vgpr37_vgpr38_vgpr39_vgpr40_vgpr41_vgpr42_vgpr43_vgpr44_vgpr45_vgpr46_vgpr47_vgpr48_vgpr49_vgpr50_vgpr51_vgpr52_vgpr53_vgpr54_vgpr55_vgpr56_vgpr57_vgpr58_vgpr59_vgpr60_vgpr61_vgpr62_vgpr63_vgpr64_vgpr65
	s_cbranch_execnz .LBB19_290
	s_branch .LBB19_483
.LBB19_8:
                                        ; implicit-def: $vgpr52
.LBB19_9:
	ds_load_b32 v52, v109
.LBB19_10:
	v_dual_mov_b32 v34, 0 :: v_dual_mov_b32 v35, v3
	v_dual_mov_b32 v37, v5 :: v_dual_mov_b32 v38, v6
	;; [unrolled: 1-line block ×3, first 2 shown]
	ds_load_b32 v53, v34 offset:72
	v_dual_mov_b32 v34, v2 :: v_dual_mov_b32 v36, v4
	v_dual_mov_b32 v41, v9 :: v_dual_mov_b32 v42, v10
	;; [unrolled: 1-line block ×6, first 2 shown]
	s_wait_dscnt 0x0
	v_dual_mov_b32 v51, v19 :: v_dual_mul_f32 v52, v52, v53
	v_mov_b32_e32 v53, v21
.LBB19_11:
	s_or_b32 exec_lo, exec_lo, s1
	v_cmp_lt_u32_e64 s1, 17, v0
	ds_store_b32 v109, v51
	s_wait_dscnt 0x0
	s_barrier_signal -1
	s_barrier_wait -1
	s_and_saveexec_b32 s2, s1
	s_cbranch_execz .LBB19_17
; %bb.12:
	s_and_not1_b32 vcc_lo, exec_lo, s24
	s_cbranch_vccnz .LBB19_14
; %bb.13:
	v_cmp_eq_u32_e32 vcc_lo, 1, v0
	ds_load_b32 v55, v109
	v_cndmask_b32_e32 v54, v34, v35, vcc_lo
	v_cmp_eq_u32_e32 vcc_lo, 2, v0
	s_delay_alu instid0(VALU_DEP_2) | instskip(SKIP_1) | instid1(VALU_DEP_2)
	v_cndmask_b32_e32 v54, v54, v36, vcc_lo
	v_cmp_eq_u32_e32 vcc_lo, 3, v0
	v_cndmask_b32_e32 v54, v54, v37, vcc_lo
	v_cmp_eq_u32_e32 vcc_lo, 4, v0
	s_delay_alu instid0(VALU_DEP_2) | instskip(SKIP_1) | instid1(VALU_DEP_2)
	v_cndmask_b32_e32 v54, v54, v38, vcc_lo
	v_cmp_eq_u32_e32 vcc_lo, 5, v0
	;; [unrolled: 5-line block ×9, first 2 shown]
	v_cndmask_b32_e32 v51, v51, v53, vcc_lo
	s_wait_dscnt 0x0
	s_delay_alu instid0(VALU_DEP_1)
	v_mul_f32_e32 v51, v51, v55
	s_cbranch_execz .LBB19_15
	s_branch .LBB19_16
.LBB19_14:
                                        ; implicit-def: $vgpr51
.LBB19_15:
	ds_load_b32 v51, v109
.LBB19_16:
	v_mov_b32_e32 v54, 0
	ds_load_2addr_b32 v[54:55], v54 offset0:17 offset1:38
	s_wait_dscnt 0x0
	v_fma_f32 v55, v52, v55, v51
	s_delay_alu instid0(VALU_DEP_1) | instskip(NEXT) | instid1(VALU_DEP_1)
	v_cndmask_b32_e64 v51, v51, v55, s0
	v_mul_f32_e32 v51, v51, v54
.LBB19_17:
	s_or_b32 exec_lo, exec_lo, s2
	v_cmp_lt_u32_e64 s0, 16, v0
	ds_store_b32 v109, v50
	s_wait_dscnt 0x0
	s_barrier_signal -1
	s_barrier_wait -1
	s_and_saveexec_b32 s4, s0
	s_cbranch_execz .LBB19_33
; %bb.18:
	s_and_not1_b32 vcc_lo, exec_lo, s24
	s_cbranch_vccnz .LBB19_20
; %bb.19:
	v_cmp_eq_u32_e32 vcc_lo, 1, v0
	ds_load_b32 v107, v109
	v_cndmask_b32_e32 v106, v34, v35, vcc_lo
	v_cmp_eq_u32_e32 vcc_lo, 2, v0
	s_delay_alu instid0(VALU_DEP_2) | instskip(SKIP_1) | instid1(VALU_DEP_2)
	v_cndmask_b32_e32 v106, v106, v36, vcc_lo
	v_cmp_eq_u32_e32 vcc_lo, 3, v0
	v_cndmask_b32_e32 v106, v106, v37, vcc_lo
	v_cmp_eq_u32_e32 vcc_lo, 4, v0
	s_delay_alu instid0(VALU_DEP_2) | instskip(SKIP_1) | instid1(VALU_DEP_2)
	v_cndmask_b32_e32 v106, v106, v38, vcc_lo
	v_cmp_eq_u32_e32 vcc_lo, 5, v0
	;; [unrolled: 5-line block ×9, first 2 shown]
	v_cndmask_b32_e32 v106, v106, v53, vcc_lo
	s_wait_dscnt 0x0
	s_delay_alu instid0(VALU_DEP_1)
	v_mul_f32_e32 v110, v106, v107
	s_cbranch_execz .LBB19_21
	s_branch .LBB19_22
.LBB19_20:
                                        ; implicit-def: $vgpr110
.LBB19_21:
	ds_load_b32 v110, v109
.LBB19_22:
	s_and_saveexec_b32 s5, s1
	s_cbranch_execz .LBB19_32
; %bb.23:
	v_subrev_nc_u32_e32 v108, 18, v0
	v_mov_b32_e32 v106, 17
	v_subrev_nc_u32_e32 v107, 17, v0
	s_mov_b32 s1, exec_lo
	s_delay_alu instid0(VALU_DEP_3)
	v_cmpx_lt_u32_e32 6, v108
	s_cbranch_execz .LBB19_27
; %bb.24:
	s_delay_alu instid0(VALU_DEP_2) | instskip(SKIP_3) | instid1(VALU_DEP_1)
	v_and_b32_e32 v106, -8, v107
	s_mov_b32 s6, 0
	s_mov_b64 s[2:3], 24
	s_movk_i32 s7, 0x94
	v_sub_nc_u32_e32 v108, 0, v106
.LBB19_25:                              ; =>This Inner Loop Header: Depth=1
	s_add_co_i32 m0, s2, -7
	v_movrels_b32_e32 v111, v34
	v_mov_b32_e32 v106, s7
	s_add_co_i32 m0, s2, -6
	s_add_co_i32 s7, s7, 32
	v_movrels_b32_e32 v120, v34
	ds_load_2addr_b32 v[112:113], v106 offset1:1
	ds_load_2addr_b32 v[114:115], v106 offset0:2 offset1:3
	s_add_co_i32 m0, s2, -5
	s_wait_dscnt 0x1
	v_fmac_f32_e32 v110, v111, v112
	ds_load_2addr_b32 v[116:117], v106 offset0:4 offset1:5
	ds_load_2addr_b32 v[118:119], v106 offset0:6 offset1:7
	v_movrels_b32_e32 v106, v34
	s_add_co_i32 m0, s2, -4
	v_fmac_f32_e32 v110, v120, v113
	v_movrels_b32_e32 v111, v34
	s_add_co_i32 m0, s2, -3
	s_wait_dscnt 0x2
	s_delay_alu instid0(VALU_DEP_2) | instskip(SKIP_2) | instid1(VALU_DEP_2)
	v_fmac_f32_e32 v110, v106, v114
	v_movrels_b32_e32 v106, v34
	s_add_co_i32 m0, s2, -2
	v_fmac_f32_e32 v110, v111, v115
	v_movrels_b32_e32 v111, v34
	s_add_co_i32 m0, s2, -1
	s_wait_dscnt 0x1
	s_delay_alu instid0(VALU_DEP_2)
	v_fmac_f32_e32 v110, v106, v116
	v_movrels_b32_e32 v106, v34
	s_mov_b32 m0, s2
	s_add_nc_u64 s[2:3], s[2:3], 8
	v_movrels_b32_e32 v112, v34
	v_dual_fmac_f32 v110, v111, v117 :: v_dual_add_nc_u32 v111, s2, v108
	s_add_co_i32 s8, s2, -7
	s_wait_dscnt 0x0
	s_delay_alu instid0(VALU_DEP_1) | instskip(NEXT) | instid1(VALU_DEP_2)
	v_fmac_f32_e32 v110, v106, v118
	v_cmp_eq_u32_e32 vcc_lo, 24, v111
	s_delay_alu instid0(VALU_DEP_2) | instskip(SKIP_1) | instid1(SALU_CYCLE_1)
	v_dual_mov_b32 v106, s8 :: v_dual_fmac_f32 v110, v112, v119
	s_or_b32 s6, vcc_lo, s6
	s_and_not1_b32 exec_lo, exec_lo, s6
	s_cbranch_execnz .LBB19_25
; %bb.26:
	s_or_b32 exec_lo, exec_lo, s6
.LBB19_27:
	s_delay_alu instid0(SALU_CYCLE_1) | instskip(SKIP_3) | instid1(VALU_DEP_1)
	s_or_b32 exec_lo, exec_lo, s1
	v_and_b32_e32 v54, 7, v107
	s_mov_b32 s2, 0
	s_mov_b32 s1, exec_lo
	v_cmpx_ne_u32_e32 0, v54
	s_cbranch_execz .LBB19_31
; %bb.28:
	v_lshl_add_u32 v55, v106, 2, 0x50
	v_mov_b32_e32 v107, 0
.LBB19_29:                              ; =>This Inner Loop Header: Depth=1
	v_cmp_eq_u32_e32 vcc_lo, 1, v106
	ds_load_b32 v57, v55
	v_dual_add_nc_u32 v54, -1, v54 :: v_dual_add_nc_u32 v55, 4, v55
	v_cndmask_b32_e32 v56, v34, v35, vcc_lo
	v_cmp_eq_u32_e32 vcc_lo, 2, v106
	s_delay_alu instid0(VALU_DEP_2) | instskip(SKIP_1) | instid1(VALU_DEP_2)
	v_cndmask_b32_e32 v56, v56, v36, vcc_lo
	v_cmp_eq_u32_e32 vcc_lo, 3, v106
	v_cndmask_b32_e32 v56, v56, v37, vcc_lo
	v_cmp_eq_u32_e32 vcc_lo, 4, v106
	s_delay_alu instid0(VALU_DEP_2) | instskip(SKIP_1) | instid1(VALU_DEP_2)
	v_cndmask_b32_e32 v56, v56, v38, vcc_lo
	v_cmp_eq_u32_e32 vcc_lo, 5, v106
	;; [unrolled: 5-line block ×8, first 2 shown]
	v_cndmask_b32_e32 v56, v56, v51, vcc_lo
	v_cmp_eq_u32_e32 vcc_lo, 18, v106
	s_delay_alu instid0(VALU_DEP_2) | instskip(SKIP_2) | instid1(VALU_DEP_3)
	v_cndmask_b32_e32 v56, v56, v52, vcc_lo
	v_cmp_eq_u32_e32 vcc_lo, 19, v106
	v_add_nc_u64_e32 v[106:107], 1, v[106:107]
	v_cndmask_b32_e32 v56, v56, v53, vcc_lo
	v_cmp_eq_u32_e32 vcc_lo, 0, v54
	s_wait_dscnt 0x0
	s_delay_alu instid0(VALU_DEP_2) | instskip(SKIP_1) | instid1(SALU_CYCLE_1)
	v_fmac_f32_e32 v110, v56, v57
	s_or_b32 s2, vcc_lo, s2
	s_and_not1_b32 exec_lo, exec_lo, s2
	s_cbranch_execnz .LBB19_29
; %bb.30:
	s_or_b32 exec_lo, exec_lo, s2
.LBB19_31:
	s_delay_alu instid0(SALU_CYCLE_1)
	s_or_b32 exec_lo, exec_lo, s1
.LBB19_32:
	s_delay_alu instid0(SALU_CYCLE_1)
	s_or_b32 exec_lo, exec_lo, s5
	v_mov_b32_e32 v50, 0
	ds_load_b32 v50, v50 offset:64
	s_wait_dscnt 0x0
	v_mul_f32_e32 v50, v110, v50
.LBB19_33:
	s_or_b32 exec_lo, exec_lo, s4
	v_cmp_lt_u32_e64 s1, 15, v0
	ds_store_b32 v109, v49
	s_wait_dscnt 0x0
	s_barrier_signal -1
	s_barrier_wait -1
	s_and_saveexec_b32 s4, s1
	s_cbranch_execz .LBB19_49
; %bb.34:
	s_and_not1_b32 vcc_lo, exec_lo, s24
	s_cbranch_vccnz .LBB19_36
; %bb.35:
	v_cmp_eq_u32_e32 vcc_lo, 1, v0
	ds_load_b32 v107, v109
	v_cndmask_b32_e32 v106, v34, v35, vcc_lo
	v_cmp_eq_u32_e32 vcc_lo, 2, v0
	s_delay_alu instid0(VALU_DEP_2) | instskip(SKIP_1) | instid1(VALU_DEP_2)
	v_cndmask_b32_e32 v106, v106, v36, vcc_lo
	v_cmp_eq_u32_e32 vcc_lo, 3, v0
	v_cndmask_b32_e32 v106, v106, v37, vcc_lo
	v_cmp_eq_u32_e32 vcc_lo, 4, v0
	s_delay_alu instid0(VALU_DEP_2) | instskip(SKIP_1) | instid1(VALU_DEP_2)
	v_cndmask_b32_e32 v106, v106, v38, vcc_lo
	v_cmp_eq_u32_e32 vcc_lo, 5, v0
	;; [unrolled: 5-line block ×9, first 2 shown]
	v_cndmask_b32_e32 v106, v106, v53, vcc_lo
	s_wait_dscnt 0x0
	s_delay_alu instid0(VALU_DEP_1)
	v_mul_f32_e32 v110, v106, v107
	s_cbranch_execz .LBB19_37
	s_branch .LBB19_38
.LBB19_36:
                                        ; implicit-def: $vgpr110
.LBB19_37:
	ds_load_b32 v110, v109
.LBB19_38:
	s_and_saveexec_b32 s5, s0
	s_cbranch_execz .LBB19_48
; %bb.39:
	v_subrev_nc_u32_e32 v106, 17, v0
	s_delay_alu instid0(VALU_DEP_1)
	v_cmp_lt_u32_e32 vcc_lo, 6, v106
	v_mov_b32_e32 v106, 16
	s_and_saveexec_b32 s0, vcc_lo
	s_cbranch_execz .LBB19_43
; %bb.40:
	v_and_b32_e32 v106, 24, v0
	s_mov_b32 s6, 0
	s_mov_b64 s[2:3], 23
	s_movk_i32 s7, 0x90
	s_delay_alu instid0(VALU_DEP_1)
	v_sub_nc_u32_e32 v108, 0, v106
.LBB19_41:                              ; =>This Inner Loop Header: Depth=1
	s_add_co_i32 m0, s2, -7
	v_movrels_b32_e32 v107, v34
	v_mov_b32_e32 v106, s7
	s_add_co_i32 m0, s2, -6
	s_add_co_i32 s7, s7, 32
	v_movrels_b32_e32 v111, v34
	s_add_co_i32 m0, s2, -5
	ds_load_b128 v[112:115], v106
	ds_load_b128 v[116:119], v106 offset:16
	v_movrels_b32_e32 v106, v34
	s_add_co_i32 m0, s2, -4
	s_wait_dscnt 0x1
	v_fmac_f32_e32 v110, v107, v112
	v_movrels_b32_e32 v107, v34
	s_add_co_i32 m0, s2, -3
	s_delay_alu instid0(VALU_DEP_2) | instskip(NEXT) | instid1(VALU_DEP_1)
	v_fmac_f32_e32 v110, v111, v113
	v_fmac_f32_e32 v110, v106, v114
	v_movrels_b32_e32 v106, v34
	s_add_co_i32 m0, s2, -2
	s_delay_alu instid0(VALU_DEP_2) | instskip(SKIP_3) | instid1(VALU_DEP_2)
	v_fmac_f32_e32 v110, v107, v115
	v_movrels_b32_e32 v107, v34
	s_add_co_i32 m0, s2, -1
	s_wait_dscnt 0x0
	v_fmac_f32_e32 v110, v106, v116
	v_movrels_b32_e32 v106, v34
	s_mov_b32 m0, s2
	s_add_nc_u64 s[2:3], s[2:3], 8
	v_movrels_b32_e32 v111, v34
	v_dual_fmac_f32 v110, v107, v117 :: v_dual_add_nc_u32 v107, s2, v108
	s_add_co_i32 s8, s2, -7
	s_delay_alu instid0(VALU_DEP_1) | instskip(NEXT) | instid1(VALU_DEP_2)
	v_fmac_f32_e32 v110, v106, v118
	v_cmp_eq_u32_e32 vcc_lo, 7, v107
	s_delay_alu instid0(VALU_DEP_2) | instskip(SKIP_1) | instid1(SALU_CYCLE_1)
	v_dual_mov_b32 v106, s8 :: v_dual_fmac_f32 v110, v111, v119
	s_or_b32 s6, vcc_lo, s6
	s_and_not1_b32 exec_lo, exec_lo, s6
	s_cbranch_execnz .LBB19_41
; %bb.42:
	s_or_b32 exec_lo, exec_lo, s6
.LBB19_43:
	s_delay_alu instid0(SALU_CYCLE_1) | instskip(SKIP_3) | instid1(VALU_DEP_1)
	s_or_b32 exec_lo, exec_lo, s0
	v_and_b32_e32 v54, 7, v0
	s_mov_b32 s2, 0
	s_mov_b32 s0, exec_lo
	v_cmpx_ne_u32_e32 0, v54
	s_cbranch_execz .LBB19_47
; %bb.44:
	v_lshl_add_u32 v55, v106, 2, 0x50
	v_mov_b32_e32 v107, 0
.LBB19_45:                              ; =>This Inner Loop Header: Depth=1
	v_cmp_eq_u32_e32 vcc_lo, 1, v106
	ds_load_b32 v57, v55
	v_dual_add_nc_u32 v54, -1, v54 :: v_dual_add_nc_u32 v55, 4, v55
	v_cndmask_b32_e32 v56, v34, v35, vcc_lo
	v_cmp_eq_u32_e32 vcc_lo, 2, v106
	s_delay_alu instid0(VALU_DEP_2) | instskip(SKIP_1) | instid1(VALU_DEP_2)
	v_cndmask_b32_e32 v56, v56, v36, vcc_lo
	v_cmp_eq_u32_e32 vcc_lo, 3, v106
	v_cndmask_b32_e32 v56, v56, v37, vcc_lo
	v_cmp_eq_u32_e32 vcc_lo, 4, v106
	s_delay_alu instid0(VALU_DEP_2) | instskip(SKIP_1) | instid1(VALU_DEP_2)
	v_cndmask_b32_e32 v56, v56, v38, vcc_lo
	v_cmp_eq_u32_e32 vcc_lo, 5, v106
	v_cndmask_b32_e32 v56, v56, v39, vcc_lo
	v_cmp_eq_u32_e32 vcc_lo, 6, v106
	s_delay_alu instid0(VALU_DEP_2) | instskip(SKIP_1) | instid1(VALU_DEP_2)
	v_cndmask_b32_e32 v56, v56, v40, vcc_lo
	v_cmp_eq_u32_e32 vcc_lo, 7, v106
	v_cndmask_b32_e32 v56, v56, v41, vcc_lo
	v_cmp_eq_u32_e32 vcc_lo, 8, v106
	s_delay_alu instid0(VALU_DEP_2) | instskip(SKIP_1) | instid1(VALU_DEP_2)
	v_cndmask_b32_e32 v56, v56, v42, vcc_lo
	v_cmp_eq_u32_e32 vcc_lo, 9, v106
	v_cndmask_b32_e32 v56, v56, v43, vcc_lo
	v_cmp_eq_u32_e32 vcc_lo, 10, v106
	s_delay_alu instid0(VALU_DEP_2) | instskip(SKIP_1) | instid1(VALU_DEP_2)
	v_cndmask_b32_e32 v56, v56, v44, vcc_lo
	v_cmp_eq_u32_e32 vcc_lo, 11, v106
	v_cndmask_b32_e32 v56, v56, v45, vcc_lo
	v_cmp_eq_u32_e32 vcc_lo, 12, v106
	s_delay_alu instid0(VALU_DEP_2) | instskip(SKIP_1) | instid1(VALU_DEP_2)
	v_cndmask_b32_e32 v56, v56, v46, vcc_lo
	v_cmp_eq_u32_e32 vcc_lo, 13, v106
	v_cndmask_b32_e32 v56, v56, v47, vcc_lo
	v_cmp_eq_u32_e32 vcc_lo, 14, v106
	s_delay_alu instid0(VALU_DEP_2) | instskip(SKIP_1) | instid1(VALU_DEP_2)
	v_cndmask_b32_e32 v56, v56, v48, vcc_lo
	v_cmp_eq_u32_e32 vcc_lo, 15, v106
	v_cndmask_b32_e32 v56, v56, v49, vcc_lo
	v_cmp_eq_u32_e32 vcc_lo, 16, v106
	s_delay_alu instid0(VALU_DEP_2) | instskip(SKIP_1) | instid1(VALU_DEP_2)
	v_cndmask_b32_e32 v56, v56, v50, vcc_lo
	v_cmp_eq_u32_e32 vcc_lo, 17, v106
	v_cndmask_b32_e32 v56, v56, v51, vcc_lo
	v_cmp_eq_u32_e32 vcc_lo, 18, v106
	s_delay_alu instid0(VALU_DEP_2) | instskip(SKIP_2) | instid1(VALU_DEP_3)
	v_cndmask_b32_e32 v56, v56, v52, vcc_lo
	v_cmp_eq_u32_e32 vcc_lo, 19, v106
	v_add_nc_u64_e32 v[106:107], 1, v[106:107]
	v_cndmask_b32_e32 v56, v56, v53, vcc_lo
	v_cmp_eq_u32_e32 vcc_lo, 0, v54
	s_wait_dscnt 0x0
	s_delay_alu instid0(VALU_DEP_2) | instskip(SKIP_1) | instid1(SALU_CYCLE_1)
	v_fmac_f32_e32 v110, v56, v57
	s_or_b32 s2, vcc_lo, s2
	s_and_not1_b32 exec_lo, exec_lo, s2
	s_cbranch_execnz .LBB19_45
; %bb.46:
	s_or_b32 exec_lo, exec_lo, s2
.LBB19_47:
	s_delay_alu instid0(SALU_CYCLE_1)
	s_or_b32 exec_lo, exec_lo, s0
.LBB19_48:
	s_delay_alu instid0(SALU_CYCLE_1)
	s_or_b32 exec_lo, exec_lo, s5
	v_mov_b32_e32 v49, 0
	ds_load_b32 v49, v49 offset:60
	s_wait_dscnt 0x0
	v_mul_f32_e32 v49, v110, v49
.LBB19_49:
	s_or_b32 exec_lo, exec_lo, s4
	v_cmp_lt_u32_e64 s0, 14, v0
	ds_store_b32 v109, v48
	s_wait_dscnt 0x0
	s_barrier_signal -1
	s_barrier_wait -1
	s_and_saveexec_b32 s4, s0
	s_cbranch_execz .LBB19_65
; %bb.50:
	s_and_not1_b32 vcc_lo, exec_lo, s24
	s_cbranch_vccnz .LBB19_52
; %bb.51:
	v_cmp_eq_u32_e32 vcc_lo, 1, v0
	ds_load_b32 v107, v109
	v_cndmask_b32_e32 v106, v34, v35, vcc_lo
	v_cmp_eq_u32_e32 vcc_lo, 2, v0
	s_delay_alu instid0(VALU_DEP_2) | instskip(SKIP_1) | instid1(VALU_DEP_2)
	v_cndmask_b32_e32 v106, v106, v36, vcc_lo
	v_cmp_eq_u32_e32 vcc_lo, 3, v0
	v_cndmask_b32_e32 v106, v106, v37, vcc_lo
	v_cmp_eq_u32_e32 vcc_lo, 4, v0
	s_delay_alu instid0(VALU_DEP_2) | instskip(SKIP_1) | instid1(VALU_DEP_2)
	v_cndmask_b32_e32 v106, v106, v38, vcc_lo
	v_cmp_eq_u32_e32 vcc_lo, 5, v0
	v_cndmask_b32_e32 v106, v106, v39, vcc_lo
	v_cmp_eq_u32_e32 vcc_lo, 6, v0
	s_delay_alu instid0(VALU_DEP_2) | instskip(SKIP_1) | instid1(VALU_DEP_2)
	v_cndmask_b32_e32 v106, v106, v40, vcc_lo
	v_cmp_eq_u32_e32 vcc_lo, 7, v0
	v_cndmask_b32_e32 v106, v106, v41, vcc_lo
	v_cmp_eq_u32_e32 vcc_lo, 8, v0
	s_delay_alu instid0(VALU_DEP_2) | instskip(SKIP_1) | instid1(VALU_DEP_2)
	v_cndmask_b32_e32 v106, v106, v42, vcc_lo
	v_cmp_eq_u32_e32 vcc_lo, 9, v0
	v_cndmask_b32_e32 v106, v106, v43, vcc_lo
	v_cmp_eq_u32_e32 vcc_lo, 10, v0
	s_delay_alu instid0(VALU_DEP_2) | instskip(SKIP_1) | instid1(VALU_DEP_2)
	v_cndmask_b32_e32 v106, v106, v44, vcc_lo
	v_cmp_eq_u32_e32 vcc_lo, 11, v0
	v_cndmask_b32_e32 v106, v106, v45, vcc_lo
	v_cmp_eq_u32_e32 vcc_lo, 12, v0
	s_delay_alu instid0(VALU_DEP_2) | instskip(SKIP_1) | instid1(VALU_DEP_2)
	v_cndmask_b32_e32 v106, v106, v46, vcc_lo
	v_cmp_eq_u32_e32 vcc_lo, 13, v0
	v_cndmask_b32_e32 v106, v106, v47, vcc_lo
	v_cmp_eq_u32_e32 vcc_lo, 14, v0
	s_delay_alu instid0(VALU_DEP_2) | instskip(SKIP_1) | instid1(VALU_DEP_2)
	v_cndmask_b32_e32 v106, v106, v48, vcc_lo
	v_cmp_eq_u32_e32 vcc_lo, 15, v0
	v_cndmask_b32_e32 v106, v106, v49, vcc_lo
	v_cmp_eq_u32_e32 vcc_lo, 16, v0
	s_delay_alu instid0(VALU_DEP_2) | instskip(SKIP_1) | instid1(VALU_DEP_2)
	v_cndmask_b32_e32 v106, v106, v50, vcc_lo
	v_cmp_eq_u32_e32 vcc_lo, 17, v0
	v_cndmask_b32_e32 v106, v106, v51, vcc_lo
	v_cmp_eq_u32_e32 vcc_lo, 18, v0
	s_delay_alu instid0(VALU_DEP_2) | instskip(SKIP_1) | instid1(VALU_DEP_2)
	v_cndmask_b32_e32 v106, v106, v52, vcc_lo
	v_cmp_eq_u32_e32 vcc_lo, 19, v0
	v_cndmask_b32_e32 v106, v106, v53, vcc_lo
	s_wait_dscnt 0x0
	s_delay_alu instid0(VALU_DEP_1)
	v_mul_f32_e32 v110, v106, v107
	s_cbranch_execz .LBB19_53
	s_branch .LBB19_54
.LBB19_52:
                                        ; implicit-def: $vgpr110
.LBB19_53:
	ds_load_b32 v110, v109
.LBB19_54:
	s_and_saveexec_b32 s5, s1
	s_cbranch_execz .LBB19_64
; %bb.55:
	v_dual_add_nc_u32 v106, -16, v0 :: v_dual_add_nc_u32 v107, -15, v0
	s_delay_alu instid0(VALU_DEP_1)
	v_cmp_lt_u32_e32 vcc_lo, 6, v106
	v_mov_b32_e32 v106, 15
	s_and_saveexec_b32 s1, vcc_lo
	s_cbranch_execz .LBB19_59
; %bb.56:
	v_and_b32_e32 v106, -8, v107
	s_mov_b32 s6, 0
	s_mov_b64 s[2:3], 22
	s_movk_i32 s7, 0x8c
	s_delay_alu instid0(VALU_DEP_1)
	v_sub_nc_u32_e32 v108, 0, v106
.LBB19_57:                              ; =>This Inner Loop Header: Depth=1
	s_add_co_i32 m0, s2, -7
	v_movrels_b32_e32 v111, v34
	v_mov_b32_e32 v106, s7
	s_add_co_i32 m0, s2, -6
	s_add_co_i32 s7, s7, 32
	v_movrels_b32_e32 v120, v34
	ds_load_2addr_b32 v[112:113], v106 offset1:1
	ds_load_2addr_b32 v[114:115], v106 offset0:2 offset1:3
	s_add_co_i32 m0, s2, -5
	s_wait_dscnt 0x1
	v_fmac_f32_e32 v110, v111, v112
	ds_load_2addr_b32 v[116:117], v106 offset0:4 offset1:5
	ds_load_2addr_b32 v[118:119], v106 offset0:6 offset1:7
	v_movrels_b32_e32 v106, v34
	s_add_co_i32 m0, s2, -4
	v_fmac_f32_e32 v110, v120, v113
	v_movrels_b32_e32 v111, v34
	s_add_co_i32 m0, s2, -3
	s_wait_dscnt 0x2
	s_delay_alu instid0(VALU_DEP_2) | instskip(SKIP_2) | instid1(VALU_DEP_2)
	v_fmac_f32_e32 v110, v106, v114
	v_movrels_b32_e32 v106, v34
	s_add_co_i32 m0, s2, -2
	v_fmac_f32_e32 v110, v111, v115
	v_movrels_b32_e32 v111, v34
	s_add_co_i32 m0, s2, -1
	s_wait_dscnt 0x1
	s_delay_alu instid0(VALU_DEP_2)
	v_fmac_f32_e32 v110, v106, v116
	v_movrels_b32_e32 v106, v34
	s_mov_b32 m0, s2
	s_add_nc_u64 s[2:3], s[2:3], 8
	v_movrels_b32_e32 v112, v34
	v_dual_fmac_f32 v110, v111, v117 :: v_dual_add_nc_u32 v111, s2, v108
	s_add_co_i32 s8, s2, -7
	s_wait_dscnt 0x0
	s_delay_alu instid0(VALU_DEP_1) | instskip(NEXT) | instid1(VALU_DEP_2)
	v_fmac_f32_e32 v110, v106, v118
	v_cmp_eq_u32_e32 vcc_lo, 22, v111
	s_delay_alu instid0(VALU_DEP_2) | instskip(SKIP_1) | instid1(SALU_CYCLE_1)
	v_dual_mov_b32 v106, s8 :: v_dual_fmac_f32 v110, v112, v119
	s_or_b32 s6, vcc_lo, s6
	s_and_not1_b32 exec_lo, exec_lo, s6
	s_cbranch_execnz .LBB19_57
; %bb.58:
	s_or_b32 exec_lo, exec_lo, s6
.LBB19_59:
	s_delay_alu instid0(SALU_CYCLE_1) | instskip(SKIP_3) | instid1(VALU_DEP_1)
	s_or_b32 exec_lo, exec_lo, s1
	v_and_b32_e32 v54, 7, v107
	s_mov_b32 s2, 0
	s_mov_b32 s1, exec_lo
	v_cmpx_ne_u32_e32 0, v54
	s_cbranch_execz .LBB19_63
; %bb.60:
	v_lshl_add_u32 v55, v106, 2, 0x50
	v_mov_b32_e32 v107, 0
.LBB19_61:                              ; =>This Inner Loop Header: Depth=1
	v_cmp_eq_u32_e32 vcc_lo, 1, v106
	ds_load_b32 v57, v55
	v_dual_add_nc_u32 v54, -1, v54 :: v_dual_add_nc_u32 v55, 4, v55
	v_cndmask_b32_e32 v56, v34, v35, vcc_lo
	v_cmp_eq_u32_e32 vcc_lo, 2, v106
	s_delay_alu instid0(VALU_DEP_2) | instskip(SKIP_1) | instid1(VALU_DEP_2)
	v_cndmask_b32_e32 v56, v56, v36, vcc_lo
	v_cmp_eq_u32_e32 vcc_lo, 3, v106
	v_cndmask_b32_e32 v56, v56, v37, vcc_lo
	v_cmp_eq_u32_e32 vcc_lo, 4, v106
	s_delay_alu instid0(VALU_DEP_2) | instskip(SKIP_1) | instid1(VALU_DEP_2)
	v_cndmask_b32_e32 v56, v56, v38, vcc_lo
	v_cmp_eq_u32_e32 vcc_lo, 5, v106
	;; [unrolled: 5-line block ×8, first 2 shown]
	v_cndmask_b32_e32 v56, v56, v51, vcc_lo
	v_cmp_eq_u32_e32 vcc_lo, 18, v106
	s_delay_alu instid0(VALU_DEP_2) | instskip(SKIP_2) | instid1(VALU_DEP_3)
	v_cndmask_b32_e32 v56, v56, v52, vcc_lo
	v_cmp_eq_u32_e32 vcc_lo, 19, v106
	v_add_nc_u64_e32 v[106:107], 1, v[106:107]
	v_cndmask_b32_e32 v56, v56, v53, vcc_lo
	v_cmp_eq_u32_e32 vcc_lo, 0, v54
	s_wait_dscnt 0x0
	s_delay_alu instid0(VALU_DEP_2) | instskip(SKIP_1) | instid1(SALU_CYCLE_1)
	v_fmac_f32_e32 v110, v56, v57
	s_or_b32 s2, vcc_lo, s2
	s_and_not1_b32 exec_lo, exec_lo, s2
	s_cbranch_execnz .LBB19_61
; %bb.62:
	s_or_b32 exec_lo, exec_lo, s2
.LBB19_63:
	s_delay_alu instid0(SALU_CYCLE_1)
	s_or_b32 exec_lo, exec_lo, s1
.LBB19_64:
	s_delay_alu instid0(SALU_CYCLE_1)
	s_or_b32 exec_lo, exec_lo, s5
	v_mov_b32_e32 v48, 0
	ds_load_b32 v48, v48 offset:56
	s_wait_dscnt 0x0
	v_mul_f32_e32 v48, v110, v48
.LBB19_65:
	s_or_b32 exec_lo, exec_lo, s4
	v_cmp_lt_u32_e64 s1, 13, v0
	ds_store_b32 v109, v47
	s_wait_dscnt 0x0
	s_barrier_signal -1
	s_barrier_wait -1
	s_and_saveexec_b32 s4, s1
	s_cbranch_execz .LBB19_81
; %bb.66:
	s_and_not1_b32 vcc_lo, exec_lo, s24
	s_cbranch_vccnz .LBB19_68
; %bb.67:
	v_cmp_eq_u32_e32 vcc_lo, 1, v0
	ds_load_b32 v107, v109
	v_cndmask_b32_e32 v106, v34, v35, vcc_lo
	v_cmp_eq_u32_e32 vcc_lo, 2, v0
	s_delay_alu instid0(VALU_DEP_2) | instskip(SKIP_1) | instid1(VALU_DEP_2)
	v_cndmask_b32_e32 v106, v106, v36, vcc_lo
	v_cmp_eq_u32_e32 vcc_lo, 3, v0
	v_cndmask_b32_e32 v106, v106, v37, vcc_lo
	v_cmp_eq_u32_e32 vcc_lo, 4, v0
	s_delay_alu instid0(VALU_DEP_2) | instskip(SKIP_1) | instid1(VALU_DEP_2)
	v_cndmask_b32_e32 v106, v106, v38, vcc_lo
	v_cmp_eq_u32_e32 vcc_lo, 5, v0
	v_cndmask_b32_e32 v106, v106, v39, vcc_lo
	v_cmp_eq_u32_e32 vcc_lo, 6, v0
	s_delay_alu instid0(VALU_DEP_2) | instskip(SKIP_1) | instid1(VALU_DEP_2)
	v_cndmask_b32_e32 v106, v106, v40, vcc_lo
	v_cmp_eq_u32_e32 vcc_lo, 7, v0
	v_cndmask_b32_e32 v106, v106, v41, vcc_lo
	v_cmp_eq_u32_e32 vcc_lo, 8, v0
	s_delay_alu instid0(VALU_DEP_2) | instskip(SKIP_1) | instid1(VALU_DEP_2)
	v_cndmask_b32_e32 v106, v106, v42, vcc_lo
	v_cmp_eq_u32_e32 vcc_lo, 9, v0
	v_cndmask_b32_e32 v106, v106, v43, vcc_lo
	v_cmp_eq_u32_e32 vcc_lo, 10, v0
	s_delay_alu instid0(VALU_DEP_2) | instskip(SKIP_1) | instid1(VALU_DEP_2)
	v_cndmask_b32_e32 v106, v106, v44, vcc_lo
	v_cmp_eq_u32_e32 vcc_lo, 11, v0
	v_cndmask_b32_e32 v106, v106, v45, vcc_lo
	v_cmp_eq_u32_e32 vcc_lo, 12, v0
	s_delay_alu instid0(VALU_DEP_2) | instskip(SKIP_1) | instid1(VALU_DEP_2)
	v_cndmask_b32_e32 v106, v106, v46, vcc_lo
	v_cmp_eq_u32_e32 vcc_lo, 13, v0
	v_cndmask_b32_e32 v106, v106, v47, vcc_lo
	v_cmp_eq_u32_e32 vcc_lo, 14, v0
	s_delay_alu instid0(VALU_DEP_2) | instskip(SKIP_1) | instid1(VALU_DEP_2)
	v_cndmask_b32_e32 v106, v106, v48, vcc_lo
	v_cmp_eq_u32_e32 vcc_lo, 15, v0
	v_cndmask_b32_e32 v106, v106, v49, vcc_lo
	v_cmp_eq_u32_e32 vcc_lo, 16, v0
	s_delay_alu instid0(VALU_DEP_2) | instskip(SKIP_1) | instid1(VALU_DEP_2)
	v_cndmask_b32_e32 v106, v106, v50, vcc_lo
	v_cmp_eq_u32_e32 vcc_lo, 17, v0
	v_cndmask_b32_e32 v106, v106, v51, vcc_lo
	v_cmp_eq_u32_e32 vcc_lo, 18, v0
	s_delay_alu instid0(VALU_DEP_2) | instskip(SKIP_1) | instid1(VALU_DEP_2)
	v_cndmask_b32_e32 v106, v106, v52, vcc_lo
	v_cmp_eq_u32_e32 vcc_lo, 19, v0
	v_cndmask_b32_e32 v106, v106, v53, vcc_lo
	s_wait_dscnt 0x0
	s_delay_alu instid0(VALU_DEP_1)
	v_mul_f32_e32 v110, v106, v107
	s_cbranch_execz .LBB19_69
	s_branch .LBB19_70
.LBB19_68:
                                        ; implicit-def: $vgpr110
.LBB19_69:
	ds_load_b32 v110, v109
.LBB19_70:
	s_and_saveexec_b32 s5, s0
	s_cbranch_execz .LBB19_80
; %bb.71:
	v_dual_add_nc_u32 v106, -15, v0 :: v_dual_add_nc_u32 v107, -14, v0
	s_delay_alu instid0(VALU_DEP_1)
	v_cmp_lt_u32_e32 vcc_lo, 6, v106
	v_mov_b32_e32 v106, 14
	s_and_saveexec_b32 s0, vcc_lo
	s_cbranch_execz .LBB19_75
; %bb.72:
	v_and_b32_e32 v106, -8, v107
	s_mov_b32 s6, 0
	s_mov_b64 s[2:3], 21
	s_movk_i32 s7, 0x88
	s_delay_alu instid0(VALU_DEP_1)
	v_sub_nc_u32_e32 v108, 0, v106
.LBB19_73:                              ; =>This Inner Loop Header: Depth=1
	s_add_co_i32 m0, s2, -7
	v_movrels_b32_e32 v111, v34
	v_mov_b32_e32 v106, s7
	s_add_co_i32 m0, s2, -6
	s_add_co_i32 s7, s7, 32
	v_movrels_b32_e32 v120, v34
	s_add_co_i32 m0, s2, -5
	ds_load_2addr_b64 v[112:115], v106 offset1:1
	ds_load_2addr_b64 v[116:119], v106 offset0:2 offset1:3
	v_movrels_b32_e32 v106, v34
	s_add_co_i32 m0, s2, -4
	s_wait_dscnt 0x1
	v_fmac_f32_e32 v110, v111, v112
	v_movrels_b32_e32 v111, v34
	s_add_co_i32 m0, s2, -3
	s_delay_alu instid0(VALU_DEP_2) | instskip(NEXT) | instid1(VALU_DEP_1)
	v_fmac_f32_e32 v110, v120, v113
	v_fmac_f32_e32 v110, v106, v114
	v_movrels_b32_e32 v106, v34
	s_add_co_i32 m0, s2, -2
	s_delay_alu instid0(VALU_DEP_2) | instskip(SKIP_3) | instid1(VALU_DEP_2)
	v_fmac_f32_e32 v110, v111, v115
	v_movrels_b32_e32 v111, v34
	s_add_co_i32 m0, s2, -1
	s_wait_dscnt 0x0
	v_fmac_f32_e32 v110, v106, v116
	v_movrels_b32_e32 v106, v34
	s_mov_b32 m0, s2
	s_add_nc_u64 s[2:3], s[2:3], 8
	v_movrels_b32_e32 v112, v34
	v_dual_fmac_f32 v110, v111, v117 :: v_dual_add_nc_u32 v111, s2, v108
	s_add_co_i32 s8, s2, -7
	s_delay_alu instid0(VALU_DEP_1) | instskip(NEXT) | instid1(VALU_DEP_2)
	v_fmac_f32_e32 v110, v106, v118
	v_cmp_eq_u32_e32 vcc_lo, 21, v111
	s_delay_alu instid0(VALU_DEP_2) | instskip(SKIP_1) | instid1(SALU_CYCLE_1)
	v_dual_mov_b32 v106, s8 :: v_dual_fmac_f32 v110, v112, v119
	s_or_b32 s6, vcc_lo, s6
	s_and_not1_b32 exec_lo, exec_lo, s6
	s_cbranch_execnz .LBB19_73
; %bb.74:
	s_or_b32 exec_lo, exec_lo, s6
.LBB19_75:
	s_delay_alu instid0(SALU_CYCLE_1) | instskip(SKIP_3) | instid1(VALU_DEP_1)
	s_or_b32 exec_lo, exec_lo, s0
	v_and_b32_e32 v54, 7, v107
	s_mov_b32 s2, 0
	s_mov_b32 s0, exec_lo
	v_cmpx_ne_u32_e32 0, v54
	s_cbranch_execz .LBB19_79
; %bb.76:
	v_lshl_add_u32 v55, v106, 2, 0x50
	v_mov_b32_e32 v107, 0
.LBB19_77:                              ; =>This Inner Loop Header: Depth=1
	v_cmp_eq_u32_e32 vcc_lo, 1, v106
	ds_load_b32 v57, v55
	v_dual_add_nc_u32 v54, -1, v54 :: v_dual_add_nc_u32 v55, 4, v55
	v_cndmask_b32_e32 v56, v34, v35, vcc_lo
	v_cmp_eq_u32_e32 vcc_lo, 2, v106
	s_delay_alu instid0(VALU_DEP_2) | instskip(SKIP_1) | instid1(VALU_DEP_2)
	v_cndmask_b32_e32 v56, v56, v36, vcc_lo
	v_cmp_eq_u32_e32 vcc_lo, 3, v106
	v_cndmask_b32_e32 v56, v56, v37, vcc_lo
	v_cmp_eq_u32_e32 vcc_lo, 4, v106
	s_delay_alu instid0(VALU_DEP_2) | instskip(SKIP_1) | instid1(VALU_DEP_2)
	v_cndmask_b32_e32 v56, v56, v38, vcc_lo
	v_cmp_eq_u32_e32 vcc_lo, 5, v106
	;; [unrolled: 5-line block ×8, first 2 shown]
	v_cndmask_b32_e32 v56, v56, v51, vcc_lo
	v_cmp_eq_u32_e32 vcc_lo, 18, v106
	s_delay_alu instid0(VALU_DEP_2) | instskip(SKIP_2) | instid1(VALU_DEP_3)
	v_cndmask_b32_e32 v56, v56, v52, vcc_lo
	v_cmp_eq_u32_e32 vcc_lo, 19, v106
	v_add_nc_u64_e32 v[106:107], 1, v[106:107]
	v_cndmask_b32_e32 v56, v56, v53, vcc_lo
	v_cmp_eq_u32_e32 vcc_lo, 0, v54
	s_wait_dscnt 0x0
	s_delay_alu instid0(VALU_DEP_2) | instskip(SKIP_1) | instid1(SALU_CYCLE_1)
	v_fmac_f32_e32 v110, v56, v57
	s_or_b32 s2, vcc_lo, s2
	s_and_not1_b32 exec_lo, exec_lo, s2
	s_cbranch_execnz .LBB19_77
; %bb.78:
	s_or_b32 exec_lo, exec_lo, s2
.LBB19_79:
	s_delay_alu instid0(SALU_CYCLE_1)
	s_or_b32 exec_lo, exec_lo, s0
.LBB19_80:
	s_delay_alu instid0(SALU_CYCLE_1)
	s_or_b32 exec_lo, exec_lo, s5
	v_mov_b32_e32 v47, 0
	ds_load_b32 v47, v47 offset:52
	s_wait_dscnt 0x0
	v_mul_f32_e32 v47, v110, v47
.LBB19_81:
	s_or_b32 exec_lo, exec_lo, s4
	v_cmp_lt_u32_e64 s0, 12, v0
	ds_store_b32 v109, v46
	s_wait_dscnt 0x0
	s_barrier_signal -1
	s_barrier_wait -1
	s_and_saveexec_b32 s4, s0
	s_cbranch_execz .LBB19_97
; %bb.82:
	s_and_not1_b32 vcc_lo, exec_lo, s24
	s_cbranch_vccnz .LBB19_84
; %bb.83:
	v_cmp_eq_u32_e32 vcc_lo, 1, v0
	ds_load_b32 v107, v109
	v_cndmask_b32_e32 v106, v34, v35, vcc_lo
	v_cmp_eq_u32_e32 vcc_lo, 2, v0
	s_delay_alu instid0(VALU_DEP_2) | instskip(SKIP_1) | instid1(VALU_DEP_2)
	v_cndmask_b32_e32 v106, v106, v36, vcc_lo
	v_cmp_eq_u32_e32 vcc_lo, 3, v0
	v_cndmask_b32_e32 v106, v106, v37, vcc_lo
	v_cmp_eq_u32_e32 vcc_lo, 4, v0
	s_delay_alu instid0(VALU_DEP_2) | instskip(SKIP_1) | instid1(VALU_DEP_2)
	v_cndmask_b32_e32 v106, v106, v38, vcc_lo
	v_cmp_eq_u32_e32 vcc_lo, 5, v0
	;; [unrolled: 5-line block ×9, first 2 shown]
	v_cndmask_b32_e32 v106, v106, v53, vcc_lo
	s_wait_dscnt 0x0
	s_delay_alu instid0(VALU_DEP_1)
	v_mul_f32_e32 v110, v106, v107
	s_cbranch_execz .LBB19_85
	s_branch .LBB19_86
.LBB19_84:
                                        ; implicit-def: $vgpr110
.LBB19_85:
	ds_load_b32 v110, v109
.LBB19_86:
	s_and_saveexec_b32 s5, s1
	s_cbranch_execz .LBB19_96
; %bb.87:
	v_dual_add_nc_u32 v106, -14, v0 :: v_dual_add_nc_u32 v107, -13, v0
	s_delay_alu instid0(VALU_DEP_1)
	v_cmp_lt_u32_e32 vcc_lo, 6, v106
	v_mov_b32_e32 v106, 13
	s_and_saveexec_b32 s1, vcc_lo
	s_cbranch_execz .LBB19_91
; %bb.88:
	v_and_b32_e32 v106, -8, v107
	s_mov_b32 s6, 0
	s_mov_b64 s[2:3], 20
	s_movk_i32 s7, 0x84
	s_delay_alu instid0(VALU_DEP_1)
	v_sub_nc_u32_e32 v108, 0, v106
.LBB19_89:                              ; =>This Inner Loop Header: Depth=1
	s_add_co_i32 m0, s2, -7
	v_movrels_b32_e32 v111, v34
	v_mov_b32_e32 v106, s7
	s_add_co_i32 m0, s2, -6
	s_add_co_i32 s7, s7, 32
	v_movrels_b32_e32 v120, v34
	ds_load_2addr_b32 v[112:113], v106 offset1:1
	ds_load_2addr_b32 v[114:115], v106 offset0:2 offset1:3
	s_add_co_i32 m0, s2, -5
	s_wait_dscnt 0x1
	v_fmac_f32_e32 v110, v111, v112
	ds_load_2addr_b32 v[116:117], v106 offset0:4 offset1:5
	ds_load_2addr_b32 v[118:119], v106 offset0:6 offset1:7
	v_movrels_b32_e32 v106, v34
	s_add_co_i32 m0, s2, -4
	v_fmac_f32_e32 v110, v120, v113
	v_movrels_b32_e32 v111, v34
	s_add_co_i32 m0, s2, -3
	s_wait_dscnt 0x2
	s_delay_alu instid0(VALU_DEP_2) | instskip(SKIP_2) | instid1(VALU_DEP_2)
	v_fmac_f32_e32 v110, v106, v114
	v_movrels_b32_e32 v106, v34
	s_add_co_i32 m0, s2, -2
	v_fmac_f32_e32 v110, v111, v115
	v_movrels_b32_e32 v111, v34
	s_add_co_i32 m0, s2, -1
	s_wait_dscnt 0x1
	s_delay_alu instid0(VALU_DEP_2)
	v_fmac_f32_e32 v110, v106, v116
	v_movrels_b32_e32 v106, v34
	s_mov_b32 m0, s2
	s_add_nc_u64 s[2:3], s[2:3], 8
	v_movrels_b32_e32 v112, v34
	v_dual_fmac_f32 v110, v111, v117 :: v_dual_add_nc_u32 v111, s2, v108
	s_add_co_i32 s8, s2, -7
	s_wait_dscnt 0x0
	s_delay_alu instid0(VALU_DEP_1) | instskip(NEXT) | instid1(VALU_DEP_2)
	v_fmac_f32_e32 v110, v106, v118
	v_cmp_eq_u32_e32 vcc_lo, 20, v111
	s_delay_alu instid0(VALU_DEP_2) | instskip(SKIP_1) | instid1(SALU_CYCLE_1)
	v_dual_mov_b32 v106, s8 :: v_dual_fmac_f32 v110, v112, v119
	s_or_b32 s6, vcc_lo, s6
	s_and_not1_b32 exec_lo, exec_lo, s6
	s_cbranch_execnz .LBB19_89
; %bb.90:
	s_or_b32 exec_lo, exec_lo, s6
.LBB19_91:
	s_delay_alu instid0(SALU_CYCLE_1) | instskip(SKIP_3) | instid1(VALU_DEP_1)
	s_or_b32 exec_lo, exec_lo, s1
	v_and_b32_e32 v54, 7, v107
	s_mov_b32 s2, 0
	s_mov_b32 s1, exec_lo
	v_cmpx_ne_u32_e32 0, v54
	s_cbranch_execz .LBB19_95
; %bb.92:
	v_lshl_add_u32 v55, v106, 2, 0x50
	v_mov_b32_e32 v107, 0
.LBB19_93:                              ; =>This Inner Loop Header: Depth=1
	v_cmp_eq_u32_e32 vcc_lo, 1, v106
	ds_load_b32 v57, v55
	v_dual_add_nc_u32 v54, -1, v54 :: v_dual_add_nc_u32 v55, 4, v55
	v_cndmask_b32_e32 v56, v34, v35, vcc_lo
	v_cmp_eq_u32_e32 vcc_lo, 2, v106
	s_delay_alu instid0(VALU_DEP_2) | instskip(SKIP_1) | instid1(VALU_DEP_2)
	v_cndmask_b32_e32 v56, v56, v36, vcc_lo
	v_cmp_eq_u32_e32 vcc_lo, 3, v106
	v_cndmask_b32_e32 v56, v56, v37, vcc_lo
	v_cmp_eq_u32_e32 vcc_lo, 4, v106
	s_delay_alu instid0(VALU_DEP_2) | instskip(SKIP_1) | instid1(VALU_DEP_2)
	v_cndmask_b32_e32 v56, v56, v38, vcc_lo
	v_cmp_eq_u32_e32 vcc_lo, 5, v106
	;; [unrolled: 5-line block ×8, first 2 shown]
	v_cndmask_b32_e32 v56, v56, v51, vcc_lo
	v_cmp_eq_u32_e32 vcc_lo, 18, v106
	s_delay_alu instid0(VALU_DEP_2) | instskip(SKIP_2) | instid1(VALU_DEP_3)
	v_cndmask_b32_e32 v56, v56, v52, vcc_lo
	v_cmp_eq_u32_e32 vcc_lo, 19, v106
	v_add_nc_u64_e32 v[106:107], 1, v[106:107]
	v_cndmask_b32_e32 v56, v56, v53, vcc_lo
	v_cmp_eq_u32_e32 vcc_lo, 0, v54
	s_wait_dscnt 0x0
	s_delay_alu instid0(VALU_DEP_2) | instskip(SKIP_1) | instid1(SALU_CYCLE_1)
	v_fmac_f32_e32 v110, v56, v57
	s_or_b32 s2, vcc_lo, s2
	s_and_not1_b32 exec_lo, exec_lo, s2
	s_cbranch_execnz .LBB19_93
; %bb.94:
	s_or_b32 exec_lo, exec_lo, s2
.LBB19_95:
	s_delay_alu instid0(SALU_CYCLE_1)
	s_or_b32 exec_lo, exec_lo, s1
.LBB19_96:
	s_delay_alu instid0(SALU_CYCLE_1)
	s_or_b32 exec_lo, exec_lo, s5
	v_mov_b32_e32 v46, 0
	ds_load_b32 v46, v46 offset:48
	s_wait_dscnt 0x0
	v_mul_f32_e32 v46, v110, v46
.LBB19_97:
	s_or_b32 exec_lo, exec_lo, s4
	v_cmp_lt_u32_e64 s1, 11, v0
	ds_store_b32 v109, v45
	s_wait_dscnt 0x0
	s_barrier_signal -1
	s_barrier_wait -1
	s_and_saveexec_b32 s4, s1
	s_cbranch_execz .LBB19_113
; %bb.98:
	s_and_not1_b32 vcc_lo, exec_lo, s24
	s_cbranch_vccnz .LBB19_100
; %bb.99:
	v_cmp_eq_u32_e32 vcc_lo, 1, v0
	ds_load_b32 v107, v109
	v_cndmask_b32_e32 v106, v34, v35, vcc_lo
	v_cmp_eq_u32_e32 vcc_lo, 2, v0
	s_delay_alu instid0(VALU_DEP_2) | instskip(SKIP_1) | instid1(VALU_DEP_2)
	v_cndmask_b32_e32 v106, v106, v36, vcc_lo
	v_cmp_eq_u32_e32 vcc_lo, 3, v0
	v_cndmask_b32_e32 v106, v106, v37, vcc_lo
	v_cmp_eq_u32_e32 vcc_lo, 4, v0
	s_delay_alu instid0(VALU_DEP_2) | instskip(SKIP_1) | instid1(VALU_DEP_2)
	v_cndmask_b32_e32 v106, v106, v38, vcc_lo
	v_cmp_eq_u32_e32 vcc_lo, 5, v0
	;; [unrolled: 5-line block ×9, first 2 shown]
	v_cndmask_b32_e32 v106, v106, v53, vcc_lo
	s_wait_dscnt 0x0
	s_delay_alu instid0(VALU_DEP_1)
	v_mul_f32_e32 v110, v106, v107
	s_cbranch_execz .LBB19_101
	s_branch .LBB19_102
.LBB19_100:
                                        ; implicit-def: $vgpr110
.LBB19_101:
	ds_load_b32 v110, v109
.LBB19_102:
	s_and_saveexec_b32 s5, s0
	s_cbranch_execz .LBB19_112
; %bb.103:
	v_dual_add_nc_u32 v106, -13, v0 :: v_dual_add_nc_u32 v107, -12, v0
	s_delay_alu instid0(VALU_DEP_1)
	v_cmp_lt_u32_e32 vcc_lo, 6, v106
	v_mov_b32_e32 v106, 12
	s_and_saveexec_b32 s0, vcc_lo
	s_cbranch_execz .LBB19_107
; %bb.104:
	v_and_b32_e32 v106, -8, v107
	s_mov_b32 s6, 0
	s_mov_b64 s[2:3], 19
	s_movk_i32 s7, 0x80
	s_delay_alu instid0(VALU_DEP_1)
	v_sub_nc_u32_e32 v108, 0, v106
.LBB19_105:                             ; =>This Inner Loop Header: Depth=1
	s_add_co_i32 m0, s2, -7
	v_movrels_b32_e32 v111, v34
	v_mov_b32_e32 v106, s7
	s_add_co_i32 m0, s2, -6
	s_add_co_i32 s7, s7, 32
	v_movrels_b32_e32 v120, v34
	s_add_co_i32 m0, s2, -5
	ds_load_b128 v[112:115], v106
	ds_load_b128 v[116:119], v106 offset:16
	v_movrels_b32_e32 v106, v34
	s_add_co_i32 m0, s2, -4
	s_wait_dscnt 0x1
	v_fmac_f32_e32 v110, v111, v112
	v_movrels_b32_e32 v111, v34
	s_add_co_i32 m0, s2, -3
	s_delay_alu instid0(VALU_DEP_2) | instskip(NEXT) | instid1(VALU_DEP_1)
	v_fmac_f32_e32 v110, v120, v113
	v_fmac_f32_e32 v110, v106, v114
	v_movrels_b32_e32 v106, v34
	s_add_co_i32 m0, s2, -2
	s_delay_alu instid0(VALU_DEP_2) | instskip(SKIP_3) | instid1(VALU_DEP_2)
	v_fmac_f32_e32 v110, v111, v115
	v_movrels_b32_e32 v111, v34
	s_add_co_i32 m0, s2, -1
	s_wait_dscnt 0x0
	v_fmac_f32_e32 v110, v106, v116
	v_movrels_b32_e32 v106, v34
	s_mov_b32 m0, s2
	s_add_nc_u64 s[2:3], s[2:3], 8
	v_movrels_b32_e32 v112, v34
	v_dual_fmac_f32 v110, v111, v117 :: v_dual_add_nc_u32 v111, s2, v108
	s_add_co_i32 s8, s2, -7
	s_delay_alu instid0(VALU_DEP_1) | instskip(NEXT) | instid1(VALU_DEP_2)
	v_fmac_f32_e32 v110, v106, v118
	v_cmp_eq_u32_e32 vcc_lo, 19, v111
	s_delay_alu instid0(VALU_DEP_2) | instskip(SKIP_1) | instid1(SALU_CYCLE_1)
	v_dual_mov_b32 v106, s8 :: v_dual_fmac_f32 v110, v112, v119
	s_or_b32 s6, vcc_lo, s6
	s_and_not1_b32 exec_lo, exec_lo, s6
	s_cbranch_execnz .LBB19_105
; %bb.106:
	s_or_b32 exec_lo, exec_lo, s6
.LBB19_107:
	s_delay_alu instid0(SALU_CYCLE_1) | instskip(SKIP_3) | instid1(VALU_DEP_1)
	s_or_b32 exec_lo, exec_lo, s0
	v_and_b32_e32 v54, 7, v107
	s_mov_b32 s2, 0
	s_mov_b32 s0, exec_lo
	v_cmpx_ne_u32_e32 0, v54
	s_cbranch_execz .LBB19_111
; %bb.108:
	v_lshl_add_u32 v55, v106, 2, 0x50
	v_mov_b32_e32 v107, 0
.LBB19_109:                             ; =>This Inner Loop Header: Depth=1
	v_cmp_eq_u32_e32 vcc_lo, 1, v106
	ds_load_b32 v57, v55
	v_dual_add_nc_u32 v54, -1, v54 :: v_dual_add_nc_u32 v55, 4, v55
	v_cndmask_b32_e32 v56, v34, v35, vcc_lo
	v_cmp_eq_u32_e32 vcc_lo, 2, v106
	s_delay_alu instid0(VALU_DEP_2) | instskip(SKIP_1) | instid1(VALU_DEP_2)
	v_cndmask_b32_e32 v56, v56, v36, vcc_lo
	v_cmp_eq_u32_e32 vcc_lo, 3, v106
	v_cndmask_b32_e32 v56, v56, v37, vcc_lo
	v_cmp_eq_u32_e32 vcc_lo, 4, v106
	s_delay_alu instid0(VALU_DEP_2) | instskip(SKIP_1) | instid1(VALU_DEP_2)
	v_cndmask_b32_e32 v56, v56, v38, vcc_lo
	v_cmp_eq_u32_e32 vcc_lo, 5, v106
	;; [unrolled: 5-line block ×8, first 2 shown]
	v_cndmask_b32_e32 v56, v56, v51, vcc_lo
	v_cmp_eq_u32_e32 vcc_lo, 18, v106
	s_delay_alu instid0(VALU_DEP_2) | instskip(SKIP_2) | instid1(VALU_DEP_3)
	v_cndmask_b32_e32 v56, v56, v52, vcc_lo
	v_cmp_eq_u32_e32 vcc_lo, 19, v106
	v_add_nc_u64_e32 v[106:107], 1, v[106:107]
	v_cndmask_b32_e32 v56, v56, v53, vcc_lo
	v_cmp_eq_u32_e32 vcc_lo, 0, v54
	s_wait_dscnt 0x0
	s_delay_alu instid0(VALU_DEP_2) | instskip(SKIP_1) | instid1(SALU_CYCLE_1)
	v_fmac_f32_e32 v110, v56, v57
	s_or_b32 s2, vcc_lo, s2
	s_and_not1_b32 exec_lo, exec_lo, s2
	s_cbranch_execnz .LBB19_109
; %bb.110:
	s_or_b32 exec_lo, exec_lo, s2
.LBB19_111:
	s_delay_alu instid0(SALU_CYCLE_1)
	s_or_b32 exec_lo, exec_lo, s0
.LBB19_112:
	s_delay_alu instid0(SALU_CYCLE_1)
	s_or_b32 exec_lo, exec_lo, s5
	v_mov_b32_e32 v45, 0
	ds_load_b32 v45, v45 offset:44
	s_wait_dscnt 0x0
	v_mul_f32_e32 v45, v110, v45
.LBB19_113:
	s_or_b32 exec_lo, exec_lo, s4
	v_cmp_lt_u32_e64 s0, 10, v0
	ds_store_b32 v109, v44
	s_wait_dscnt 0x0
	s_barrier_signal -1
	s_barrier_wait -1
	s_and_saveexec_b32 s4, s0
	s_cbranch_execz .LBB19_129
; %bb.114:
	s_and_not1_b32 vcc_lo, exec_lo, s24
	s_cbranch_vccnz .LBB19_116
; %bb.115:
	v_cmp_eq_u32_e32 vcc_lo, 1, v0
	ds_load_b32 v107, v109
	v_cndmask_b32_e32 v106, v34, v35, vcc_lo
	v_cmp_eq_u32_e32 vcc_lo, 2, v0
	s_delay_alu instid0(VALU_DEP_2) | instskip(SKIP_1) | instid1(VALU_DEP_2)
	v_cndmask_b32_e32 v106, v106, v36, vcc_lo
	v_cmp_eq_u32_e32 vcc_lo, 3, v0
	v_cndmask_b32_e32 v106, v106, v37, vcc_lo
	v_cmp_eq_u32_e32 vcc_lo, 4, v0
	s_delay_alu instid0(VALU_DEP_2) | instskip(SKIP_1) | instid1(VALU_DEP_2)
	v_cndmask_b32_e32 v106, v106, v38, vcc_lo
	v_cmp_eq_u32_e32 vcc_lo, 5, v0
	;; [unrolled: 5-line block ×9, first 2 shown]
	v_cndmask_b32_e32 v106, v106, v53, vcc_lo
	s_wait_dscnt 0x0
	s_delay_alu instid0(VALU_DEP_1)
	v_mul_f32_e32 v110, v106, v107
	s_cbranch_execz .LBB19_117
	s_branch .LBB19_118
.LBB19_116:
                                        ; implicit-def: $vgpr110
.LBB19_117:
	ds_load_b32 v110, v109
.LBB19_118:
	s_and_saveexec_b32 s5, s1
	s_cbranch_execz .LBB19_128
; %bb.119:
	v_dual_add_nc_u32 v106, -12, v0 :: v_dual_add_nc_u32 v107, -11, v0
	s_delay_alu instid0(VALU_DEP_1)
	v_cmp_lt_u32_e32 vcc_lo, 6, v106
	v_mov_b32_e32 v106, 11
	s_and_saveexec_b32 s1, vcc_lo
	s_cbranch_execz .LBB19_123
; %bb.120:
	v_and_b32_e32 v106, -8, v107
	s_mov_b32 s6, 0
	s_mov_b64 s[2:3], 18
	s_movk_i32 s7, 0x7c
	s_delay_alu instid0(VALU_DEP_1)
	v_sub_nc_u32_e32 v108, 0, v106
.LBB19_121:                             ; =>This Inner Loop Header: Depth=1
	s_add_co_i32 m0, s2, -7
	v_movrels_b32_e32 v111, v34
	v_mov_b32_e32 v106, s7
	s_add_co_i32 m0, s2, -6
	s_add_co_i32 s7, s7, 32
	v_movrels_b32_e32 v120, v34
	ds_load_2addr_b32 v[112:113], v106 offset1:1
	ds_load_2addr_b32 v[114:115], v106 offset0:2 offset1:3
	s_add_co_i32 m0, s2, -5
	s_wait_dscnt 0x1
	v_fmac_f32_e32 v110, v111, v112
	ds_load_2addr_b32 v[116:117], v106 offset0:4 offset1:5
	ds_load_2addr_b32 v[118:119], v106 offset0:6 offset1:7
	v_movrels_b32_e32 v106, v34
	s_add_co_i32 m0, s2, -4
	v_fmac_f32_e32 v110, v120, v113
	v_movrels_b32_e32 v111, v34
	s_add_co_i32 m0, s2, -3
	s_wait_dscnt 0x2
	s_delay_alu instid0(VALU_DEP_2) | instskip(SKIP_2) | instid1(VALU_DEP_2)
	v_fmac_f32_e32 v110, v106, v114
	v_movrels_b32_e32 v106, v34
	s_add_co_i32 m0, s2, -2
	v_fmac_f32_e32 v110, v111, v115
	v_movrels_b32_e32 v111, v34
	s_add_co_i32 m0, s2, -1
	s_wait_dscnt 0x1
	s_delay_alu instid0(VALU_DEP_2)
	v_fmac_f32_e32 v110, v106, v116
	v_movrels_b32_e32 v106, v34
	s_mov_b32 m0, s2
	s_add_nc_u64 s[2:3], s[2:3], 8
	v_movrels_b32_e32 v112, v34
	v_dual_fmac_f32 v110, v111, v117 :: v_dual_add_nc_u32 v111, s2, v108
	s_add_co_i32 s8, s2, -7
	s_wait_dscnt 0x0
	s_delay_alu instid0(VALU_DEP_1) | instskip(NEXT) | instid1(VALU_DEP_2)
	v_fmac_f32_e32 v110, v106, v118
	v_cmp_eq_u32_e32 vcc_lo, 18, v111
	s_delay_alu instid0(VALU_DEP_2) | instskip(SKIP_1) | instid1(SALU_CYCLE_1)
	v_dual_mov_b32 v106, s8 :: v_dual_fmac_f32 v110, v112, v119
	s_or_b32 s6, vcc_lo, s6
	s_and_not1_b32 exec_lo, exec_lo, s6
	s_cbranch_execnz .LBB19_121
; %bb.122:
	s_or_b32 exec_lo, exec_lo, s6
.LBB19_123:
	s_delay_alu instid0(SALU_CYCLE_1) | instskip(SKIP_3) | instid1(VALU_DEP_1)
	s_or_b32 exec_lo, exec_lo, s1
	v_and_b32_e32 v54, 7, v107
	s_mov_b32 s2, 0
	s_mov_b32 s1, exec_lo
	v_cmpx_ne_u32_e32 0, v54
	s_cbranch_execz .LBB19_127
; %bb.124:
	v_lshl_add_u32 v55, v106, 2, 0x50
	v_mov_b32_e32 v107, 0
.LBB19_125:                             ; =>This Inner Loop Header: Depth=1
	v_cmp_eq_u32_e32 vcc_lo, 1, v106
	ds_load_b32 v57, v55
	v_dual_add_nc_u32 v54, -1, v54 :: v_dual_add_nc_u32 v55, 4, v55
	v_cndmask_b32_e32 v56, v34, v35, vcc_lo
	v_cmp_eq_u32_e32 vcc_lo, 2, v106
	s_delay_alu instid0(VALU_DEP_2) | instskip(SKIP_1) | instid1(VALU_DEP_2)
	v_cndmask_b32_e32 v56, v56, v36, vcc_lo
	v_cmp_eq_u32_e32 vcc_lo, 3, v106
	v_cndmask_b32_e32 v56, v56, v37, vcc_lo
	v_cmp_eq_u32_e32 vcc_lo, 4, v106
	s_delay_alu instid0(VALU_DEP_2) | instskip(SKIP_1) | instid1(VALU_DEP_2)
	v_cndmask_b32_e32 v56, v56, v38, vcc_lo
	v_cmp_eq_u32_e32 vcc_lo, 5, v106
	;; [unrolled: 5-line block ×8, first 2 shown]
	v_cndmask_b32_e32 v56, v56, v51, vcc_lo
	v_cmp_eq_u32_e32 vcc_lo, 18, v106
	s_delay_alu instid0(VALU_DEP_2) | instskip(SKIP_2) | instid1(VALU_DEP_3)
	v_cndmask_b32_e32 v56, v56, v52, vcc_lo
	v_cmp_eq_u32_e32 vcc_lo, 19, v106
	v_add_nc_u64_e32 v[106:107], 1, v[106:107]
	v_cndmask_b32_e32 v56, v56, v53, vcc_lo
	v_cmp_eq_u32_e32 vcc_lo, 0, v54
	s_wait_dscnt 0x0
	s_delay_alu instid0(VALU_DEP_2) | instskip(SKIP_1) | instid1(SALU_CYCLE_1)
	v_fmac_f32_e32 v110, v56, v57
	s_or_b32 s2, vcc_lo, s2
	s_and_not1_b32 exec_lo, exec_lo, s2
	s_cbranch_execnz .LBB19_125
; %bb.126:
	s_or_b32 exec_lo, exec_lo, s2
.LBB19_127:
	s_delay_alu instid0(SALU_CYCLE_1)
	s_or_b32 exec_lo, exec_lo, s1
.LBB19_128:
	s_delay_alu instid0(SALU_CYCLE_1)
	s_or_b32 exec_lo, exec_lo, s5
	v_mov_b32_e32 v44, 0
	ds_load_b32 v44, v44 offset:40
	s_wait_dscnt 0x0
	v_mul_f32_e32 v44, v110, v44
.LBB19_129:
	s_or_b32 exec_lo, exec_lo, s4
	v_cmp_lt_u32_e64 s1, 9, v0
	ds_store_b32 v109, v43
	s_wait_dscnt 0x0
	s_barrier_signal -1
	s_barrier_wait -1
	s_and_saveexec_b32 s4, s1
	s_cbranch_execz .LBB19_145
; %bb.130:
	s_and_not1_b32 vcc_lo, exec_lo, s24
	s_cbranch_vccnz .LBB19_132
; %bb.131:
	v_cmp_eq_u32_e32 vcc_lo, 1, v0
	ds_load_b32 v107, v109
	v_cndmask_b32_e32 v106, v34, v35, vcc_lo
	v_cmp_eq_u32_e32 vcc_lo, 2, v0
	s_delay_alu instid0(VALU_DEP_2) | instskip(SKIP_1) | instid1(VALU_DEP_2)
	v_cndmask_b32_e32 v106, v106, v36, vcc_lo
	v_cmp_eq_u32_e32 vcc_lo, 3, v0
	v_cndmask_b32_e32 v106, v106, v37, vcc_lo
	v_cmp_eq_u32_e32 vcc_lo, 4, v0
	s_delay_alu instid0(VALU_DEP_2) | instskip(SKIP_1) | instid1(VALU_DEP_2)
	v_cndmask_b32_e32 v106, v106, v38, vcc_lo
	v_cmp_eq_u32_e32 vcc_lo, 5, v0
	;; [unrolled: 5-line block ×9, first 2 shown]
	v_cndmask_b32_e32 v106, v106, v53, vcc_lo
	s_wait_dscnt 0x0
	s_delay_alu instid0(VALU_DEP_1)
	v_mul_f32_e32 v110, v106, v107
	s_cbranch_execz .LBB19_133
	s_branch .LBB19_134
.LBB19_132:
                                        ; implicit-def: $vgpr110
.LBB19_133:
	ds_load_b32 v110, v109
.LBB19_134:
	s_and_saveexec_b32 s5, s0
	s_cbranch_execz .LBB19_144
; %bb.135:
	v_dual_add_nc_u32 v106, -11, v0 :: v_dual_add_nc_u32 v107, -10, v0
	s_delay_alu instid0(VALU_DEP_1)
	v_cmp_lt_u32_e32 vcc_lo, 6, v106
	v_mov_b32_e32 v106, 10
	s_and_saveexec_b32 s0, vcc_lo
	s_cbranch_execz .LBB19_139
; %bb.136:
	v_and_b32_e32 v106, -8, v107
	s_mov_b32 s6, 0
	s_mov_b64 s[2:3], 17
	s_movk_i32 s7, 0x78
	s_delay_alu instid0(VALU_DEP_1)
	v_sub_nc_u32_e32 v108, 0, v106
.LBB19_137:                             ; =>This Inner Loop Header: Depth=1
	s_add_co_i32 m0, s2, -7
	v_movrels_b32_e32 v111, v34
	v_mov_b32_e32 v106, s7
	s_add_co_i32 m0, s2, -6
	s_add_co_i32 s7, s7, 32
	v_movrels_b32_e32 v120, v34
	s_add_co_i32 m0, s2, -5
	ds_load_2addr_b64 v[112:115], v106 offset1:1
	ds_load_2addr_b64 v[116:119], v106 offset0:2 offset1:3
	v_movrels_b32_e32 v106, v34
	s_add_co_i32 m0, s2, -4
	s_wait_dscnt 0x1
	v_fmac_f32_e32 v110, v111, v112
	v_movrels_b32_e32 v111, v34
	s_add_co_i32 m0, s2, -3
	s_delay_alu instid0(VALU_DEP_2) | instskip(NEXT) | instid1(VALU_DEP_1)
	v_fmac_f32_e32 v110, v120, v113
	v_fmac_f32_e32 v110, v106, v114
	v_movrels_b32_e32 v106, v34
	s_add_co_i32 m0, s2, -2
	s_delay_alu instid0(VALU_DEP_2) | instskip(SKIP_3) | instid1(VALU_DEP_2)
	v_fmac_f32_e32 v110, v111, v115
	v_movrels_b32_e32 v111, v34
	s_add_co_i32 m0, s2, -1
	s_wait_dscnt 0x0
	v_fmac_f32_e32 v110, v106, v116
	v_movrels_b32_e32 v106, v34
	s_mov_b32 m0, s2
	s_add_nc_u64 s[2:3], s[2:3], 8
	v_movrels_b32_e32 v112, v34
	v_dual_fmac_f32 v110, v111, v117 :: v_dual_add_nc_u32 v111, s2, v108
	s_add_co_i32 s8, s2, -7
	s_delay_alu instid0(VALU_DEP_1) | instskip(NEXT) | instid1(VALU_DEP_2)
	v_fmac_f32_e32 v110, v106, v118
	v_cmp_eq_u32_e32 vcc_lo, 17, v111
	s_delay_alu instid0(VALU_DEP_2) | instskip(SKIP_1) | instid1(SALU_CYCLE_1)
	v_dual_mov_b32 v106, s8 :: v_dual_fmac_f32 v110, v112, v119
	s_or_b32 s6, vcc_lo, s6
	s_and_not1_b32 exec_lo, exec_lo, s6
	s_cbranch_execnz .LBB19_137
; %bb.138:
	s_or_b32 exec_lo, exec_lo, s6
.LBB19_139:
	s_delay_alu instid0(SALU_CYCLE_1) | instskip(SKIP_3) | instid1(VALU_DEP_1)
	s_or_b32 exec_lo, exec_lo, s0
	v_and_b32_e32 v54, 7, v107
	s_mov_b32 s2, 0
	s_mov_b32 s0, exec_lo
	v_cmpx_ne_u32_e32 0, v54
	s_cbranch_execz .LBB19_143
; %bb.140:
	v_lshl_add_u32 v55, v106, 2, 0x50
	v_mov_b32_e32 v107, 0
.LBB19_141:                             ; =>This Inner Loop Header: Depth=1
	v_cmp_eq_u32_e32 vcc_lo, 1, v106
	ds_load_b32 v57, v55
	v_dual_add_nc_u32 v54, -1, v54 :: v_dual_add_nc_u32 v55, 4, v55
	v_cndmask_b32_e32 v56, v34, v35, vcc_lo
	v_cmp_eq_u32_e32 vcc_lo, 2, v106
	s_delay_alu instid0(VALU_DEP_2) | instskip(SKIP_1) | instid1(VALU_DEP_2)
	v_cndmask_b32_e32 v56, v56, v36, vcc_lo
	v_cmp_eq_u32_e32 vcc_lo, 3, v106
	v_cndmask_b32_e32 v56, v56, v37, vcc_lo
	v_cmp_eq_u32_e32 vcc_lo, 4, v106
	s_delay_alu instid0(VALU_DEP_2) | instskip(SKIP_1) | instid1(VALU_DEP_2)
	v_cndmask_b32_e32 v56, v56, v38, vcc_lo
	v_cmp_eq_u32_e32 vcc_lo, 5, v106
	;; [unrolled: 5-line block ×8, first 2 shown]
	v_cndmask_b32_e32 v56, v56, v51, vcc_lo
	v_cmp_eq_u32_e32 vcc_lo, 18, v106
	s_delay_alu instid0(VALU_DEP_2) | instskip(SKIP_2) | instid1(VALU_DEP_3)
	v_cndmask_b32_e32 v56, v56, v52, vcc_lo
	v_cmp_eq_u32_e32 vcc_lo, 19, v106
	v_add_nc_u64_e32 v[106:107], 1, v[106:107]
	v_cndmask_b32_e32 v56, v56, v53, vcc_lo
	v_cmp_eq_u32_e32 vcc_lo, 0, v54
	s_wait_dscnt 0x0
	s_delay_alu instid0(VALU_DEP_2) | instskip(SKIP_1) | instid1(SALU_CYCLE_1)
	v_fmac_f32_e32 v110, v56, v57
	s_or_b32 s2, vcc_lo, s2
	s_and_not1_b32 exec_lo, exec_lo, s2
	s_cbranch_execnz .LBB19_141
; %bb.142:
	s_or_b32 exec_lo, exec_lo, s2
.LBB19_143:
	s_delay_alu instid0(SALU_CYCLE_1)
	s_or_b32 exec_lo, exec_lo, s0
.LBB19_144:
	s_delay_alu instid0(SALU_CYCLE_1)
	s_or_b32 exec_lo, exec_lo, s5
	v_mov_b32_e32 v43, 0
	ds_load_b32 v43, v43 offset:36
	s_wait_dscnt 0x0
	v_mul_f32_e32 v43, v110, v43
.LBB19_145:
	s_or_b32 exec_lo, exec_lo, s4
	v_cmp_lt_u32_e64 s0, 8, v0
	ds_store_b32 v109, v42
	s_wait_dscnt 0x0
	s_barrier_signal -1
	s_barrier_wait -1
	s_and_saveexec_b32 s4, s0
	s_cbranch_execz .LBB19_161
; %bb.146:
	s_and_not1_b32 vcc_lo, exec_lo, s24
	s_cbranch_vccnz .LBB19_148
; %bb.147:
	v_cmp_eq_u32_e32 vcc_lo, 1, v0
	ds_load_b32 v107, v109
	v_cndmask_b32_e32 v106, v34, v35, vcc_lo
	v_cmp_eq_u32_e32 vcc_lo, 2, v0
	s_delay_alu instid0(VALU_DEP_2) | instskip(SKIP_1) | instid1(VALU_DEP_2)
	v_cndmask_b32_e32 v106, v106, v36, vcc_lo
	v_cmp_eq_u32_e32 vcc_lo, 3, v0
	v_cndmask_b32_e32 v106, v106, v37, vcc_lo
	v_cmp_eq_u32_e32 vcc_lo, 4, v0
	s_delay_alu instid0(VALU_DEP_2) | instskip(SKIP_1) | instid1(VALU_DEP_2)
	v_cndmask_b32_e32 v106, v106, v38, vcc_lo
	v_cmp_eq_u32_e32 vcc_lo, 5, v0
	;; [unrolled: 5-line block ×9, first 2 shown]
	v_cndmask_b32_e32 v106, v106, v53, vcc_lo
	s_wait_dscnt 0x0
	s_delay_alu instid0(VALU_DEP_1)
	v_mul_f32_e32 v110, v106, v107
	s_cbranch_execz .LBB19_149
	s_branch .LBB19_150
.LBB19_148:
                                        ; implicit-def: $vgpr110
.LBB19_149:
	ds_load_b32 v110, v109
.LBB19_150:
	s_and_saveexec_b32 s5, s1
	s_cbranch_execz .LBB19_160
; %bb.151:
	v_dual_add_nc_u32 v106, -10, v0 :: v_dual_add_nc_u32 v107, -9, v0
	s_delay_alu instid0(VALU_DEP_1)
	v_cmp_lt_u32_e32 vcc_lo, 6, v106
	v_mov_b32_e32 v106, 9
	s_and_saveexec_b32 s1, vcc_lo
	s_cbranch_execz .LBB19_155
; %bb.152:
	v_and_b32_e32 v106, -8, v107
	s_mov_b32 s6, 0
	s_mov_b64 s[2:3], 16
	s_movk_i32 s7, 0x74
	s_delay_alu instid0(VALU_DEP_1)
	v_sub_nc_u32_e32 v108, 0, v106
.LBB19_153:                             ; =>This Inner Loop Header: Depth=1
	s_add_co_i32 m0, s2, -7
	v_movrels_b32_e32 v111, v34
	v_mov_b32_e32 v106, s7
	s_add_co_i32 m0, s2, -6
	s_add_co_i32 s7, s7, 32
	v_movrels_b32_e32 v120, v34
	ds_load_2addr_b32 v[112:113], v106 offset1:1
	ds_load_2addr_b32 v[114:115], v106 offset0:2 offset1:3
	s_add_co_i32 m0, s2, -5
	s_wait_dscnt 0x1
	v_fmac_f32_e32 v110, v111, v112
	ds_load_2addr_b32 v[116:117], v106 offset0:4 offset1:5
	ds_load_2addr_b32 v[118:119], v106 offset0:6 offset1:7
	v_movrels_b32_e32 v106, v34
	s_add_co_i32 m0, s2, -4
	v_fmac_f32_e32 v110, v120, v113
	v_movrels_b32_e32 v111, v34
	s_add_co_i32 m0, s2, -3
	s_wait_dscnt 0x2
	s_delay_alu instid0(VALU_DEP_2) | instskip(SKIP_2) | instid1(VALU_DEP_2)
	v_fmac_f32_e32 v110, v106, v114
	v_movrels_b32_e32 v106, v34
	s_add_co_i32 m0, s2, -2
	v_fmac_f32_e32 v110, v111, v115
	v_movrels_b32_e32 v111, v34
	s_add_co_i32 m0, s2, -1
	s_wait_dscnt 0x1
	s_delay_alu instid0(VALU_DEP_2)
	v_fmac_f32_e32 v110, v106, v116
	v_movrels_b32_e32 v106, v34
	s_mov_b32 m0, s2
	s_add_nc_u64 s[2:3], s[2:3], 8
	v_movrels_b32_e32 v112, v34
	v_dual_fmac_f32 v110, v111, v117 :: v_dual_add_nc_u32 v111, s2, v108
	s_add_co_i32 s8, s2, -7
	s_wait_dscnt 0x0
	s_delay_alu instid0(VALU_DEP_1) | instskip(NEXT) | instid1(VALU_DEP_2)
	v_fmac_f32_e32 v110, v106, v118
	v_cmp_eq_u32_e32 vcc_lo, 16, v111
	s_delay_alu instid0(VALU_DEP_2) | instskip(SKIP_1) | instid1(SALU_CYCLE_1)
	v_dual_mov_b32 v106, s8 :: v_dual_fmac_f32 v110, v112, v119
	s_or_b32 s6, vcc_lo, s6
	s_and_not1_b32 exec_lo, exec_lo, s6
	s_cbranch_execnz .LBB19_153
; %bb.154:
	s_or_b32 exec_lo, exec_lo, s6
.LBB19_155:
	s_delay_alu instid0(SALU_CYCLE_1) | instskip(SKIP_3) | instid1(VALU_DEP_1)
	s_or_b32 exec_lo, exec_lo, s1
	v_and_b32_e32 v54, 7, v107
	s_mov_b32 s2, 0
	s_mov_b32 s1, exec_lo
	v_cmpx_ne_u32_e32 0, v54
	s_cbranch_execz .LBB19_159
; %bb.156:
	v_lshl_add_u32 v55, v106, 2, 0x50
	v_mov_b32_e32 v107, 0
.LBB19_157:                             ; =>This Inner Loop Header: Depth=1
	v_cmp_eq_u32_e32 vcc_lo, 1, v106
	ds_load_b32 v57, v55
	v_dual_add_nc_u32 v54, -1, v54 :: v_dual_add_nc_u32 v55, 4, v55
	v_cndmask_b32_e32 v56, v34, v35, vcc_lo
	v_cmp_eq_u32_e32 vcc_lo, 2, v106
	s_delay_alu instid0(VALU_DEP_2) | instskip(SKIP_1) | instid1(VALU_DEP_2)
	v_cndmask_b32_e32 v56, v56, v36, vcc_lo
	v_cmp_eq_u32_e32 vcc_lo, 3, v106
	v_cndmask_b32_e32 v56, v56, v37, vcc_lo
	v_cmp_eq_u32_e32 vcc_lo, 4, v106
	s_delay_alu instid0(VALU_DEP_2) | instskip(SKIP_1) | instid1(VALU_DEP_2)
	v_cndmask_b32_e32 v56, v56, v38, vcc_lo
	v_cmp_eq_u32_e32 vcc_lo, 5, v106
	;; [unrolled: 5-line block ×8, first 2 shown]
	v_cndmask_b32_e32 v56, v56, v51, vcc_lo
	v_cmp_eq_u32_e32 vcc_lo, 18, v106
	s_delay_alu instid0(VALU_DEP_2) | instskip(SKIP_2) | instid1(VALU_DEP_3)
	v_cndmask_b32_e32 v56, v56, v52, vcc_lo
	v_cmp_eq_u32_e32 vcc_lo, 19, v106
	v_add_nc_u64_e32 v[106:107], 1, v[106:107]
	v_cndmask_b32_e32 v56, v56, v53, vcc_lo
	v_cmp_eq_u32_e32 vcc_lo, 0, v54
	s_wait_dscnt 0x0
	s_delay_alu instid0(VALU_DEP_2) | instskip(SKIP_1) | instid1(SALU_CYCLE_1)
	v_fmac_f32_e32 v110, v56, v57
	s_or_b32 s2, vcc_lo, s2
	s_and_not1_b32 exec_lo, exec_lo, s2
	s_cbranch_execnz .LBB19_157
; %bb.158:
	s_or_b32 exec_lo, exec_lo, s2
.LBB19_159:
	s_delay_alu instid0(SALU_CYCLE_1)
	s_or_b32 exec_lo, exec_lo, s1
.LBB19_160:
	s_delay_alu instid0(SALU_CYCLE_1)
	s_or_b32 exec_lo, exec_lo, s5
	v_mov_b32_e32 v42, 0
	ds_load_b32 v42, v42 offset:32
	s_wait_dscnt 0x0
	v_mul_f32_e32 v42, v110, v42
.LBB19_161:
	s_or_b32 exec_lo, exec_lo, s4
	v_cmp_lt_u32_e64 s1, 7, v0
	ds_store_b32 v109, v41
	s_wait_dscnt 0x0
	s_barrier_signal -1
	s_barrier_wait -1
	s_and_saveexec_b32 s4, s1
	s_cbranch_execz .LBB19_177
; %bb.162:
	s_and_not1_b32 vcc_lo, exec_lo, s24
	s_cbranch_vccnz .LBB19_164
; %bb.163:
	v_cmp_eq_u32_e32 vcc_lo, 1, v0
	ds_load_b32 v107, v109
	v_cndmask_b32_e32 v106, v34, v35, vcc_lo
	v_cmp_eq_u32_e32 vcc_lo, 2, v0
	s_delay_alu instid0(VALU_DEP_2) | instskip(SKIP_1) | instid1(VALU_DEP_2)
	v_cndmask_b32_e32 v106, v106, v36, vcc_lo
	v_cmp_eq_u32_e32 vcc_lo, 3, v0
	v_cndmask_b32_e32 v106, v106, v37, vcc_lo
	v_cmp_eq_u32_e32 vcc_lo, 4, v0
	s_delay_alu instid0(VALU_DEP_2) | instskip(SKIP_1) | instid1(VALU_DEP_2)
	v_cndmask_b32_e32 v106, v106, v38, vcc_lo
	v_cmp_eq_u32_e32 vcc_lo, 5, v0
	;; [unrolled: 5-line block ×9, first 2 shown]
	v_cndmask_b32_e32 v106, v106, v53, vcc_lo
	s_wait_dscnt 0x0
	s_delay_alu instid0(VALU_DEP_1)
	v_mul_f32_e32 v110, v106, v107
	s_cbranch_execz .LBB19_165
	s_branch .LBB19_166
.LBB19_164:
                                        ; implicit-def: $vgpr110
.LBB19_165:
	ds_load_b32 v110, v109
.LBB19_166:
	s_and_saveexec_b32 s5, s0
	s_cbranch_execz .LBB19_176
; %bb.167:
	v_add_nc_u32_e32 v106, -9, v0
	s_delay_alu instid0(VALU_DEP_1)
	v_cmp_lt_u32_e32 vcc_lo, 6, v106
	v_mov_b32_e32 v106, 8
	s_and_saveexec_b32 s0, vcc_lo
	s_cbranch_execz .LBB19_171
; %bb.168:
	v_and_b32_e32 v106, 24, v0
	s_mov_b32 s6, 0
	s_mov_b64 s[2:3], 15
	s_movk_i32 s7, 0x70
	s_delay_alu instid0(VALU_DEP_1)
	v_sub_nc_u32_e32 v108, 0, v106
.LBB19_169:                             ; =>This Inner Loop Header: Depth=1
	s_add_co_i32 m0, s2, -7
	v_movrels_b32_e32 v107, v34
	v_mov_b32_e32 v106, s7
	s_add_co_i32 m0, s2, -6
	s_add_co_i32 s7, s7, 32
	v_movrels_b32_e32 v111, v34
	s_add_co_i32 m0, s2, -5
	ds_load_b128 v[112:115], v106
	ds_load_b128 v[116:119], v106 offset:16
	v_movrels_b32_e32 v106, v34
	s_add_co_i32 m0, s2, -4
	s_wait_dscnt 0x1
	v_fmac_f32_e32 v110, v107, v112
	v_movrels_b32_e32 v107, v34
	s_add_co_i32 m0, s2, -3
	s_delay_alu instid0(VALU_DEP_2) | instskip(NEXT) | instid1(VALU_DEP_1)
	v_fmac_f32_e32 v110, v111, v113
	v_fmac_f32_e32 v110, v106, v114
	v_movrels_b32_e32 v106, v34
	s_add_co_i32 m0, s2, -2
	s_delay_alu instid0(VALU_DEP_2) | instskip(SKIP_3) | instid1(VALU_DEP_2)
	v_fmac_f32_e32 v110, v107, v115
	v_movrels_b32_e32 v107, v34
	s_add_co_i32 m0, s2, -1
	s_wait_dscnt 0x0
	v_fmac_f32_e32 v110, v106, v116
	v_movrels_b32_e32 v106, v34
	s_mov_b32 m0, s2
	s_add_nc_u64 s[2:3], s[2:3], 8
	v_movrels_b32_e32 v111, v34
	v_dual_fmac_f32 v110, v107, v117 :: v_dual_add_nc_u32 v107, s2, v108
	s_add_co_i32 s8, s2, -7
	s_delay_alu instid0(VALU_DEP_1) | instskip(NEXT) | instid1(VALU_DEP_2)
	v_fmac_f32_e32 v110, v106, v118
	v_cmp_eq_u32_e32 vcc_lo, 7, v107
	s_delay_alu instid0(VALU_DEP_2) | instskip(SKIP_1) | instid1(SALU_CYCLE_1)
	v_dual_mov_b32 v106, s8 :: v_dual_fmac_f32 v110, v111, v119
	s_or_b32 s6, vcc_lo, s6
	s_and_not1_b32 exec_lo, exec_lo, s6
	s_cbranch_execnz .LBB19_169
; %bb.170:
	s_or_b32 exec_lo, exec_lo, s6
.LBB19_171:
	s_delay_alu instid0(SALU_CYCLE_1) | instskip(SKIP_3) | instid1(VALU_DEP_1)
	s_or_b32 exec_lo, exec_lo, s0
	v_and_b32_e32 v54, 7, v0
	s_mov_b32 s2, 0
	s_mov_b32 s0, exec_lo
	v_cmpx_ne_u32_e32 0, v54
	s_cbranch_execz .LBB19_175
; %bb.172:
	v_lshl_add_u32 v55, v106, 2, 0x50
	v_mov_b32_e32 v107, 0
.LBB19_173:                             ; =>This Inner Loop Header: Depth=1
	v_cmp_eq_u32_e32 vcc_lo, 1, v106
	ds_load_b32 v57, v55
	v_dual_add_nc_u32 v54, -1, v54 :: v_dual_add_nc_u32 v55, 4, v55
	v_cndmask_b32_e32 v56, v34, v35, vcc_lo
	v_cmp_eq_u32_e32 vcc_lo, 2, v106
	s_delay_alu instid0(VALU_DEP_2) | instskip(SKIP_1) | instid1(VALU_DEP_2)
	v_cndmask_b32_e32 v56, v56, v36, vcc_lo
	v_cmp_eq_u32_e32 vcc_lo, 3, v106
	v_cndmask_b32_e32 v56, v56, v37, vcc_lo
	v_cmp_eq_u32_e32 vcc_lo, 4, v106
	s_delay_alu instid0(VALU_DEP_2) | instskip(SKIP_1) | instid1(VALU_DEP_2)
	v_cndmask_b32_e32 v56, v56, v38, vcc_lo
	v_cmp_eq_u32_e32 vcc_lo, 5, v106
	;; [unrolled: 5-line block ×8, first 2 shown]
	v_cndmask_b32_e32 v56, v56, v51, vcc_lo
	v_cmp_eq_u32_e32 vcc_lo, 18, v106
	s_delay_alu instid0(VALU_DEP_2) | instskip(SKIP_2) | instid1(VALU_DEP_3)
	v_cndmask_b32_e32 v56, v56, v52, vcc_lo
	v_cmp_eq_u32_e32 vcc_lo, 19, v106
	v_add_nc_u64_e32 v[106:107], 1, v[106:107]
	v_cndmask_b32_e32 v56, v56, v53, vcc_lo
	v_cmp_eq_u32_e32 vcc_lo, 0, v54
	s_wait_dscnt 0x0
	s_delay_alu instid0(VALU_DEP_2) | instskip(SKIP_1) | instid1(SALU_CYCLE_1)
	v_fmac_f32_e32 v110, v56, v57
	s_or_b32 s2, vcc_lo, s2
	s_and_not1_b32 exec_lo, exec_lo, s2
	s_cbranch_execnz .LBB19_173
; %bb.174:
	s_or_b32 exec_lo, exec_lo, s2
.LBB19_175:
	s_delay_alu instid0(SALU_CYCLE_1)
	s_or_b32 exec_lo, exec_lo, s0
.LBB19_176:
	s_delay_alu instid0(SALU_CYCLE_1)
	s_or_b32 exec_lo, exec_lo, s5
	v_mov_b32_e32 v41, 0
	ds_load_b32 v41, v41 offset:28
	s_wait_dscnt 0x0
	v_mul_f32_e32 v41, v110, v41
.LBB19_177:
	s_or_b32 exec_lo, exec_lo, s4
	v_cmp_lt_u32_e64 s0, 6, v0
	ds_store_b32 v109, v40
	s_wait_dscnt 0x0
	s_barrier_signal -1
	s_barrier_wait -1
	s_and_saveexec_b32 s4, s0
	s_cbranch_execz .LBB19_193
; %bb.178:
	s_and_not1_b32 vcc_lo, exec_lo, s24
	s_cbranch_vccnz .LBB19_180
; %bb.179:
	v_cmp_eq_u32_e32 vcc_lo, 1, v0
	ds_load_b32 v107, v109
	v_cndmask_b32_e32 v106, v34, v35, vcc_lo
	v_cmp_eq_u32_e32 vcc_lo, 2, v0
	s_delay_alu instid0(VALU_DEP_2) | instskip(SKIP_1) | instid1(VALU_DEP_2)
	v_cndmask_b32_e32 v106, v106, v36, vcc_lo
	v_cmp_eq_u32_e32 vcc_lo, 3, v0
	v_cndmask_b32_e32 v106, v106, v37, vcc_lo
	v_cmp_eq_u32_e32 vcc_lo, 4, v0
	s_delay_alu instid0(VALU_DEP_2) | instskip(SKIP_1) | instid1(VALU_DEP_2)
	v_cndmask_b32_e32 v106, v106, v38, vcc_lo
	v_cmp_eq_u32_e32 vcc_lo, 5, v0
	;; [unrolled: 5-line block ×9, first 2 shown]
	v_cndmask_b32_e32 v106, v106, v53, vcc_lo
	s_wait_dscnt 0x0
	s_delay_alu instid0(VALU_DEP_1)
	v_mul_f32_e32 v110, v106, v107
	s_cbranch_execz .LBB19_181
	s_branch .LBB19_182
.LBB19_180:
                                        ; implicit-def: $vgpr110
.LBB19_181:
	ds_load_b32 v110, v109
.LBB19_182:
	s_and_saveexec_b32 s5, s1
	s_cbranch_execz .LBB19_192
; %bb.183:
	v_dual_add_nc_u32 v106, -8, v0 :: v_dual_add_nc_u32 v107, -7, v0
	s_delay_alu instid0(VALU_DEP_1)
	v_cmp_lt_u32_e32 vcc_lo, 6, v106
	v_mov_b32_e32 v106, 7
	s_and_saveexec_b32 s1, vcc_lo
	s_cbranch_execz .LBB19_187
; %bb.184:
	v_and_b32_e32 v106, -8, v107
	s_mov_b32 s6, 0
	s_mov_b64 s[2:3], 14
	s_movk_i32 s7, 0x6c
	s_delay_alu instid0(VALU_DEP_1)
	v_sub_nc_u32_e32 v108, 0, v106
.LBB19_185:                             ; =>This Inner Loop Header: Depth=1
	s_add_co_i32 m0, s2, -7
	v_movrels_b32_e32 v111, v34
	v_mov_b32_e32 v106, s7
	s_add_co_i32 m0, s2, -6
	s_add_co_i32 s7, s7, 32
	v_movrels_b32_e32 v120, v34
	ds_load_2addr_b32 v[112:113], v106 offset1:1
	ds_load_2addr_b32 v[114:115], v106 offset0:2 offset1:3
	s_add_co_i32 m0, s2, -5
	s_wait_dscnt 0x1
	v_fmac_f32_e32 v110, v111, v112
	ds_load_2addr_b32 v[116:117], v106 offset0:4 offset1:5
	ds_load_2addr_b32 v[118:119], v106 offset0:6 offset1:7
	v_movrels_b32_e32 v106, v34
	s_add_co_i32 m0, s2, -4
	v_fmac_f32_e32 v110, v120, v113
	v_movrels_b32_e32 v111, v34
	s_add_co_i32 m0, s2, -3
	s_wait_dscnt 0x2
	s_delay_alu instid0(VALU_DEP_2) | instskip(SKIP_2) | instid1(VALU_DEP_2)
	v_fmac_f32_e32 v110, v106, v114
	v_movrels_b32_e32 v106, v34
	s_add_co_i32 m0, s2, -2
	v_fmac_f32_e32 v110, v111, v115
	v_movrels_b32_e32 v111, v34
	s_add_co_i32 m0, s2, -1
	s_wait_dscnt 0x1
	s_delay_alu instid0(VALU_DEP_2)
	v_fmac_f32_e32 v110, v106, v116
	v_movrels_b32_e32 v106, v34
	s_mov_b32 m0, s2
	s_add_nc_u64 s[2:3], s[2:3], 8
	v_movrels_b32_e32 v112, v34
	v_dual_fmac_f32 v110, v111, v117 :: v_dual_add_nc_u32 v111, s2, v108
	s_add_co_i32 s8, s2, -7
	s_wait_dscnt 0x0
	s_delay_alu instid0(VALU_DEP_1) | instskip(NEXT) | instid1(VALU_DEP_2)
	v_fmac_f32_e32 v110, v106, v118
	v_cmp_eq_u32_e32 vcc_lo, 14, v111
	s_delay_alu instid0(VALU_DEP_2) | instskip(SKIP_1) | instid1(SALU_CYCLE_1)
	v_dual_mov_b32 v106, s8 :: v_dual_fmac_f32 v110, v112, v119
	s_or_b32 s6, vcc_lo, s6
	s_and_not1_b32 exec_lo, exec_lo, s6
	s_cbranch_execnz .LBB19_185
; %bb.186:
	s_or_b32 exec_lo, exec_lo, s6
.LBB19_187:
	s_delay_alu instid0(SALU_CYCLE_1) | instskip(SKIP_3) | instid1(VALU_DEP_1)
	s_or_b32 exec_lo, exec_lo, s1
	v_and_b32_e32 v54, 7, v107
	s_mov_b32 s2, 0
	s_mov_b32 s1, exec_lo
	v_cmpx_ne_u32_e32 0, v54
	s_cbranch_execz .LBB19_191
; %bb.188:
	v_lshl_add_u32 v55, v106, 2, 0x50
	v_mov_b32_e32 v107, 0
.LBB19_189:                             ; =>This Inner Loop Header: Depth=1
	v_cmp_eq_u32_e32 vcc_lo, 1, v106
	ds_load_b32 v57, v55
	v_dual_add_nc_u32 v54, -1, v54 :: v_dual_add_nc_u32 v55, 4, v55
	v_cndmask_b32_e32 v56, v34, v35, vcc_lo
	v_cmp_eq_u32_e32 vcc_lo, 2, v106
	s_delay_alu instid0(VALU_DEP_2) | instskip(SKIP_1) | instid1(VALU_DEP_2)
	v_cndmask_b32_e32 v56, v56, v36, vcc_lo
	v_cmp_eq_u32_e32 vcc_lo, 3, v106
	v_cndmask_b32_e32 v56, v56, v37, vcc_lo
	v_cmp_eq_u32_e32 vcc_lo, 4, v106
	s_delay_alu instid0(VALU_DEP_2) | instskip(SKIP_1) | instid1(VALU_DEP_2)
	v_cndmask_b32_e32 v56, v56, v38, vcc_lo
	v_cmp_eq_u32_e32 vcc_lo, 5, v106
	;; [unrolled: 5-line block ×8, first 2 shown]
	v_cndmask_b32_e32 v56, v56, v51, vcc_lo
	v_cmp_eq_u32_e32 vcc_lo, 18, v106
	s_delay_alu instid0(VALU_DEP_2) | instskip(SKIP_2) | instid1(VALU_DEP_3)
	v_cndmask_b32_e32 v56, v56, v52, vcc_lo
	v_cmp_eq_u32_e32 vcc_lo, 19, v106
	v_add_nc_u64_e32 v[106:107], 1, v[106:107]
	v_cndmask_b32_e32 v56, v56, v53, vcc_lo
	v_cmp_eq_u32_e32 vcc_lo, 0, v54
	s_wait_dscnt 0x0
	s_delay_alu instid0(VALU_DEP_2) | instskip(SKIP_1) | instid1(SALU_CYCLE_1)
	v_fmac_f32_e32 v110, v56, v57
	s_or_b32 s2, vcc_lo, s2
	s_and_not1_b32 exec_lo, exec_lo, s2
	s_cbranch_execnz .LBB19_189
; %bb.190:
	s_or_b32 exec_lo, exec_lo, s2
.LBB19_191:
	s_delay_alu instid0(SALU_CYCLE_1)
	s_or_b32 exec_lo, exec_lo, s1
.LBB19_192:
	s_delay_alu instid0(SALU_CYCLE_1)
	s_or_b32 exec_lo, exec_lo, s5
	v_mov_b32_e32 v40, 0
	ds_load_b32 v40, v40 offset:24
	s_wait_dscnt 0x0
	v_mul_f32_e32 v40, v110, v40
.LBB19_193:
	s_or_b32 exec_lo, exec_lo, s4
	v_cmp_lt_u32_e64 s1, 5, v0
	ds_store_b32 v109, v39
	s_wait_dscnt 0x0
	s_barrier_signal -1
	s_barrier_wait -1
	s_and_saveexec_b32 s4, s1
	s_cbranch_execz .LBB19_209
; %bb.194:
	s_and_not1_b32 vcc_lo, exec_lo, s24
	s_cbranch_vccnz .LBB19_196
; %bb.195:
	v_cmp_eq_u32_e32 vcc_lo, 1, v0
	ds_load_b32 v107, v109
	v_cndmask_b32_e32 v106, v34, v35, vcc_lo
	v_cmp_eq_u32_e32 vcc_lo, 2, v0
	s_delay_alu instid0(VALU_DEP_2) | instskip(SKIP_1) | instid1(VALU_DEP_2)
	v_cndmask_b32_e32 v106, v106, v36, vcc_lo
	v_cmp_eq_u32_e32 vcc_lo, 3, v0
	v_cndmask_b32_e32 v106, v106, v37, vcc_lo
	v_cmp_eq_u32_e32 vcc_lo, 4, v0
	s_delay_alu instid0(VALU_DEP_2) | instskip(SKIP_1) | instid1(VALU_DEP_2)
	v_cndmask_b32_e32 v106, v106, v38, vcc_lo
	v_cmp_eq_u32_e32 vcc_lo, 5, v0
	;; [unrolled: 5-line block ×9, first 2 shown]
	v_cndmask_b32_e32 v106, v106, v53, vcc_lo
	s_wait_dscnt 0x0
	s_delay_alu instid0(VALU_DEP_1)
	v_mul_f32_e32 v110, v106, v107
	s_cbranch_execz .LBB19_197
	s_branch .LBB19_198
.LBB19_196:
                                        ; implicit-def: $vgpr110
.LBB19_197:
	ds_load_b32 v110, v109
.LBB19_198:
	s_and_saveexec_b32 s5, s0
	s_cbranch_execz .LBB19_208
; %bb.199:
	v_dual_add_nc_u32 v108, -7, v0 :: v_dual_add_nc_u32 v107, -6, v0
	v_mov_b32_e32 v106, 6
	s_mov_b32 s0, exec_lo
	s_delay_alu instid0(VALU_DEP_2)
	v_cmpx_lt_u32_e32 6, v108
	s_cbranch_execz .LBB19_203
; %bb.200:
	v_and_b32_e32 v106, -8, v107
	s_mov_b32 s6, 0
	s_mov_b64 s[2:3], 13
	s_movk_i32 s7, 0x68
	s_delay_alu instid0(VALU_DEP_1)
	v_sub_nc_u32_e32 v108, 0, v106
.LBB19_201:                             ; =>This Inner Loop Header: Depth=1
	s_add_co_i32 m0, s2, -7
	v_movrels_b32_e32 v111, v34
	v_mov_b32_e32 v106, s7
	s_add_co_i32 m0, s2, -6
	s_add_co_i32 s7, s7, 32
	v_movrels_b32_e32 v120, v34
	s_add_co_i32 m0, s2, -5
	ds_load_2addr_b64 v[112:115], v106 offset1:1
	ds_load_2addr_b64 v[116:119], v106 offset0:2 offset1:3
	v_movrels_b32_e32 v106, v34
	s_add_co_i32 m0, s2, -4
	s_wait_dscnt 0x1
	v_fmac_f32_e32 v110, v111, v112
	v_movrels_b32_e32 v111, v34
	s_add_co_i32 m0, s2, -3
	s_delay_alu instid0(VALU_DEP_2) | instskip(NEXT) | instid1(VALU_DEP_1)
	v_fmac_f32_e32 v110, v120, v113
	v_fmac_f32_e32 v110, v106, v114
	v_movrels_b32_e32 v106, v34
	s_add_co_i32 m0, s2, -2
	s_delay_alu instid0(VALU_DEP_2) | instskip(SKIP_3) | instid1(VALU_DEP_2)
	v_fmac_f32_e32 v110, v111, v115
	v_movrels_b32_e32 v111, v34
	s_add_co_i32 m0, s2, -1
	s_wait_dscnt 0x0
	v_fmac_f32_e32 v110, v106, v116
	v_movrels_b32_e32 v106, v34
	s_mov_b32 m0, s2
	s_add_nc_u64 s[2:3], s[2:3], 8
	v_movrels_b32_e32 v112, v34
	v_dual_fmac_f32 v110, v111, v117 :: v_dual_add_nc_u32 v111, s2, v108
	s_add_co_i32 s8, s2, -7
	s_delay_alu instid0(VALU_DEP_1) | instskip(NEXT) | instid1(VALU_DEP_2)
	v_fmac_f32_e32 v110, v106, v118
	v_cmp_eq_u32_e32 vcc_lo, 13, v111
	s_delay_alu instid0(VALU_DEP_2) | instskip(SKIP_1) | instid1(SALU_CYCLE_1)
	v_dual_mov_b32 v106, s8 :: v_dual_fmac_f32 v110, v112, v119
	s_or_b32 s6, vcc_lo, s6
	s_and_not1_b32 exec_lo, exec_lo, s6
	s_cbranch_execnz .LBB19_201
; %bb.202:
	s_or_b32 exec_lo, exec_lo, s6
.LBB19_203:
	s_delay_alu instid0(SALU_CYCLE_1) | instskip(SKIP_3) | instid1(VALU_DEP_1)
	s_or_b32 exec_lo, exec_lo, s0
	v_and_b32_e32 v54, 7, v107
	s_mov_b32 s2, 0
	s_mov_b32 s0, exec_lo
	v_cmpx_ne_u32_e32 0, v54
	s_cbranch_execz .LBB19_207
; %bb.204:
	v_lshl_add_u32 v55, v106, 2, 0x50
	v_mov_b32_e32 v107, 0
.LBB19_205:                             ; =>This Inner Loop Header: Depth=1
	v_cmp_eq_u32_e32 vcc_lo, 1, v106
	ds_load_b32 v57, v55
	v_dual_add_nc_u32 v54, -1, v54 :: v_dual_add_nc_u32 v55, 4, v55
	v_cndmask_b32_e32 v56, v34, v35, vcc_lo
	v_cmp_eq_u32_e32 vcc_lo, 2, v106
	s_delay_alu instid0(VALU_DEP_2) | instskip(SKIP_1) | instid1(VALU_DEP_2)
	v_cndmask_b32_e32 v56, v56, v36, vcc_lo
	v_cmp_eq_u32_e32 vcc_lo, 3, v106
	v_cndmask_b32_e32 v56, v56, v37, vcc_lo
	v_cmp_eq_u32_e32 vcc_lo, 4, v106
	s_delay_alu instid0(VALU_DEP_2) | instskip(SKIP_1) | instid1(VALU_DEP_2)
	v_cndmask_b32_e32 v56, v56, v38, vcc_lo
	v_cmp_eq_u32_e32 vcc_lo, 5, v106
	;; [unrolled: 5-line block ×8, first 2 shown]
	v_cndmask_b32_e32 v56, v56, v51, vcc_lo
	v_cmp_eq_u32_e32 vcc_lo, 18, v106
	s_delay_alu instid0(VALU_DEP_2) | instskip(SKIP_2) | instid1(VALU_DEP_3)
	v_cndmask_b32_e32 v56, v56, v52, vcc_lo
	v_cmp_eq_u32_e32 vcc_lo, 19, v106
	v_add_nc_u64_e32 v[106:107], 1, v[106:107]
	v_cndmask_b32_e32 v56, v56, v53, vcc_lo
	v_cmp_eq_u32_e32 vcc_lo, 0, v54
	s_wait_dscnt 0x0
	s_delay_alu instid0(VALU_DEP_2) | instskip(SKIP_1) | instid1(SALU_CYCLE_1)
	v_fmac_f32_e32 v110, v56, v57
	s_or_b32 s2, vcc_lo, s2
	s_and_not1_b32 exec_lo, exec_lo, s2
	s_cbranch_execnz .LBB19_205
; %bb.206:
	s_or_b32 exec_lo, exec_lo, s2
.LBB19_207:
	s_delay_alu instid0(SALU_CYCLE_1)
	s_or_b32 exec_lo, exec_lo, s0
.LBB19_208:
	s_delay_alu instid0(SALU_CYCLE_1)
	s_or_b32 exec_lo, exec_lo, s5
	v_mov_b32_e32 v39, 0
	ds_load_b32 v39, v39 offset:20
	s_wait_dscnt 0x0
	v_mul_f32_e32 v39, v110, v39
.LBB19_209:
	s_or_b32 exec_lo, exec_lo, s4
	v_cmp_lt_u32_e64 s0, 4, v0
	ds_store_b32 v109, v38
	s_wait_dscnt 0x0
	s_barrier_signal -1
	s_barrier_wait -1
	s_and_saveexec_b32 s4, s0
	s_cbranch_execz .LBB19_225
; %bb.210:
	s_and_not1_b32 vcc_lo, exec_lo, s24
	s_cbranch_vccnz .LBB19_212
; %bb.211:
	v_cmp_eq_u32_e32 vcc_lo, 1, v0
	ds_load_b32 v107, v109
	v_cndmask_b32_e32 v106, v34, v35, vcc_lo
	v_cmp_eq_u32_e32 vcc_lo, 2, v0
	s_delay_alu instid0(VALU_DEP_2) | instskip(SKIP_1) | instid1(VALU_DEP_2)
	v_cndmask_b32_e32 v106, v106, v36, vcc_lo
	v_cmp_eq_u32_e32 vcc_lo, 3, v0
	v_cndmask_b32_e32 v106, v106, v37, vcc_lo
	v_cmp_eq_u32_e32 vcc_lo, 4, v0
	s_delay_alu instid0(VALU_DEP_2) | instskip(SKIP_1) | instid1(VALU_DEP_2)
	v_cndmask_b32_e32 v106, v106, v38, vcc_lo
	v_cmp_eq_u32_e32 vcc_lo, 5, v0
	;; [unrolled: 5-line block ×9, first 2 shown]
	v_cndmask_b32_e32 v106, v106, v53, vcc_lo
	s_wait_dscnt 0x0
	s_delay_alu instid0(VALU_DEP_1)
	v_mul_f32_e32 v110, v106, v107
	s_cbranch_execz .LBB19_213
	s_branch .LBB19_214
.LBB19_212:
                                        ; implicit-def: $vgpr110
.LBB19_213:
	ds_load_b32 v110, v109
.LBB19_214:
	s_and_saveexec_b32 s5, s1
	s_cbranch_execz .LBB19_224
; %bb.215:
	v_dual_add_nc_u32 v106, -6, v0 :: v_dual_add_nc_u32 v107, -5, v0
	s_delay_alu instid0(VALU_DEP_1)
	v_cmp_lt_u32_e32 vcc_lo, 6, v106
	v_mov_b32_e32 v106, 5
	s_and_saveexec_b32 s1, vcc_lo
	s_cbranch_execz .LBB19_219
; %bb.216:
	v_and_b32_e32 v106, -8, v107
	s_mov_b32 s6, 0
	s_mov_b64 s[2:3], 12
	s_movk_i32 s7, 0x64
	s_delay_alu instid0(VALU_DEP_1)
	v_sub_nc_u32_e32 v108, 0, v106
.LBB19_217:                             ; =>This Inner Loop Header: Depth=1
	s_add_co_i32 m0, s2, -7
	v_movrels_b32_e32 v111, v34
	v_mov_b32_e32 v106, s7
	s_add_co_i32 m0, s2, -6
	s_add_co_i32 s7, s7, 32
	v_movrels_b32_e32 v120, v34
	ds_load_2addr_b32 v[112:113], v106 offset1:1
	ds_load_2addr_b32 v[114:115], v106 offset0:2 offset1:3
	s_add_co_i32 m0, s2, -5
	s_wait_dscnt 0x1
	v_fmac_f32_e32 v110, v111, v112
	ds_load_2addr_b32 v[116:117], v106 offset0:4 offset1:5
	ds_load_2addr_b32 v[118:119], v106 offset0:6 offset1:7
	v_movrels_b32_e32 v106, v34
	s_add_co_i32 m0, s2, -4
	v_fmac_f32_e32 v110, v120, v113
	v_movrels_b32_e32 v111, v34
	s_add_co_i32 m0, s2, -3
	s_wait_dscnt 0x2
	s_delay_alu instid0(VALU_DEP_2) | instskip(SKIP_2) | instid1(VALU_DEP_2)
	v_fmac_f32_e32 v110, v106, v114
	v_movrels_b32_e32 v106, v34
	s_add_co_i32 m0, s2, -2
	v_fmac_f32_e32 v110, v111, v115
	v_movrels_b32_e32 v111, v34
	s_add_co_i32 m0, s2, -1
	s_wait_dscnt 0x1
	s_delay_alu instid0(VALU_DEP_2)
	v_fmac_f32_e32 v110, v106, v116
	v_movrels_b32_e32 v106, v34
	s_mov_b32 m0, s2
	s_add_nc_u64 s[2:3], s[2:3], 8
	v_movrels_b32_e32 v112, v34
	v_dual_fmac_f32 v110, v111, v117 :: v_dual_add_nc_u32 v111, s2, v108
	s_add_co_i32 s8, s2, -7
	s_wait_dscnt 0x0
	s_delay_alu instid0(VALU_DEP_1) | instskip(NEXT) | instid1(VALU_DEP_2)
	v_fmac_f32_e32 v110, v106, v118
	v_cmp_eq_u32_e32 vcc_lo, 12, v111
	s_delay_alu instid0(VALU_DEP_2) | instskip(SKIP_1) | instid1(SALU_CYCLE_1)
	v_dual_mov_b32 v106, s8 :: v_dual_fmac_f32 v110, v112, v119
	s_or_b32 s6, vcc_lo, s6
	s_and_not1_b32 exec_lo, exec_lo, s6
	s_cbranch_execnz .LBB19_217
; %bb.218:
	s_or_b32 exec_lo, exec_lo, s6
.LBB19_219:
	s_delay_alu instid0(SALU_CYCLE_1) | instskip(SKIP_3) | instid1(VALU_DEP_1)
	s_or_b32 exec_lo, exec_lo, s1
	v_and_b32_e32 v54, 7, v107
	s_mov_b32 s2, 0
	s_mov_b32 s1, exec_lo
	v_cmpx_ne_u32_e32 0, v54
	s_cbranch_execz .LBB19_223
; %bb.220:
	v_lshl_add_u32 v55, v106, 2, 0x50
	v_mov_b32_e32 v107, 0
.LBB19_221:                             ; =>This Inner Loop Header: Depth=1
	v_cmp_eq_u32_e32 vcc_lo, 1, v106
	ds_load_b32 v57, v55
	v_dual_add_nc_u32 v54, -1, v54 :: v_dual_add_nc_u32 v55, 4, v55
	v_cndmask_b32_e32 v56, v34, v35, vcc_lo
	v_cmp_eq_u32_e32 vcc_lo, 2, v106
	s_delay_alu instid0(VALU_DEP_2) | instskip(SKIP_1) | instid1(VALU_DEP_2)
	v_cndmask_b32_e32 v56, v56, v36, vcc_lo
	v_cmp_eq_u32_e32 vcc_lo, 3, v106
	v_cndmask_b32_e32 v56, v56, v37, vcc_lo
	v_cmp_eq_u32_e32 vcc_lo, 4, v106
	s_delay_alu instid0(VALU_DEP_2) | instskip(SKIP_1) | instid1(VALU_DEP_2)
	v_cndmask_b32_e32 v56, v56, v38, vcc_lo
	v_cmp_eq_u32_e32 vcc_lo, 5, v106
	;; [unrolled: 5-line block ×8, first 2 shown]
	v_cndmask_b32_e32 v56, v56, v51, vcc_lo
	v_cmp_eq_u32_e32 vcc_lo, 18, v106
	s_delay_alu instid0(VALU_DEP_2) | instskip(SKIP_2) | instid1(VALU_DEP_3)
	v_cndmask_b32_e32 v56, v56, v52, vcc_lo
	v_cmp_eq_u32_e32 vcc_lo, 19, v106
	v_add_nc_u64_e32 v[106:107], 1, v[106:107]
	v_cndmask_b32_e32 v56, v56, v53, vcc_lo
	v_cmp_eq_u32_e32 vcc_lo, 0, v54
	s_wait_dscnt 0x0
	s_delay_alu instid0(VALU_DEP_2) | instskip(SKIP_1) | instid1(SALU_CYCLE_1)
	v_fmac_f32_e32 v110, v56, v57
	s_or_b32 s2, vcc_lo, s2
	s_and_not1_b32 exec_lo, exec_lo, s2
	s_cbranch_execnz .LBB19_221
; %bb.222:
	s_or_b32 exec_lo, exec_lo, s2
.LBB19_223:
	s_delay_alu instid0(SALU_CYCLE_1)
	s_or_b32 exec_lo, exec_lo, s1
.LBB19_224:
	s_delay_alu instid0(SALU_CYCLE_1)
	s_or_b32 exec_lo, exec_lo, s5
	v_mov_b32_e32 v38, 0
	ds_load_b32 v38, v38 offset:16
	s_wait_dscnt 0x0
	v_mul_f32_e32 v38, v110, v38
.LBB19_225:
	s_or_b32 exec_lo, exec_lo, s4
	v_cmp_lt_u32_e64 s1, 3, v0
	ds_store_b32 v109, v37
	s_wait_dscnt 0x0
	s_barrier_signal -1
	s_barrier_wait -1
	s_and_saveexec_b32 s4, s1
	s_cbranch_execz .LBB19_241
; %bb.226:
	s_and_not1_b32 vcc_lo, exec_lo, s24
	s_cbranch_vccnz .LBB19_228
; %bb.227:
	v_cmp_eq_u32_e32 vcc_lo, 1, v0
	ds_load_b32 v107, v109
	v_cndmask_b32_e32 v106, v34, v35, vcc_lo
	v_cmp_eq_u32_e32 vcc_lo, 2, v0
	s_delay_alu instid0(VALU_DEP_2) | instskip(SKIP_1) | instid1(VALU_DEP_2)
	v_cndmask_b32_e32 v106, v106, v36, vcc_lo
	v_cmp_eq_u32_e32 vcc_lo, 3, v0
	v_cndmask_b32_e32 v106, v106, v37, vcc_lo
	v_cmp_eq_u32_e32 vcc_lo, 4, v0
	s_delay_alu instid0(VALU_DEP_2) | instskip(SKIP_1) | instid1(VALU_DEP_2)
	v_cndmask_b32_e32 v106, v106, v38, vcc_lo
	v_cmp_eq_u32_e32 vcc_lo, 5, v0
	v_cndmask_b32_e32 v106, v106, v39, vcc_lo
	v_cmp_eq_u32_e32 vcc_lo, 6, v0
	s_delay_alu instid0(VALU_DEP_2) | instskip(SKIP_1) | instid1(VALU_DEP_2)
	v_cndmask_b32_e32 v106, v106, v40, vcc_lo
	v_cmp_eq_u32_e32 vcc_lo, 7, v0
	v_cndmask_b32_e32 v106, v106, v41, vcc_lo
	v_cmp_eq_u32_e32 vcc_lo, 8, v0
	s_delay_alu instid0(VALU_DEP_2) | instskip(SKIP_1) | instid1(VALU_DEP_2)
	v_cndmask_b32_e32 v106, v106, v42, vcc_lo
	v_cmp_eq_u32_e32 vcc_lo, 9, v0
	v_cndmask_b32_e32 v106, v106, v43, vcc_lo
	v_cmp_eq_u32_e32 vcc_lo, 10, v0
	s_delay_alu instid0(VALU_DEP_2) | instskip(SKIP_1) | instid1(VALU_DEP_2)
	v_cndmask_b32_e32 v106, v106, v44, vcc_lo
	v_cmp_eq_u32_e32 vcc_lo, 11, v0
	v_cndmask_b32_e32 v106, v106, v45, vcc_lo
	v_cmp_eq_u32_e32 vcc_lo, 12, v0
	s_delay_alu instid0(VALU_DEP_2) | instskip(SKIP_1) | instid1(VALU_DEP_2)
	v_cndmask_b32_e32 v106, v106, v46, vcc_lo
	v_cmp_eq_u32_e32 vcc_lo, 13, v0
	v_cndmask_b32_e32 v106, v106, v47, vcc_lo
	v_cmp_eq_u32_e32 vcc_lo, 14, v0
	s_delay_alu instid0(VALU_DEP_2) | instskip(SKIP_1) | instid1(VALU_DEP_2)
	v_cndmask_b32_e32 v106, v106, v48, vcc_lo
	v_cmp_eq_u32_e32 vcc_lo, 15, v0
	v_cndmask_b32_e32 v106, v106, v49, vcc_lo
	v_cmp_eq_u32_e32 vcc_lo, 16, v0
	s_delay_alu instid0(VALU_DEP_2) | instskip(SKIP_1) | instid1(VALU_DEP_2)
	v_cndmask_b32_e32 v106, v106, v50, vcc_lo
	v_cmp_eq_u32_e32 vcc_lo, 17, v0
	v_cndmask_b32_e32 v106, v106, v51, vcc_lo
	v_cmp_eq_u32_e32 vcc_lo, 18, v0
	s_delay_alu instid0(VALU_DEP_2) | instskip(SKIP_1) | instid1(VALU_DEP_2)
	v_cndmask_b32_e32 v106, v106, v52, vcc_lo
	v_cmp_eq_u32_e32 vcc_lo, 19, v0
	v_cndmask_b32_e32 v106, v106, v53, vcc_lo
	s_wait_dscnt 0x0
	s_delay_alu instid0(VALU_DEP_1)
	v_mul_f32_e32 v110, v106, v107
	s_cbranch_execz .LBB19_229
	s_branch .LBB19_230
.LBB19_228:
                                        ; implicit-def: $vgpr110
.LBB19_229:
	ds_load_b32 v110, v109
.LBB19_230:
	s_and_saveexec_b32 s5, s0
	s_cbranch_execz .LBB19_240
; %bb.231:
	v_dual_add_nc_u32 v106, -5, v0 :: v_dual_add_nc_u32 v107, -4, v0
	s_delay_alu instid0(VALU_DEP_1)
	v_cmp_lt_u32_e32 vcc_lo, 6, v106
	v_mov_b32_e32 v106, 4
	s_and_saveexec_b32 s0, vcc_lo
	s_cbranch_execz .LBB19_235
; %bb.232:
	v_and_b32_e32 v106, -8, v107
	s_mov_b32 s6, 0
	s_mov_b64 s[2:3], 5
	s_movk_i32 s7, 0x60
	s_delay_alu instid0(VALU_DEP_1)
	v_sub_nc_u32_e32 v108, 0, v106
.LBB19_233:                             ; =>This Inner Loop Header: Depth=1
	s_add_co_i32 m0, s2, -1
	v_movrels_b32_e32 v111, v34
	v_mov_b32_e32 v106, s7
	s_mov_b32 m0, s2
	s_add_co_i32 s7, s7, 32
	v_movrels_b32_e32 v120, v34
	s_add_co_i32 m0, s2, 1
	ds_load_b128 v[112:115], v106
	ds_load_b128 v[116:119], v106 offset:16
	v_movrels_b32_e32 v106, v34
	s_add_co_i32 m0, s2, 2
	s_wait_dscnt 0x1
	v_fmac_f32_e32 v110, v111, v112
	v_movrels_b32_e32 v111, v34
	s_add_co_i32 m0, s2, 3
	s_delay_alu instid0(VALU_DEP_2) | instskip(NEXT) | instid1(VALU_DEP_1)
	v_fmac_f32_e32 v110, v120, v113
	v_fmac_f32_e32 v110, v106, v114
	v_movrels_b32_e32 v106, v34
	s_add_co_i32 m0, s2, 4
	s_delay_alu instid0(VALU_DEP_2) | instskip(SKIP_3) | instid1(VALU_DEP_2)
	v_fmac_f32_e32 v110, v111, v115
	v_movrels_b32_e32 v111, v34
	s_add_co_i32 m0, s2, 5
	s_wait_dscnt 0x0
	v_fmac_f32_e32 v110, v106, v116
	v_movrels_b32_e32 v106, v34
	s_add_co_i32 m0, s2, 6
	s_add_nc_u64 s[2:3], s[2:3], 8
	v_movrels_b32_e32 v112, v34
	v_dual_fmac_f32 v110, v111, v117 :: v_dual_add_nc_u32 v111, s2, v108
	s_add_co_i32 s8, s2, -1
	s_delay_alu instid0(VALU_DEP_1) | instskip(NEXT) | instid1(VALU_DEP_2)
	v_fmac_f32_e32 v110, v106, v118
	v_cmp_eq_u32_e32 vcc_lo, 5, v111
	s_delay_alu instid0(VALU_DEP_2) | instskip(SKIP_1) | instid1(SALU_CYCLE_1)
	v_dual_mov_b32 v106, s8 :: v_dual_fmac_f32 v110, v112, v119
	s_or_b32 s6, vcc_lo, s6
	s_and_not1_b32 exec_lo, exec_lo, s6
	s_cbranch_execnz .LBB19_233
; %bb.234:
	s_or_b32 exec_lo, exec_lo, s6
.LBB19_235:
	s_delay_alu instid0(SALU_CYCLE_1) | instskip(SKIP_3) | instid1(VALU_DEP_1)
	s_or_b32 exec_lo, exec_lo, s0
	v_and_b32_e32 v54, 7, v107
	s_mov_b32 s2, 0
	s_mov_b32 s0, exec_lo
	v_cmpx_ne_u32_e32 0, v54
	s_cbranch_execz .LBB19_239
; %bb.236:
	v_lshl_add_u32 v55, v106, 2, 0x50
	v_mov_b32_e32 v107, 0
.LBB19_237:                             ; =>This Inner Loop Header: Depth=1
	v_cmp_eq_u32_e32 vcc_lo, 1, v106
	ds_load_b32 v57, v55
	v_dual_add_nc_u32 v54, -1, v54 :: v_dual_add_nc_u32 v55, 4, v55
	v_cndmask_b32_e32 v56, v34, v35, vcc_lo
	v_cmp_eq_u32_e32 vcc_lo, 2, v106
	s_delay_alu instid0(VALU_DEP_2) | instskip(SKIP_1) | instid1(VALU_DEP_2)
	v_cndmask_b32_e32 v56, v56, v36, vcc_lo
	v_cmp_eq_u32_e32 vcc_lo, 3, v106
	v_cndmask_b32_e32 v56, v56, v37, vcc_lo
	v_cmp_eq_u32_e32 vcc_lo, 4, v106
	s_delay_alu instid0(VALU_DEP_2) | instskip(SKIP_1) | instid1(VALU_DEP_2)
	v_cndmask_b32_e32 v56, v56, v38, vcc_lo
	v_cmp_eq_u32_e32 vcc_lo, 5, v106
	;; [unrolled: 5-line block ×8, first 2 shown]
	v_cndmask_b32_e32 v56, v56, v51, vcc_lo
	v_cmp_eq_u32_e32 vcc_lo, 18, v106
	s_delay_alu instid0(VALU_DEP_2) | instskip(SKIP_2) | instid1(VALU_DEP_3)
	v_cndmask_b32_e32 v56, v56, v52, vcc_lo
	v_cmp_eq_u32_e32 vcc_lo, 19, v106
	v_add_nc_u64_e32 v[106:107], 1, v[106:107]
	v_cndmask_b32_e32 v56, v56, v53, vcc_lo
	v_cmp_eq_u32_e32 vcc_lo, 0, v54
	s_wait_dscnt 0x0
	s_delay_alu instid0(VALU_DEP_2) | instskip(SKIP_1) | instid1(SALU_CYCLE_1)
	v_fmac_f32_e32 v110, v56, v57
	s_or_b32 s2, vcc_lo, s2
	s_and_not1_b32 exec_lo, exec_lo, s2
	s_cbranch_execnz .LBB19_237
; %bb.238:
	s_or_b32 exec_lo, exec_lo, s2
.LBB19_239:
	s_delay_alu instid0(SALU_CYCLE_1)
	s_or_b32 exec_lo, exec_lo, s0
.LBB19_240:
	s_delay_alu instid0(SALU_CYCLE_1)
	s_or_b32 exec_lo, exec_lo, s5
	v_mov_b32_e32 v37, 0
	ds_load_b32 v37, v37 offset:12
	s_wait_dscnt 0x0
	v_mul_f32_e32 v37, v110, v37
.LBB19_241:
	s_or_b32 exec_lo, exec_lo, s4
	v_cmp_lt_u32_e64 s0, 2, v0
	ds_store_b32 v109, v36
	s_wait_dscnt 0x0
	s_barrier_signal -1
	s_barrier_wait -1
	s_and_saveexec_b32 s4, s0
	s_cbranch_execz .LBB19_257
; %bb.242:
	s_and_not1_b32 vcc_lo, exec_lo, s24
	s_cbranch_vccnz .LBB19_244
; %bb.243:
	v_cmp_eq_u32_e32 vcc_lo, 1, v0
	ds_load_b32 v107, v109
	v_cndmask_b32_e32 v106, v34, v35, vcc_lo
	v_cmp_eq_u32_e32 vcc_lo, 2, v0
	s_delay_alu instid0(VALU_DEP_2) | instskip(SKIP_1) | instid1(VALU_DEP_2)
	v_cndmask_b32_e32 v106, v106, v36, vcc_lo
	v_cmp_eq_u32_e32 vcc_lo, 3, v0
	v_cndmask_b32_e32 v106, v106, v37, vcc_lo
	v_cmp_eq_u32_e32 vcc_lo, 4, v0
	s_delay_alu instid0(VALU_DEP_2) | instskip(SKIP_1) | instid1(VALU_DEP_2)
	v_cndmask_b32_e32 v106, v106, v38, vcc_lo
	v_cmp_eq_u32_e32 vcc_lo, 5, v0
	;; [unrolled: 5-line block ×9, first 2 shown]
	v_cndmask_b32_e32 v106, v106, v53, vcc_lo
	s_wait_dscnt 0x0
	s_delay_alu instid0(VALU_DEP_1)
	v_mul_f32_e32 v110, v106, v107
	s_cbranch_execz .LBB19_245
	s_branch .LBB19_246
.LBB19_244:
                                        ; implicit-def: $vgpr110
.LBB19_245:
	ds_load_b32 v110, v109
.LBB19_246:
	s_and_saveexec_b32 s5, s1
	s_cbranch_execz .LBB19_256
; %bb.247:
	v_dual_add_nc_u32 v106, -4, v0 :: v_dual_add_nc_u32 v107, -3, v0
	s_delay_alu instid0(VALU_DEP_1)
	v_cmp_lt_u32_e32 vcc_lo, 6, v106
	v_mov_b32_e32 v106, 3
	s_and_saveexec_b32 s1, vcc_lo
	s_cbranch_execz .LBB19_251
; %bb.248:
	v_and_b32_e32 v106, -8, v107
	s_mov_b32 s6, 0
	s_mov_b64 s[2:3], 10
	s_movk_i32 s7, 0x5c
	s_delay_alu instid0(VALU_DEP_1)
	v_sub_nc_u32_e32 v108, 0, v106
.LBB19_249:                             ; =>This Inner Loop Header: Depth=1
	s_add_co_i32 m0, s2, -7
	v_movrels_b32_e32 v111, v34
	v_mov_b32_e32 v106, s7
	s_add_co_i32 m0, s2, -6
	s_add_co_i32 s7, s7, 32
	v_movrels_b32_e32 v120, v34
	ds_load_2addr_b32 v[112:113], v106 offset1:1
	ds_load_2addr_b32 v[114:115], v106 offset0:2 offset1:3
	s_add_co_i32 m0, s2, -5
	s_wait_dscnt 0x1
	v_fmac_f32_e32 v110, v111, v112
	ds_load_2addr_b32 v[116:117], v106 offset0:4 offset1:5
	ds_load_2addr_b32 v[118:119], v106 offset0:6 offset1:7
	v_movrels_b32_e32 v106, v34
	s_add_co_i32 m0, s2, -4
	v_fmac_f32_e32 v110, v120, v113
	v_movrels_b32_e32 v111, v34
	s_add_co_i32 m0, s2, -3
	s_wait_dscnt 0x2
	s_delay_alu instid0(VALU_DEP_2) | instskip(SKIP_2) | instid1(VALU_DEP_2)
	v_fmac_f32_e32 v110, v106, v114
	v_movrels_b32_e32 v106, v34
	s_add_co_i32 m0, s2, -2
	v_fmac_f32_e32 v110, v111, v115
	v_movrels_b32_e32 v111, v34
	s_add_co_i32 m0, s2, -1
	s_wait_dscnt 0x1
	s_delay_alu instid0(VALU_DEP_2)
	v_fmac_f32_e32 v110, v106, v116
	v_movrels_b32_e32 v106, v34
	s_mov_b32 m0, s2
	s_add_nc_u64 s[2:3], s[2:3], 8
	v_movrels_b32_e32 v112, v34
	v_dual_fmac_f32 v110, v111, v117 :: v_dual_add_nc_u32 v111, s2, v108
	s_add_co_i32 s8, s2, -7
	s_wait_dscnt 0x0
	s_delay_alu instid0(VALU_DEP_1) | instskip(NEXT) | instid1(VALU_DEP_2)
	v_fmac_f32_e32 v110, v106, v118
	v_cmp_eq_u32_e32 vcc_lo, 10, v111
	s_delay_alu instid0(VALU_DEP_2) | instskip(SKIP_1) | instid1(SALU_CYCLE_1)
	v_dual_mov_b32 v106, s8 :: v_dual_fmac_f32 v110, v112, v119
	s_or_b32 s6, vcc_lo, s6
	s_and_not1_b32 exec_lo, exec_lo, s6
	s_cbranch_execnz .LBB19_249
; %bb.250:
	s_or_b32 exec_lo, exec_lo, s6
.LBB19_251:
	s_delay_alu instid0(SALU_CYCLE_1) | instskip(SKIP_3) | instid1(VALU_DEP_1)
	s_or_b32 exec_lo, exec_lo, s1
	v_and_b32_e32 v54, 7, v107
	s_mov_b32 s2, 0
	s_mov_b32 s1, exec_lo
	v_cmpx_ne_u32_e32 0, v54
	s_cbranch_execz .LBB19_255
; %bb.252:
	v_lshl_add_u32 v55, v106, 2, 0x50
	v_mov_b32_e32 v107, 0
.LBB19_253:                             ; =>This Inner Loop Header: Depth=1
	v_cmp_eq_u32_e32 vcc_lo, 1, v106
	ds_load_b32 v57, v55
	v_dual_add_nc_u32 v54, -1, v54 :: v_dual_add_nc_u32 v55, 4, v55
	v_cndmask_b32_e32 v56, v34, v35, vcc_lo
	v_cmp_eq_u32_e32 vcc_lo, 2, v106
	s_delay_alu instid0(VALU_DEP_2) | instskip(SKIP_1) | instid1(VALU_DEP_2)
	v_cndmask_b32_e32 v56, v56, v36, vcc_lo
	v_cmp_eq_u32_e32 vcc_lo, 3, v106
	v_cndmask_b32_e32 v56, v56, v37, vcc_lo
	v_cmp_eq_u32_e32 vcc_lo, 4, v106
	s_delay_alu instid0(VALU_DEP_2) | instskip(SKIP_1) | instid1(VALU_DEP_2)
	v_cndmask_b32_e32 v56, v56, v38, vcc_lo
	v_cmp_eq_u32_e32 vcc_lo, 5, v106
	;; [unrolled: 5-line block ×8, first 2 shown]
	v_cndmask_b32_e32 v56, v56, v51, vcc_lo
	v_cmp_eq_u32_e32 vcc_lo, 18, v106
	s_delay_alu instid0(VALU_DEP_2) | instskip(SKIP_2) | instid1(VALU_DEP_3)
	v_cndmask_b32_e32 v56, v56, v52, vcc_lo
	v_cmp_eq_u32_e32 vcc_lo, 19, v106
	v_add_nc_u64_e32 v[106:107], 1, v[106:107]
	v_cndmask_b32_e32 v56, v56, v53, vcc_lo
	v_cmp_eq_u32_e32 vcc_lo, 0, v54
	s_wait_dscnt 0x0
	s_delay_alu instid0(VALU_DEP_2) | instskip(SKIP_1) | instid1(SALU_CYCLE_1)
	v_fmac_f32_e32 v110, v56, v57
	s_or_b32 s2, vcc_lo, s2
	s_and_not1_b32 exec_lo, exec_lo, s2
	s_cbranch_execnz .LBB19_253
; %bb.254:
	s_or_b32 exec_lo, exec_lo, s2
.LBB19_255:
	s_delay_alu instid0(SALU_CYCLE_1)
	s_or_b32 exec_lo, exec_lo, s1
.LBB19_256:
	s_delay_alu instid0(SALU_CYCLE_1)
	s_or_b32 exec_lo, exec_lo, s5
	v_mov_b32_e32 v36, 0
	ds_load_b32 v36, v36 offset:8
	s_wait_dscnt 0x0
	v_mul_f32_e32 v36, v110, v36
.LBB19_257:
	s_or_b32 exec_lo, exec_lo, s4
	v_cmp_lt_u32_e64 s1, 1, v0
	ds_store_b32 v109, v35
	s_wait_dscnt 0x0
	s_barrier_signal -1
	s_barrier_wait -1
	s_and_saveexec_b32 s4, s1
	s_cbranch_execz .LBB19_273
; %bb.258:
	s_and_not1_b32 vcc_lo, exec_lo, s24
	s_cbranch_vccnz .LBB19_260
; %bb.259:
	v_cmp_eq_u32_e32 vcc_lo, 1, v0
	ds_load_b32 v107, v109
	v_cndmask_b32_e32 v106, v34, v35, vcc_lo
	v_cmp_eq_u32_e32 vcc_lo, 2, v0
	s_delay_alu instid0(VALU_DEP_2) | instskip(SKIP_1) | instid1(VALU_DEP_2)
	v_cndmask_b32_e32 v106, v106, v36, vcc_lo
	v_cmp_eq_u32_e32 vcc_lo, 3, v0
	v_cndmask_b32_e32 v106, v106, v37, vcc_lo
	v_cmp_eq_u32_e32 vcc_lo, 4, v0
	s_delay_alu instid0(VALU_DEP_2) | instskip(SKIP_1) | instid1(VALU_DEP_2)
	v_cndmask_b32_e32 v106, v106, v38, vcc_lo
	v_cmp_eq_u32_e32 vcc_lo, 5, v0
	;; [unrolled: 5-line block ×9, first 2 shown]
	v_cndmask_b32_e32 v106, v106, v53, vcc_lo
	s_wait_dscnt 0x0
	s_delay_alu instid0(VALU_DEP_1)
	v_mul_f32_e32 v110, v106, v107
	s_cbranch_execz .LBB19_261
	s_branch .LBB19_262
.LBB19_260:
                                        ; implicit-def: $vgpr110
.LBB19_261:
	ds_load_b32 v110, v109
.LBB19_262:
	s_and_saveexec_b32 s5, s0
	s_cbranch_execz .LBB19_272
; %bb.263:
	v_dual_add_nc_u32 v106, -3, v0 :: v_dual_add_nc_u32 v107, -2, v0
	s_delay_alu instid0(VALU_DEP_1)
	v_cmp_lt_u32_e32 vcc_lo, 6, v106
	v_mov_b32_e32 v106, 2
	s_and_saveexec_b32 s0, vcc_lo
	s_cbranch_execz .LBB19_267
; %bb.264:
	v_and_b32_e32 v106, -8, v107
	s_mov_b32 s6, 0
	s_mov_b64 s[2:3], 9
	s_movk_i32 s7, 0x58
	s_delay_alu instid0(VALU_DEP_1)
	v_sub_nc_u32_e32 v108, 0, v106
.LBB19_265:                             ; =>This Inner Loop Header: Depth=1
	s_add_co_i32 m0, s2, -7
	v_movrels_b32_e32 v111, v34
	v_mov_b32_e32 v106, s7
	s_add_co_i32 m0, s2, -6
	s_add_co_i32 s7, s7, 32
	v_movrels_b32_e32 v120, v34
	s_add_co_i32 m0, s2, -5
	ds_load_2addr_b64 v[112:115], v106 offset1:1
	ds_load_2addr_b64 v[116:119], v106 offset0:2 offset1:3
	v_movrels_b32_e32 v106, v34
	s_add_co_i32 m0, s2, -4
	s_wait_dscnt 0x1
	v_fmac_f32_e32 v110, v111, v112
	v_movrels_b32_e32 v111, v34
	s_add_co_i32 m0, s2, -3
	s_delay_alu instid0(VALU_DEP_2) | instskip(NEXT) | instid1(VALU_DEP_1)
	v_fmac_f32_e32 v110, v120, v113
	v_fmac_f32_e32 v110, v106, v114
	v_movrels_b32_e32 v106, v34
	s_add_co_i32 m0, s2, -2
	s_delay_alu instid0(VALU_DEP_2) | instskip(SKIP_3) | instid1(VALU_DEP_2)
	v_fmac_f32_e32 v110, v111, v115
	v_movrels_b32_e32 v111, v34
	s_add_co_i32 m0, s2, -1
	s_wait_dscnt 0x0
	v_fmac_f32_e32 v110, v106, v116
	v_movrels_b32_e32 v106, v34
	s_mov_b32 m0, s2
	s_add_nc_u64 s[2:3], s[2:3], 8
	v_movrels_b32_e32 v112, v34
	v_dual_fmac_f32 v110, v111, v117 :: v_dual_add_nc_u32 v111, s2, v108
	s_add_co_i32 s8, s2, -7
	s_delay_alu instid0(VALU_DEP_1) | instskip(NEXT) | instid1(VALU_DEP_2)
	v_fmac_f32_e32 v110, v106, v118
	v_cmp_eq_u32_e32 vcc_lo, 9, v111
	s_delay_alu instid0(VALU_DEP_2) | instskip(SKIP_1) | instid1(SALU_CYCLE_1)
	v_dual_mov_b32 v106, s8 :: v_dual_fmac_f32 v110, v112, v119
	s_or_b32 s6, vcc_lo, s6
	s_and_not1_b32 exec_lo, exec_lo, s6
	s_cbranch_execnz .LBB19_265
; %bb.266:
	s_or_b32 exec_lo, exec_lo, s6
.LBB19_267:
	s_delay_alu instid0(SALU_CYCLE_1) | instskip(SKIP_3) | instid1(VALU_DEP_1)
	s_or_b32 exec_lo, exec_lo, s0
	v_and_b32_e32 v54, 7, v107
	s_mov_b32 s2, 0
	s_mov_b32 s0, exec_lo
	v_cmpx_ne_u32_e32 0, v54
	s_cbranch_execz .LBB19_271
; %bb.268:
	v_lshl_add_u32 v55, v106, 2, 0x50
	v_mov_b32_e32 v107, 0
.LBB19_269:                             ; =>This Inner Loop Header: Depth=1
	v_cmp_eq_u32_e32 vcc_lo, 1, v106
	ds_load_b32 v57, v55
	v_dual_add_nc_u32 v54, -1, v54 :: v_dual_add_nc_u32 v55, 4, v55
	v_cndmask_b32_e32 v56, v34, v35, vcc_lo
	v_cmp_eq_u32_e32 vcc_lo, 2, v106
	s_delay_alu instid0(VALU_DEP_2) | instskip(SKIP_1) | instid1(VALU_DEP_2)
	v_cndmask_b32_e32 v56, v56, v36, vcc_lo
	v_cmp_eq_u32_e32 vcc_lo, 3, v106
	v_cndmask_b32_e32 v56, v56, v37, vcc_lo
	v_cmp_eq_u32_e32 vcc_lo, 4, v106
	s_delay_alu instid0(VALU_DEP_2) | instskip(SKIP_1) | instid1(VALU_DEP_2)
	v_cndmask_b32_e32 v56, v56, v38, vcc_lo
	v_cmp_eq_u32_e32 vcc_lo, 5, v106
	;; [unrolled: 5-line block ×8, first 2 shown]
	v_cndmask_b32_e32 v56, v56, v51, vcc_lo
	v_cmp_eq_u32_e32 vcc_lo, 18, v106
	s_delay_alu instid0(VALU_DEP_2) | instskip(SKIP_2) | instid1(VALU_DEP_3)
	v_cndmask_b32_e32 v56, v56, v52, vcc_lo
	v_cmp_eq_u32_e32 vcc_lo, 19, v106
	v_add_nc_u64_e32 v[106:107], 1, v[106:107]
	v_cndmask_b32_e32 v56, v56, v53, vcc_lo
	v_cmp_eq_u32_e32 vcc_lo, 0, v54
	s_wait_dscnt 0x0
	s_delay_alu instid0(VALU_DEP_2) | instskip(SKIP_1) | instid1(SALU_CYCLE_1)
	v_fmac_f32_e32 v110, v56, v57
	s_or_b32 s2, vcc_lo, s2
	s_and_not1_b32 exec_lo, exec_lo, s2
	s_cbranch_execnz .LBB19_269
; %bb.270:
	s_or_b32 exec_lo, exec_lo, s2
.LBB19_271:
	s_delay_alu instid0(SALU_CYCLE_1)
	s_or_b32 exec_lo, exec_lo, s0
.LBB19_272:
	s_delay_alu instid0(SALU_CYCLE_1)
	s_or_b32 exec_lo, exec_lo, s5
	v_mov_b32_e32 v35, 0
	ds_load_b32 v35, v35 offset:4
	s_wait_dscnt 0x0
	v_mul_f32_e32 v35, v110, v35
.LBB19_273:
	s_or_b32 exec_lo, exec_lo, s4
	s_mov_b32 s2, 0
	s_mov_b32 s3, exec_lo
	ds_store_b32 v109, v34
	s_wait_dscnt 0x0
	s_barrier_signal -1
	s_barrier_wait -1
	v_cmpx_ne_u32_e32 0, v0
	s_cbranch_execz .LBB19_289
; %bb.274:
	s_and_not1_b32 vcc_lo, exec_lo, s24
	s_cbranch_vccnz .LBB19_276
; %bb.275:
	v_cmp_eq_u32_e32 vcc_lo, 1, v0
	ds_load_b32 v107, v109
	v_cndmask_b32_e32 v106, v34, v35, vcc_lo
	v_cmp_eq_u32_e32 vcc_lo, 2, v0
	s_delay_alu instid0(VALU_DEP_2) | instskip(SKIP_1) | instid1(VALU_DEP_2)
	v_cndmask_b32_e32 v106, v106, v36, vcc_lo
	v_cmp_eq_u32_e32 vcc_lo, 3, v0
	v_cndmask_b32_e32 v106, v106, v37, vcc_lo
	v_cmp_eq_u32_e32 vcc_lo, 4, v0
	s_delay_alu instid0(VALU_DEP_2) | instskip(SKIP_1) | instid1(VALU_DEP_2)
	v_cndmask_b32_e32 v106, v106, v38, vcc_lo
	v_cmp_eq_u32_e32 vcc_lo, 5, v0
	;; [unrolled: 5-line block ×9, first 2 shown]
	v_cndmask_b32_e32 v106, v106, v53, vcc_lo
	s_wait_dscnt 0x0
	s_delay_alu instid0(VALU_DEP_1)
	v_mul_f32_e32 v110, v106, v107
	s_cbranch_execz .LBB19_277
	s_branch .LBB19_278
.LBB19_276:
                                        ; implicit-def: $vgpr110
.LBB19_277:
	ds_load_b32 v110, v109
.LBB19_278:
	s_and_saveexec_b32 s4, s1
	s_cbranch_execz .LBB19_288
; %bb.279:
	v_dual_add_nc_u32 v106, -2, v0 :: v_dual_add_nc_u32 v107, -1, v0
	s_delay_alu instid0(VALU_DEP_1)
	v_cmp_lt_u32_e32 vcc_lo, 6, v106
	v_mov_b32_e32 v106, 1
	s_and_saveexec_b32 s5, vcc_lo
	s_cbranch_execz .LBB19_283
; %bb.280:
	v_and_b32_e32 v106, -8, v107
	s_mov_b32 s6, 0
	s_mov_b64 s[0:1], 8
	s_movk_i32 s7, 0x54
	s_delay_alu instid0(VALU_DEP_1)
	v_sub_nc_u32_e32 v108, 0, v106
.LBB19_281:                             ; =>This Inner Loop Header: Depth=1
	s_add_co_i32 m0, s0, -7
	v_movrels_b32_e32 v111, v34
	v_mov_b32_e32 v106, s7
	s_add_co_i32 m0, s0, -6
	s_add_co_i32 s7, s7, 32
	v_movrels_b32_e32 v120, v34
	ds_load_2addr_b32 v[112:113], v106 offset1:1
	ds_load_2addr_b32 v[114:115], v106 offset0:2 offset1:3
	s_add_co_i32 m0, s0, -5
	s_wait_dscnt 0x1
	v_fmac_f32_e32 v110, v111, v112
	ds_load_2addr_b32 v[116:117], v106 offset0:4 offset1:5
	ds_load_2addr_b32 v[118:119], v106 offset0:6 offset1:7
	v_movrels_b32_e32 v106, v34
	s_add_co_i32 m0, s0, -4
	v_fmac_f32_e32 v110, v120, v113
	v_movrels_b32_e32 v111, v34
	s_add_co_i32 m0, s0, -3
	s_wait_dscnt 0x2
	s_delay_alu instid0(VALU_DEP_2) | instskip(SKIP_2) | instid1(VALU_DEP_2)
	v_fmac_f32_e32 v110, v106, v114
	v_movrels_b32_e32 v106, v34
	s_add_co_i32 m0, s0, -2
	v_fmac_f32_e32 v110, v111, v115
	v_movrels_b32_e32 v111, v34
	s_add_co_i32 m0, s0, -1
	s_wait_dscnt 0x1
	s_delay_alu instid0(VALU_DEP_2)
	v_fmac_f32_e32 v110, v106, v116
	v_movrels_b32_e32 v106, v34
	s_mov_b32 m0, s0
	s_add_nc_u64 s[0:1], s[0:1], 8
	v_movrels_b32_e32 v112, v34
	v_dual_fmac_f32 v110, v111, v117 :: v_dual_add_nc_u32 v111, s0, v108
	s_add_co_i32 s8, s0, -7
	s_wait_dscnt 0x0
	s_delay_alu instid0(VALU_DEP_1) | instskip(NEXT) | instid1(VALU_DEP_2)
	v_fmac_f32_e32 v110, v106, v118
	v_cmp_eq_u32_e32 vcc_lo, 8, v111
	s_delay_alu instid0(VALU_DEP_2) | instskip(SKIP_1) | instid1(SALU_CYCLE_1)
	v_dual_mov_b32 v106, s8 :: v_dual_fmac_f32 v110, v112, v119
	s_or_b32 s6, vcc_lo, s6
	s_and_not1_b32 exec_lo, exec_lo, s6
	s_cbranch_execnz .LBB19_281
; %bb.282:
	s_or_b32 exec_lo, exec_lo, s6
.LBB19_283:
	s_delay_alu instid0(SALU_CYCLE_1) | instskip(SKIP_3) | instid1(VALU_DEP_1)
	s_or_b32 exec_lo, exec_lo, s5
	v_and_b32_e32 v54, 7, v107
	s_mov_b32 s1, 0
	s_mov_b32 s0, exec_lo
	v_cmpx_ne_u32_e32 0, v54
	s_cbranch_execz .LBB19_287
; %bb.284:
	v_lshl_add_u32 v55, v106, 2, 0x50
	v_mov_b32_e32 v107, 0
.LBB19_285:                             ; =>This Inner Loop Header: Depth=1
	v_cmp_eq_u32_e32 vcc_lo, 1, v106
	ds_load_b32 v57, v55
	v_dual_add_nc_u32 v54, -1, v54 :: v_dual_add_nc_u32 v55, 4, v55
	v_cndmask_b32_e32 v56, v34, v35, vcc_lo
	v_cmp_eq_u32_e32 vcc_lo, 2, v106
	s_delay_alu instid0(VALU_DEP_2) | instskip(SKIP_1) | instid1(VALU_DEP_2)
	v_cndmask_b32_e32 v56, v56, v36, vcc_lo
	v_cmp_eq_u32_e32 vcc_lo, 3, v106
	v_cndmask_b32_e32 v56, v56, v37, vcc_lo
	v_cmp_eq_u32_e32 vcc_lo, 4, v106
	s_delay_alu instid0(VALU_DEP_2) | instskip(SKIP_1) | instid1(VALU_DEP_2)
	v_cndmask_b32_e32 v56, v56, v38, vcc_lo
	v_cmp_eq_u32_e32 vcc_lo, 5, v106
	;; [unrolled: 5-line block ×8, first 2 shown]
	v_cndmask_b32_e32 v56, v56, v51, vcc_lo
	v_cmp_eq_u32_e32 vcc_lo, 18, v106
	s_delay_alu instid0(VALU_DEP_2) | instskip(SKIP_2) | instid1(VALU_DEP_3)
	v_cndmask_b32_e32 v56, v56, v52, vcc_lo
	v_cmp_eq_u32_e32 vcc_lo, 19, v106
	v_add_nc_u64_e32 v[106:107], 1, v[106:107]
	v_cndmask_b32_e32 v56, v56, v53, vcc_lo
	v_cmp_eq_u32_e32 vcc_lo, 0, v54
	s_wait_dscnt 0x0
	s_delay_alu instid0(VALU_DEP_2) | instskip(SKIP_1) | instid1(SALU_CYCLE_1)
	v_fmac_f32_e32 v110, v56, v57
	s_or_b32 s1, vcc_lo, s1
	s_and_not1_b32 exec_lo, exec_lo, s1
	s_cbranch_execnz .LBB19_285
; %bb.286:
	s_or_b32 exec_lo, exec_lo, s1
.LBB19_287:
	s_delay_alu instid0(SALU_CYCLE_1)
	s_or_b32 exec_lo, exec_lo, s0
.LBB19_288:
	s_delay_alu instid0(SALU_CYCLE_1)
	s_or_b32 exec_lo, exec_lo, s4
	v_mov_b32_e32 v34, 0
	ds_load_b32 v34, v34
	s_wait_dscnt 0x0
	v_mul_f32_e32 v34, v110, v34
.LBB19_289:
	s_or_b32 exec_lo, exec_lo, s3
	s_delay_alu instid0(SALU_CYCLE_1)
	s_and_b32 vcc_lo, exec_lo, s2
	s_cbranch_vccz .LBB19_483
.LBB19_290:
	v_cmp_eq_u32_e64 s0, 0, v0
	s_wait_loadcnt 0x13
	ds_store_b32 v109, v3
	s_wait_loadcnt_dscnt 0x0
	s_barrier_signal -1
	s_barrier_wait -1
	s_and_saveexec_b32 s1, s0
	s_cbranch_execz .LBB19_296
; %bb.291:
	s_and_b32 vcc_lo, exec_lo, s24
	s_cbranch_vccz .LBB19_293
; %bb.292:
	v_cmp_eq_u32_e32 vcc_lo, 1, v0
	ds_load_b32 v22, v109
	v_cndmask_b32_e32 v3, v2, v3, vcc_lo
	v_cmp_eq_u32_e32 vcc_lo, 2, v0
	s_delay_alu instid0(VALU_DEP_2) | instskip(SKIP_1) | instid1(VALU_DEP_2)
	v_cndmask_b32_e32 v3, v3, v4, vcc_lo
	v_cmp_eq_u32_e32 vcc_lo, 3, v0
	v_cndmask_b32_e32 v3, v3, v5, vcc_lo
	v_cmp_eq_u32_e32 vcc_lo, 4, v0
	s_delay_alu instid0(VALU_DEP_2) | instskip(SKIP_1) | instid1(VALU_DEP_2)
	v_cndmask_b32_e32 v3, v3, v6, vcc_lo
	v_cmp_eq_u32_e32 vcc_lo, 5, v0
	;; [unrolled: 5-line block ×9, first 2 shown]
	v_cndmask_b32_e32 v3, v3, v21, vcc_lo
	s_wait_dscnt 0x0
	s_delay_alu instid0(VALU_DEP_1)
	v_mul_f32_e32 v3, v3, v22
	s_cbranch_execz .LBB19_294
	s_branch .LBB19_295
.LBB19_293:
                                        ; implicit-def: $vgpr3
.LBB19_294:
	ds_load_b32 v3, v109
.LBB19_295:
	v_mov_b32_e32 v22, 0
	ds_load_b32 v22, v22 offset:4
	s_wait_dscnt 0x0
	v_mul_f32_e32 v3, v3, v22
.LBB19_296:
	s_or_b32 exec_lo, exec_lo, s1
	v_cndmask_b32_e64 v34, 0, 1, s24
	s_mov_b32 s1, exec_lo
	ds_store_b32 v109, v4
	s_wait_dscnt 0x0
	s_barrier_signal -1
	s_barrier_wait -1
	v_cmpx_gt_u32_e32 2, v0
	s_cbranch_execz .LBB19_302
; %bb.297:
	s_and_not1_b32 vcc_lo, exec_lo, s24
	s_cbranch_vccnz .LBB19_299
; %bb.298:
	v_cmp_eq_u32_e32 vcc_lo, 1, v0
	v_cndmask_b32_e32 v22, v2, v3, vcc_lo
	v_cmp_eq_u32_e32 vcc_lo, 2, v0
	s_delay_alu instid0(VALU_DEP_2) | instskip(SKIP_4) | instid1(VALU_DEP_2)
	v_cndmask_b32_e32 v4, v22, v4, vcc_lo
	v_cmp_eq_u32_e32 vcc_lo, 3, v0
	ds_load_b32 v22, v109
	v_cndmask_b32_e32 v4, v4, v5, vcc_lo
	v_cmp_eq_u32_e32 vcc_lo, 4, v0
	v_cndmask_b32_e32 v4, v4, v6, vcc_lo
	v_cmp_eq_u32_e32 vcc_lo, 5, v0
	s_delay_alu instid0(VALU_DEP_2) | instskip(SKIP_1) | instid1(VALU_DEP_2)
	v_cndmask_b32_e32 v4, v4, v7, vcc_lo
	v_cmp_eq_u32_e32 vcc_lo, 6, v0
	v_cndmask_b32_e32 v4, v4, v8, vcc_lo
	v_cmp_eq_u32_e32 vcc_lo, 7, v0
	s_delay_alu instid0(VALU_DEP_2) | instskip(SKIP_1) | instid1(VALU_DEP_2)
	;; [unrolled: 5-line block ×7, first 2 shown]
	v_cndmask_b32_e32 v4, v4, v19, vcc_lo
	v_cmp_eq_u32_e32 vcc_lo, 18, v0
	v_cndmask_b32_e32 v4, v4, v20, vcc_lo
	v_cmp_eq_u32_e32 vcc_lo, 19, v0
	s_delay_alu instid0(VALU_DEP_2) | instskip(SKIP_1) | instid1(VALU_DEP_1)
	v_cndmask_b32_e32 v4, v4, v21, vcc_lo
	s_wait_dscnt 0x0
	v_mul_f32_e32 v4, v4, v22
	s_cbranch_execz .LBB19_300
	s_branch .LBB19_301
.LBB19_299:
                                        ; implicit-def: $vgpr4
.LBB19_300:
	ds_load_b32 v4, v109
.LBB19_301:
	v_mov_b32_e32 v22, 0
	ds_load_2addr_b32 v[22:23], v22 offset0:2 offset1:21
	s_wait_dscnt 0x0
	v_fma_f32 v23, v3, v23, v4
	s_delay_alu instid0(VALU_DEP_1) | instskip(NEXT) | instid1(VALU_DEP_1)
	v_cndmask_b32_e64 v4, v4, v23, s0
	v_mul_f32_e32 v4, v4, v22
.LBB19_302:
	s_or_b32 exec_lo, exec_lo, s1
	v_add_nc_u32_e32 v35, 1, v0
	v_cmp_gt_u32_e64 s1, 3, v0
	ds_store_b32 v109, v5
	s_wait_dscnt 0x0
	s_barrier_signal -1
	s_barrier_wait -1
	s_and_saveexec_b32 s2, s1
	s_cbranch_execz .LBB19_310
; %bb.303:
	v_cmp_ne_u32_e32 vcc_lo, 1, v34
	s_cbranch_vccnz .LBB19_305
; %bb.304:
	v_cmp_eq_u32_e32 vcc_lo, 1, v0
	ds_load_b32 v23, v109
	v_cndmask_b32_e32 v22, v2, v3, vcc_lo
	v_cmp_eq_u32_e32 vcc_lo, 2, v0
	s_delay_alu instid0(VALU_DEP_2) | instskip(SKIP_1) | instid1(VALU_DEP_2)
	v_cndmask_b32_e32 v22, v22, v4, vcc_lo
	v_cmp_eq_u32_e32 vcc_lo, 3, v0
	v_cndmask_b32_e32 v22, v22, v5, vcc_lo
	v_cmp_eq_u32_e32 vcc_lo, 4, v0
	s_delay_alu instid0(VALU_DEP_2) | instskip(SKIP_1) | instid1(VALU_DEP_2)
	v_cndmask_b32_e32 v22, v22, v6, vcc_lo
	v_cmp_eq_u32_e32 vcc_lo, 5, v0
	v_cndmask_b32_e32 v22, v22, v7, vcc_lo
	v_cmp_eq_u32_e32 vcc_lo, 6, v0
	s_delay_alu instid0(VALU_DEP_2) | instskip(SKIP_1) | instid1(VALU_DEP_2)
	v_cndmask_b32_e32 v22, v22, v8, vcc_lo
	v_cmp_eq_u32_e32 vcc_lo, 7, v0
	v_cndmask_b32_e32 v22, v22, v9, vcc_lo
	v_cmp_eq_u32_e32 vcc_lo, 8, v0
	s_delay_alu instid0(VALU_DEP_2) | instskip(SKIP_1) | instid1(VALU_DEP_2)
	v_cndmask_b32_e32 v22, v22, v10, vcc_lo
	v_cmp_eq_u32_e32 vcc_lo, 9, v0
	v_cndmask_b32_e32 v22, v22, v11, vcc_lo
	v_cmp_eq_u32_e32 vcc_lo, 10, v0
	s_delay_alu instid0(VALU_DEP_2) | instskip(SKIP_1) | instid1(VALU_DEP_2)
	v_cndmask_b32_e32 v22, v22, v12, vcc_lo
	v_cmp_eq_u32_e32 vcc_lo, 11, v0
	v_cndmask_b32_e32 v22, v22, v13, vcc_lo
	v_cmp_eq_u32_e32 vcc_lo, 12, v0
	s_delay_alu instid0(VALU_DEP_2) | instskip(SKIP_1) | instid1(VALU_DEP_2)
	v_cndmask_b32_e32 v22, v22, v14, vcc_lo
	v_cmp_eq_u32_e32 vcc_lo, 13, v0
	v_cndmask_b32_e32 v22, v22, v15, vcc_lo
	v_cmp_eq_u32_e32 vcc_lo, 14, v0
	s_delay_alu instid0(VALU_DEP_2) | instskip(SKIP_1) | instid1(VALU_DEP_2)
	v_cndmask_b32_e32 v22, v22, v16, vcc_lo
	v_cmp_eq_u32_e32 vcc_lo, 15, v0
	v_cndmask_b32_e32 v22, v22, v17, vcc_lo
	v_cmp_eq_u32_e32 vcc_lo, 16, v0
	s_delay_alu instid0(VALU_DEP_2) | instskip(SKIP_1) | instid1(VALU_DEP_2)
	v_cndmask_b32_e32 v22, v22, v18, vcc_lo
	v_cmp_eq_u32_e32 vcc_lo, 17, v0
	v_cndmask_b32_e32 v22, v22, v19, vcc_lo
	v_cmp_eq_u32_e32 vcc_lo, 18, v0
	s_delay_alu instid0(VALU_DEP_2) | instskip(SKIP_1) | instid1(VALU_DEP_2)
	v_cndmask_b32_e32 v22, v22, v20, vcc_lo
	v_cmp_eq_u32_e32 vcc_lo, 19, v0
	v_cndmask_b32_e32 v22, v22, v21, vcc_lo
	s_wait_dscnt 0x0
	s_delay_alu instid0(VALU_DEP_1)
	v_mul_f32_e32 v22, v22, v23
	s_cbranch_execz .LBB19_306
	s_branch .LBB19_307
.LBB19_305:
                                        ; implicit-def: $vgpr22
.LBB19_306:
	ds_load_b32 v22, v109
.LBB19_307:
	s_mov_b32 s3, exec_lo
	v_cmpx_ne_u32_e32 2, v0
	s_cbranch_execz .LBB19_309
; %bb.308:
	v_cmp_eq_u32_e32 vcc_lo, 1, v35
	v_dual_mov_b32 v24, 0 :: v_dual_cndmask_b32 v23, v2, v3
	v_cmp_eq_u32_e32 vcc_lo, 2, v35
	ds_load_b32 v24, v24 offset:88
	v_cndmask_b32_e32 v23, v23, v4, vcc_lo
	v_cmp_eq_u32_e32 vcc_lo, 3, v35
	s_delay_alu instid0(VALU_DEP_2) | instskip(SKIP_4) | instid1(VALU_DEP_2)
	v_cndmask_b32_e32 v5, v23, v5, vcc_lo
	v_cmp_eq_u32_e32 vcc_lo, 4, v35
	ds_load_b32 v23, v109 offset:4
	v_cndmask_b32_e32 v5, v5, v6, vcc_lo
	v_cmp_eq_u32_e32 vcc_lo, 5, v35
	v_cndmask_b32_e32 v5, v5, v7, vcc_lo
	v_cmp_eq_u32_e32 vcc_lo, 6, v35
	s_delay_alu instid0(VALU_DEP_2) | instskip(SKIP_1) | instid1(VALU_DEP_2)
	v_cndmask_b32_e32 v5, v5, v8, vcc_lo
	v_cmp_eq_u32_e32 vcc_lo, 7, v35
	v_cndmask_b32_e32 v5, v5, v9, vcc_lo
	v_cmp_eq_u32_e32 vcc_lo, 8, v35
	s_delay_alu instid0(VALU_DEP_2) | instskip(SKIP_1) | instid1(VALU_DEP_2)
	;; [unrolled: 5-line block ×7, first 2 shown]
	v_cndmask_b32_e32 v5, v5, v20, vcc_lo
	v_cmp_eq_u32_e32 vcc_lo, 19, v35
	v_cndmask_b32_e32 v5, v5, v21, vcc_lo
	s_wait_dscnt 0x0
	s_delay_alu instid0(VALU_DEP_1) | instskip(NEXT) | instid1(VALU_DEP_1)
	v_fmac_f32_e32 v22, v5, v23
	v_fma_f32 v5, v4, v24, v22
	s_delay_alu instid0(VALU_DEP_1)
	v_cndmask_b32_e64 v22, v22, v5, s0
.LBB19_309:
	s_or_b32 exec_lo, exec_lo, s3
	v_mov_b32_e32 v5, 0
	ds_load_b32 v5, v5 offset:12
	s_wait_dscnt 0x0
	v_mul_f32_e32 v5, v22, v5
.LBB19_310:
	s_or_b32 exec_lo, exec_lo, s2
	s_delay_alu instid0(SALU_CYCLE_1)
	s_mov_b32 s2, exec_lo
	ds_store_b32 v109, v6
	s_wait_dscnt 0x0
	s_barrier_signal -1
	s_barrier_wait -1
	v_cmpx_gt_u32_e32 4, v0
	s_cbranch_execz .LBB19_320
; %bb.311:
	v_cmp_ne_u32_e32 vcc_lo, 1, v34
	s_cbranch_vccnz .LBB19_313
; %bb.312:
	v_cmp_eq_u32_e32 vcc_lo, 1, v0
	ds_load_b32 v23, v109
	v_cndmask_b32_e32 v22, v2, v3, vcc_lo
	v_cmp_eq_u32_e32 vcc_lo, 2, v0
	s_delay_alu instid0(VALU_DEP_2) | instskip(SKIP_1) | instid1(VALU_DEP_2)
	v_cndmask_b32_e32 v22, v22, v4, vcc_lo
	v_cmp_eq_u32_e32 vcc_lo, 3, v0
	v_cndmask_b32_e32 v22, v22, v5, vcc_lo
	v_cmp_eq_u32_e32 vcc_lo, 4, v0
	s_delay_alu instid0(VALU_DEP_2) | instskip(SKIP_1) | instid1(VALU_DEP_2)
	v_cndmask_b32_e32 v22, v22, v6, vcc_lo
	v_cmp_eq_u32_e32 vcc_lo, 5, v0
	v_cndmask_b32_e32 v22, v22, v7, vcc_lo
	v_cmp_eq_u32_e32 vcc_lo, 6, v0
	s_delay_alu instid0(VALU_DEP_2) | instskip(SKIP_1) | instid1(VALU_DEP_2)
	v_cndmask_b32_e32 v22, v22, v8, vcc_lo
	v_cmp_eq_u32_e32 vcc_lo, 7, v0
	v_cndmask_b32_e32 v22, v22, v9, vcc_lo
	v_cmp_eq_u32_e32 vcc_lo, 8, v0
	s_delay_alu instid0(VALU_DEP_2) | instskip(SKIP_1) | instid1(VALU_DEP_2)
	v_cndmask_b32_e32 v22, v22, v10, vcc_lo
	v_cmp_eq_u32_e32 vcc_lo, 9, v0
	v_cndmask_b32_e32 v22, v22, v11, vcc_lo
	v_cmp_eq_u32_e32 vcc_lo, 10, v0
	s_delay_alu instid0(VALU_DEP_2) | instskip(SKIP_1) | instid1(VALU_DEP_2)
	v_cndmask_b32_e32 v22, v22, v12, vcc_lo
	v_cmp_eq_u32_e32 vcc_lo, 11, v0
	v_cndmask_b32_e32 v22, v22, v13, vcc_lo
	v_cmp_eq_u32_e32 vcc_lo, 12, v0
	s_delay_alu instid0(VALU_DEP_2) | instskip(SKIP_1) | instid1(VALU_DEP_2)
	v_cndmask_b32_e32 v22, v22, v14, vcc_lo
	v_cmp_eq_u32_e32 vcc_lo, 13, v0
	v_cndmask_b32_e32 v22, v22, v15, vcc_lo
	v_cmp_eq_u32_e32 vcc_lo, 14, v0
	s_delay_alu instid0(VALU_DEP_2) | instskip(SKIP_1) | instid1(VALU_DEP_2)
	v_cndmask_b32_e32 v22, v22, v16, vcc_lo
	v_cmp_eq_u32_e32 vcc_lo, 15, v0
	v_cndmask_b32_e32 v22, v22, v17, vcc_lo
	v_cmp_eq_u32_e32 vcc_lo, 16, v0
	s_delay_alu instid0(VALU_DEP_2) | instskip(SKIP_1) | instid1(VALU_DEP_2)
	v_cndmask_b32_e32 v22, v22, v18, vcc_lo
	v_cmp_eq_u32_e32 vcc_lo, 17, v0
	v_cndmask_b32_e32 v22, v22, v19, vcc_lo
	v_cmp_eq_u32_e32 vcc_lo, 18, v0
	s_delay_alu instid0(VALU_DEP_2) | instskip(SKIP_1) | instid1(VALU_DEP_2)
	v_cndmask_b32_e32 v22, v22, v20, vcc_lo
	v_cmp_eq_u32_e32 vcc_lo, 19, v0
	v_cndmask_b32_e32 v22, v22, v21, vcc_lo
	s_wait_dscnt 0x0
	s_delay_alu instid0(VALU_DEP_1)
	v_mul_f32_e32 v24, v22, v23
	s_cbranch_execz .LBB19_314
	s_branch .LBB19_315
.LBB19_313:
                                        ; implicit-def: $vgpr24
.LBB19_314:
	ds_load_b32 v24, v109
.LBB19_315:
	s_mov_b32 s3, exec_lo
	v_cmpx_ne_u32_e32 3, v0
	s_cbranch_execz .LBB19_319
; %bb.316:
	v_mov_b64_e32 v[22:23], v[0:1]
	v_lshl_add_u32 v25, v0, 2, 0x54
	s_mov_b32 s4, 0
.LBB19_317:                             ; =>This Inner Loop Header: Depth=1
	s_delay_alu instid0(VALU_DEP_2)
	v_add_nc_u64_e32 v[22:23], 1, v[22:23]
	ds_load_b32 v27, v25
	v_add_nc_u32_e32 v25, 4, v25
	v_cmp_eq_u32_e32 vcc_lo, 1, v22
	v_cndmask_b32_e32 v26, v2, v3, vcc_lo
	v_cmp_eq_u32_e32 vcc_lo, 2, v22
	s_delay_alu instid0(VALU_DEP_2) | instskip(SKIP_1) | instid1(VALU_DEP_2)
	v_cndmask_b32_e32 v26, v26, v4, vcc_lo
	v_cmp_eq_u32_e32 vcc_lo, 3, v22
	v_cndmask_b32_e32 v26, v26, v5, vcc_lo
	v_cmp_eq_u32_e32 vcc_lo, 4, v22
	s_delay_alu instid0(VALU_DEP_2) | instskip(SKIP_1) | instid1(VALU_DEP_2)
	v_cndmask_b32_e32 v26, v26, v6, vcc_lo
	;; [unrolled: 5-line block ×9, first 2 shown]
	v_cmp_eq_u32_e32 vcc_lo, 19, v22
	v_cndmask_b32_e32 v26, v26, v21, vcc_lo
	v_cmp_lt_u32_e32 vcc_lo, 2, v22
	s_wait_dscnt 0x0
	s_delay_alu instid0(VALU_DEP_2) | instskip(SKIP_1) | instid1(SALU_CYCLE_1)
	v_fmac_f32_e32 v24, v26, v27
	s_or_b32 s4, vcc_lo, s4
	s_and_not1_b32 exec_lo, exec_lo, s4
	s_cbranch_execnz .LBB19_317
; %bb.318:
	s_or_b32 exec_lo, exec_lo, s4
.LBB19_319:
	s_delay_alu instid0(SALU_CYCLE_1)
	s_or_b32 exec_lo, exec_lo, s3
	v_mov_b32_e32 v6, 0
	ds_load_b32 v6, v6 offset:16
	s_wait_dscnt 0x0
	v_mul_f32_e32 v6, v24, v6
.LBB19_320:
	s_or_b32 exec_lo, exec_lo, s2
	v_cmp_gt_u32_e64 s2, 5, v0
	ds_store_b32 v109, v7
	s_wait_dscnt 0x0
	s_barrier_signal -1
	s_barrier_wait -1
	s_and_saveexec_b32 s3, s2
	s_cbranch_execz .LBB19_330
; %bb.321:
	v_cmp_ne_u32_e32 vcc_lo, 1, v34
	s_cbranch_vccnz .LBB19_323
; %bb.322:
	v_cmp_eq_u32_e32 vcc_lo, 1, v0
	ds_load_b32 v23, v109
	v_cndmask_b32_e32 v22, v2, v3, vcc_lo
	v_cmp_eq_u32_e32 vcc_lo, 2, v0
	s_delay_alu instid0(VALU_DEP_2) | instskip(SKIP_1) | instid1(VALU_DEP_2)
	v_cndmask_b32_e32 v22, v22, v4, vcc_lo
	v_cmp_eq_u32_e32 vcc_lo, 3, v0
	v_cndmask_b32_e32 v22, v22, v5, vcc_lo
	v_cmp_eq_u32_e32 vcc_lo, 4, v0
	s_delay_alu instid0(VALU_DEP_2) | instskip(SKIP_1) | instid1(VALU_DEP_2)
	v_cndmask_b32_e32 v22, v22, v6, vcc_lo
	v_cmp_eq_u32_e32 vcc_lo, 5, v0
	;; [unrolled: 5-line block ×9, first 2 shown]
	v_cndmask_b32_e32 v22, v22, v21, vcc_lo
	s_wait_dscnt 0x0
	s_delay_alu instid0(VALU_DEP_1)
	v_mul_f32_e32 v24, v22, v23
	s_cbranch_execz .LBB19_324
	s_branch .LBB19_325
.LBB19_323:
                                        ; implicit-def: $vgpr24
.LBB19_324:
	ds_load_b32 v24, v109
.LBB19_325:
	s_mov_b32 s4, exec_lo
	v_cmpx_ne_u32_e32 4, v0
	s_cbranch_execz .LBB19_329
; %bb.326:
	v_mov_b64_e32 v[22:23], v[0:1]
	v_lshl_add_u32 v25, v0, 2, 0x54
	s_mov_b32 s5, 0
.LBB19_327:                             ; =>This Inner Loop Header: Depth=1
	s_delay_alu instid0(VALU_DEP_2)
	v_add_nc_u64_e32 v[22:23], 1, v[22:23]
	ds_load_b32 v27, v25
	v_add_nc_u32_e32 v25, 4, v25
	v_cmp_eq_u32_e32 vcc_lo, 1, v22
	v_cndmask_b32_e32 v26, v2, v3, vcc_lo
	v_cmp_eq_u32_e32 vcc_lo, 2, v22
	s_delay_alu instid0(VALU_DEP_2) | instskip(SKIP_1) | instid1(VALU_DEP_2)
	v_cndmask_b32_e32 v26, v26, v4, vcc_lo
	v_cmp_eq_u32_e32 vcc_lo, 3, v22
	v_cndmask_b32_e32 v26, v26, v5, vcc_lo
	v_cmp_eq_u32_e32 vcc_lo, 4, v22
	s_delay_alu instid0(VALU_DEP_2) | instskip(SKIP_1) | instid1(VALU_DEP_2)
	v_cndmask_b32_e32 v26, v26, v6, vcc_lo
	;; [unrolled: 5-line block ×9, first 2 shown]
	v_cmp_eq_u32_e32 vcc_lo, 19, v22
	v_cndmask_b32_e32 v26, v26, v21, vcc_lo
	v_cmp_lt_u32_e32 vcc_lo, 3, v22
	s_wait_dscnt 0x0
	s_delay_alu instid0(VALU_DEP_2) | instskip(SKIP_1) | instid1(SALU_CYCLE_1)
	v_fmac_f32_e32 v24, v26, v27
	s_or_b32 s5, vcc_lo, s5
	s_and_not1_b32 exec_lo, exec_lo, s5
	s_cbranch_execnz .LBB19_327
; %bb.328:
	s_or_b32 exec_lo, exec_lo, s5
.LBB19_329:
	s_delay_alu instid0(SALU_CYCLE_1)
	s_or_b32 exec_lo, exec_lo, s4
	v_mov_b32_e32 v7, 0
	ds_load_b32 v7, v7 offset:20
	s_wait_dscnt 0x0
	v_mul_f32_e32 v7, v24, v7
.LBB19_330:
	s_or_b32 exec_lo, exec_lo, s3
	s_delay_alu instid0(SALU_CYCLE_1)
	s_mov_b32 s3, exec_lo
	ds_store_b32 v109, v8
	s_wait_dscnt 0x0
	s_barrier_signal -1
	s_barrier_wait -1
	v_cmpx_gt_u32_e32 6, v0
	s_cbranch_execz .LBB19_340
; %bb.331:
	v_cmp_ne_u32_e32 vcc_lo, 1, v34
	s_cbranch_vccnz .LBB19_333
; %bb.332:
	v_cmp_eq_u32_e32 vcc_lo, 1, v0
	ds_load_b32 v23, v109
	v_cndmask_b32_e32 v22, v2, v3, vcc_lo
	v_cmp_eq_u32_e32 vcc_lo, 2, v0
	s_delay_alu instid0(VALU_DEP_2) | instskip(SKIP_1) | instid1(VALU_DEP_2)
	v_cndmask_b32_e32 v22, v22, v4, vcc_lo
	v_cmp_eq_u32_e32 vcc_lo, 3, v0
	v_cndmask_b32_e32 v22, v22, v5, vcc_lo
	v_cmp_eq_u32_e32 vcc_lo, 4, v0
	s_delay_alu instid0(VALU_DEP_2) | instskip(SKIP_1) | instid1(VALU_DEP_2)
	v_cndmask_b32_e32 v22, v22, v6, vcc_lo
	v_cmp_eq_u32_e32 vcc_lo, 5, v0
	;; [unrolled: 5-line block ×9, first 2 shown]
	v_cndmask_b32_e32 v22, v22, v21, vcc_lo
	s_wait_dscnt 0x0
	s_delay_alu instid0(VALU_DEP_1)
	v_mul_f32_e32 v24, v22, v23
	s_cbranch_execz .LBB19_334
	s_branch .LBB19_335
.LBB19_333:
                                        ; implicit-def: $vgpr24
.LBB19_334:
	ds_load_b32 v24, v109
.LBB19_335:
	s_mov_b32 s4, exec_lo
	v_cmpx_ne_u32_e32 5, v0
	s_cbranch_execz .LBB19_339
; %bb.336:
	v_mov_b64_e32 v[22:23], v[0:1]
	v_lshl_add_u32 v25, v0, 2, 0x54
	s_mov_b32 s5, 0
.LBB19_337:                             ; =>This Inner Loop Header: Depth=1
	s_delay_alu instid0(VALU_DEP_2)
	v_add_nc_u64_e32 v[22:23], 1, v[22:23]
	ds_load_b32 v27, v25
	v_add_nc_u32_e32 v25, 4, v25
	v_cmp_eq_u32_e32 vcc_lo, 1, v22
	v_cndmask_b32_e32 v26, v2, v3, vcc_lo
	v_cmp_eq_u32_e32 vcc_lo, 2, v22
	s_delay_alu instid0(VALU_DEP_2) | instskip(SKIP_1) | instid1(VALU_DEP_2)
	v_cndmask_b32_e32 v26, v26, v4, vcc_lo
	v_cmp_eq_u32_e32 vcc_lo, 3, v22
	v_cndmask_b32_e32 v26, v26, v5, vcc_lo
	v_cmp_eq_u32_e32 vcc_lo, 4, v22
	s_delay_alu instid0(VALU_DEP_2) | instskip(SKIP_1) | instid1(VALU_DEP_2)
	v_cndmask_b32_e32 v26, v26, v6, vcc_lo
	;; [unrolled: 5-line block ×9, first 2 shown]
	v_cmp_eq_u32_e32 vcc_lo, 19, v22
	v_cndmask_b32_e32 v26, v26, v21, vcc_lo
	v_cmp_lt_u32_e32 vcc_lo, 4, v22
	s_wait_dscnt 0x0
	s_delay_alu instid0(VALU_DEP_2) | instskip(SKIP_1) | instid1(SALU_CYCLE_1)
	v_fmac_f32_e32 v24, v26, v27
	s_or_b32 s5, vcc_lo, s5
	s_and_not1_b32 exec_lo, exec_lo, s5
	s_cbranch_execnz .LBB19_337
; %bb.338:
	s_or_b32 exec_lo, exec_lo, s5
.LBB19_339:
	s_delay_alu instid0(SALU_CYCLE_1)
	s_or_b32 exec_lo, exec_lo, s4
	v_mov_b32_e32 v8, 0
	ds_load_b32 v8, v8 offset:24
	s_wait_dscnt 0x0
	v_mul_f32_e32 v8, v24, v8
.LBB19_340:
	s_or_b32 exec_lo, exec_lo, s3
	v_cmp_gt_u32_e64 s3, 7, v0
	ds_store_b32 v109, v9
	s_wait_dscnt 0x0
	s_barrier_signal -1
	s_barrier_wait -1
	s_and_saveexec_b32 s4, s3
	s_cbranch_execz .LBB19_350
; %bb.341:
	v_cmp_ne_u32_e32 vcc_lo, 1, v34
	s_cbranch_vccnz .LBB19_343
; %bb.342:
	v_cmp_eq_u32_e32 vcc_lo, 1, v0
	ds_load_b32 v23, v109
	v_cndmask_b32_e32 v22, v2, v3, vcc_lo
	v_cmp_eq_u32_e32 vcc_lo, 2, v0
	s_delay_alu instid0(VALU_DEP_2) | instskip(SKIP_1) | instid1(VALU_DEP_2)
	v_cndmask_b32_e32 v22, v22, v4, vcc_lo
	v_cmp_eq_u32_e32 vcc_lo, 3, v0
	v_cndmask_b32_e32 v22, v22, v5, vcc_lo
	v_cmp_eq_u32_e32 vcc_lo, 4, v0
	s_delay_alu instid0(VALU_DEP_2) | instskip(SKIP_1) | instid1(VALU_DEP_2)
	v_cndmask_b32_e32 v22, v22, v6, vcc_lo
	v_cmp_eq_u32_e32 vcc_lo, 5, v0
	;; [unrolled: 5-line block ×9, first 2 shown]
	v_cndmask_b32_e32 v22, v22, v21, vcc_lo
	s_wait_dscnt 0x0
	s_delay_alu instid0(VALU_DEP_1)
	v_mul_f32_e32 v24, v22, v23
	s_cbranch_execz .LBB19_344
	s_branch .LBB19_345
.LBB19_343:
                                        ; implicit-def: $vgpr24
.LBB19_344:
	ds_load_b32 v24, v109
.LBB19_345:
	s_mov_b32 s5, exec_lo
	v_cmpx_ne_u32_e32 6, v0
	s_cbranch_execz .LBB19_349
; %bb.346:
	v_mov_b64_e32 v[22:23], v[0:1]
	v_lshl_add_u32 v25, v0, 2, 0x54
	s_mov_b32 s6, 0
.LBB19_347:                             ; =>This Inner Loop Header: Depth=1
	s_delay_alu instid0(VALU_DEP_2)
	v_add_nc_u64_e32 v[22:23], 1, v[22:23]
	ds_load_b32 v27, v25
	v_add_nc_u32_e32 v25, 4, v25
	v_cmp_eq_u32_e32 vcc_lo, 1, v22
	v_cndmask_b32_e32 v26, v2, v3, vcc_lo
	v_cmp_eq_u32_e32 vcc_lo, 2, v22
	s_delay_alu instid0(VALU_DEP_2) | instskip(SKIP_1) | instid1(VALU_DEP_2)
	v_cndmask_b32_e32 v26, v26, v4, vcc_lo
	v_cmp_eq_u32_e32 vcc_lo, 3, v22
	v_cndmask_b32_e32 v26, v26, v5, vcc_lo
	v_cmp_eq_u32_e32 vcc_lo, 4, v22
	s_delay_alu instid0(VALU_DEP_2) | instskip(SKIP_1) | instid1(VALU_DEP_2)
	v_cndmask_b32_e32 v26, v26, v6, vcc_lo
	;; [unrolled: 5-line block ×9, first 2 shown]
	v_cmp_eq_u32_e32 vcc_lo, 19, v22
	v_cndmask_b32_e32 v26, v26, v21, vcc_lo
	v_cmp_lt_u32_e32 vcc_lo, 5, v22
	s_wait_dscnt 0x0
	s_delay_alu instid0(VALU_DEP_2) | instskip(SKIP_1) | instid1(SALU_CYCLE_1)
	v_fmac_f32_e32 v24, v26, v27
	s_or_b32 s6, vcc_lo, s6
	s_and_not1_b32 exec_lo, exec_lo, s6
	s_cbranch_execnz .LBB19_347
; %bb.348:
	s_or_b32 exec_lo, exec_lo, s6
.LBB19_349:
	s_delay_alu instid0(SALU_CYCLE_1)
	s_or_b32 exec_lo, exec_lo, s5
	v_mov_b32_e32 v9, 0
	ds_load_b32 v9, v9 offset:28
	s_wait_dscnt 0x0
	v_mul_f32_e32 v9, v24, v9
.LBB19_350:
	s_or_b32 exec_lo, exec_lo, s4
	s_delay_alu instid0(SALU_CYCLE_1)
	s_mov_b32 s4, exec_lo
	ds_store_b32 v109, v10
	s_wait_dscnt 0x0
	s_barrier_signal -1
	s_barrier_wait -1
	v_cmpx_gt_u32_e32 8, v0
	s_cbranch_execz .LBB19_360
; %bb.351:
	v_cmp_ne_u32_e32 vcc_lo, 1, v34
	s_cbranch_vccnz .LBB19_353
; %bb.352:
	v_cmp_eq_u32_e32 vcc_lo, 1, v0
	ds_load_b32 v23, v109
	v_cndmask_b32_e32 v22, v2, v3, vcc_lo
	v_cmp_eq_u32_e32 vcc_lo, 2, v0
	s_delay_alu instid0(VALU_DEP_2) | instskip(SKIP_1) | instid1(VALU_DEP_2)
	v_cndmask_b32_e32 v22, v22, v4, vcc_lo
	v_cmp_eq_u32_e32 vcc_lo, 3, v0
	v_cndmask_b32_e32 v22, v22, v5, vcc_lo
	v_cmp_eq_u32_e32 vcc_lo, 4, v0
	s_delay_alu instid0(VALU_DEP_2) | instskip(SKIP_1) | instid1(VALU_DEP_2)
	v_cndmask_b32_e32 v22, v22, v6, vcc_lo
	v_cmp_eq_u32_e32 vcc_lo, 5, v0
	;; [unrolled: 5-line block ×9, first 2 shown]
	v_cndmask_b32_e32 v22, v22, v21, vcc_lo
	s_wait_dscnt 0x0
	s_delay_alu instid0(VALU_DEP_1)
	v_mul_f32_e32 v24, v22, v23
	s_cbranch_execz .LBB19_354
	s_branch .LBB19_355
.LBB19_353:
                                        ; implicit-def: $vgpr24
.LBB19_354:
	ds_load_b32 v24, v109
.LBB19_355:
	s_mov_b32 s5, exec_lo
	v_cmpx_ne_u32_e32 7, v0
	s_cbranch_execz .LBB19_359
; %bb.356:
	v_mov_b64_e32 v[22:23], v[0:1]
	v_lshl_add_u32 v25, v0, 2, 0x54
	s_mov_b32 s6, 0
.LBB19_357:                             ; =>This Inner Loop Header: Depth=1
	s_delay_alu instid0(VALU_DEP_2)
	v_add_nc_u64_e32 v[22:23], 1, v[22:23]
	ds_load_b32 v27, v25
	v_add_nc_u32_e32 v25, 4, v25
	v_cmp_eq_u32_e32 vcc_lo, 1, v22
	v_cndmask_b32_e32 v26, v2, v3, vcc_lo
	v_cmp_eq_u32_e32 vcc_lo, 2, v22
	s_delay_alu instid0(VALU_DEP_2) | instskip(SKIP_1) | instid1(VALU_DEP_2)
	v_cndmask_b32_e32 v26, v26, v4, vcc_lo
	v_cmp_eq_u32_e32 vcc_lo, 3, v22
	v_cndmask_b32_e32 v26, v26, v5, vcc_lo
	v_cmp_eq_u32_e32 vcc_lo, 4, v22
	s_delay_alu instid0(VALU_DEP_2) | instskip(SKIP_1) | instid1(VALU_DEP_2)
	v_cndmask_b32_e32 v26, v26, v6, vcc_lo
	;; [unrolled: 5-line block ×9, first 2 shown]
	v_cmp_eq_u32_e32 vcc_lo, 19, v22
	v_cndmask_b32_e32 v26, v26, v21, vcc_lo
	v_cmp_lt_u32_e32 vcc_lo, 6, v22
	s_wait_dscnt 0x0
	s_delay_alu instid0(VALU_DEP_2) | instskip(SKIP_1) | instid1(SALU_CYCLE_1)
	v_fmac_f32_e32 v24, v26, v27
	s_or_b32 s6, vcc_lo, s6
	s_and_not1_b32 exec_lo, exec_lo, s6
	s_cbranch_execnz .LBB19_357
; %bb.358:
	s_or_b32 exec_lo, exec_lo, s6
.LBB19_359:
	s_delay_alu instid0(SALU_CYCLE_1)
	s_or_b32 exec_lo, exec_lo, s5
	v_mov_b32_e32 v10, 0
	ds_load_b32 v10, v10 offset:32
	s_wait_dscnt 0x0
	v_mul_f32_e32 v10, v24, v10
.LBB19_360:
	s_or_b32 exec_lo, exec_lo, s4
	s_delay_alu instid0(SALU_CYCLE_1)
	s_mov_b32 s4, exec_lo
	ds_store_b32 v109, v11
	s_wait_dscnt 0x0
	s_barrier_signal -1
	s_barrier_wait -1
	v_cmpx_gt_u32_e32 9, v0
	s_cbranch_execz .LBB19_382
; %bb.361:
	v_cmp_ne_u32_e32 vcc_lo, 1, v34
	s_cbranch_vccnz .LBB19_363
; %bb.362:
	v_cmp_eq_u32_e32 vcc_lo, 1, v0
	ds_load_b32 v23, v109
	v_cndmask_b32_e32 v22, v2, v3, vcc_lo
	v_cmp_eq_u32_e32 vcc_lo, 2, v0
	s_delay_alu instid0(VALU_DEP_2) | instskip(SKIP_1) | instid1(VALU_DEP_2)
	v_cndmask_b32_e32 v22, v22, v4, vcc_lo
	v_cmp_eq_u32_e32 vcc_lo, 3, v0
	v_cndmask_b32_e32 v22, v22, v5, vcc_lo
	v_cmp_eq_u32_e32 vcc_lo, 4, v0
	s_delay_alu instid0(VALU_DEP_2) | instskip(SKIP_1) | instid1(VALU_DEP_2)
	v_cndmask_b32_e32 v22, v22, v6, vcc_lo
	v_cmp_eq_u32_e32 vcc_lo, 5, v0
	;; [unrolled: 5-line block ×9, first 2 shown]
	v_cndmask_b32_e32 v22, v22, v21, vcc_lo
	s_wait_dscnt 0x0
	s_delay_alu instid0(VALU_DEP_1)
	v_mul_f32_e32 v22, v22, v23
	s_cbranch_execz .LBB19_364
	s_branch .LBB19_365
.LBB19_363:
                                        ; implicit-def: $vgpr22
.LBB19_364:
	ds_load_b32 v22, v109
.LBB19_365:
	s_mov_b32 s5, exec_lo
	v_cmpx_ne_u32_e32 8, v0
	s_cbranch_execz .LBB19_381
; %bb.366:
	v_cmp_eq_u32_e32 vcc_lo, 1, v35
	ds_load_b32 v24, v109 offset:4
	v_cndmask_b32_e32 v23, v2, v3, vcc_lo
	v_cmp_eq_u32_e32 vcc_lo, 2, v35
	s_delay_alu instid0(VALU_DEP_2) | instskip(SKIP_1) | instid1(VALU_DEP_2)
	v_cndmask_b32_e32 v23, v23, v4, vcc_lo
	v_cmp_eq_u32_e32 vcc_lo, 3, v35
	v_cndmask_b32_e32 v23, v23, v5, vcc_lo
	v_cmp_eq_u32_e32 vcc_lo, 4, v35
	s_delay_alu instid0(VALU_DEP_2) | instskip(SKIP_1) | instid1(VALU_DEP_2)
	v_cndmask_b32_e32 v23, v23, v6, vcc_lo
	v_cmp_eq_u32_e32 vcc_lo, 5, v35
	;; [unrolled: 5-line block ×9, first 2 shown]
	v_cndmask_b32_e32 v23, v23, v21, vcc_lo
	s_wait_dscnt 0x0
	s_delay_alu instid0(VALU_DEP_1)
	v_fmac_f32_e32 v22, v23, v24
	s_and_saveexec_b32 s6, s3
	s_cbranch_execz .LBB19_380
; %bb.367:
	v_add_nc_u32_e32 v23, 2, v0
	ds_load_b32 v25, v109 offset:8
	s_mov_b32 s3, exec_lo
	v_cmp_eq_u32_e32 vcc_lo, 1, v23
	v_cndmask_b32_e32 v24, v2, v3, vcc_lo
	v_cmp_eq_u32_e32 vcc_lo, 2, v23
	s_delay_alu instid0(VALU_DEP_2) | instskip(SKIP_1) | instid1(VALU_DEP_2)
	v_cndmask_b32_e32 v24, v24, v4, vcc_lo
	v_cmp_eq_u32_e32 vcc_lo, 3, v23
	v_cndmask_b32_e32 v24, v24, v5, vcc_lo
	v_cmp_eq_u32_e32 vcc_lo, 4, v23
	s_delay_alu instid0(VALU_DEP_2) | instskip(SKIP_1) | instid1(VALU_DEP_2)
	v_cndmask_b32_e32 v24, v24, v6, vcc_lo
	;; [unrolled: 5-line block ×9, first 2 shown]
	v_cmp_eq_u32_e32 vcc_lo, 19, v23
	v_cndmask_b32_e32 v23, v24, v21, vcc_lo
	s_wait_dscnt 0x0
	s_delay_alu instid0(VALU_DEP_1)
	v_fmac_f32_e32 v22, v23, v25
	v_cmpx_ne_u32_e32 6, v0
	s_cbranch_execz .LBB19_379
; %bb.368:
	v_add_nc_u32_e32 v23, 3, v0
	ds_load_b32 v25, v109 offset:12
	v_cmp_eq_u32_e32 vcc_lo, 1, v23
	v_cndmask_b32_e32 v24, v2, v3, vcc_lo
	v_cmp_eq_u32_e32 vcc_lo, 2, v23
	s_delay_alu instid0(VALU_DEP_2) | instskip(SKIP_1) | instid1(VALU_DEP_2)
	v_cndmask_b32_e32 v24, v24, v4, vcc_lo
	v_cmp_eq_u32_e32 vcc_lo, 3, v23
	v_cndmask_b32_e32 v24, v24, v5, vcc_lo
	v_cmp_eq_u32_e32 vcc_lo, 4, v23
	s_delay_alu instid0(VALU_DEP_2) | instskip(SKIP_1) | instid1(VALU_DEP_2)
	v_cndmask_b32_e32 v24, v24, v6, vcc_lo
	;; [unrolled: 5-line block ×9, first 2 shown]
	v_cmp_eq_u32_e32 vcc_lo, 19, v23
	v_cndmask_b32_e32 v23, v24, v21, vcc_lo
	s_wait_dscnt 0x0
	s_delay_alu instid0(VALU_DEP_1)
	v_fmac_f32_e32 v22, v23, v25
	s_and_saveexec_b32 s7, s2
	s_cbranch_execz .LBB19_378
; %bb.369:
	v_add_nc_u32_e32 v23, 4, v0
	ds_load_b32 v25, v109 offset:16
	s_mov_b32 s2, exec_lo
	v_cmp_eq_u32_e32 vcc_lo, 1, v23
	v_cndmask_b32_e32 v24, v2, v3, vcc_lo
	v_cmp_eq_u32_e32 vcc_lo, 2, v23
	s_delay_alu instid0(VALU_DEP_2) | instskip(SKIP_1) | instid1(VALU_DEP_2)
	v_cndmask_b32_e32 v24, v24, v4, vcc_lo
	v_cmp_eq_u32_e32 vcc_lo, 3, v23
	v_cndmask_b32_e32 v24, v24, v5, vcc_lo
	v_cmp_eq_u32_e32 vcc_lo, 4, v23
	s_delay_alu instid0(VALU_DEP_2) | instskip(SKIP_1) | instid1(VALU_DEP_2)
	v_cndmask_b32_e32 v24, v24, v6, vcc_lo
	;; [unrolled: 5-line block ×9, first 2 shown]
	v_cmp_eq_u32_e32 vcc_lo, 19, v23
	v_cndmask_b32_e32 v23, v24, v21, vcc_lo
	s_wait_dscnt 0x0
	s_delay_alu instid0(VALU_DEP_1)
	v_fmac_f32_e32 v22, v23, v25
	v_cmpx_ne_u32_e32 4, v0
	s_cbranch_execz .LBB19_377
; %bb.370:
	v_add_nc_u32_e32 v23, 5, v0
	ds_load_b32 v25, v109 offset:20
	v_cmp_eq_u32_e32 vcc_lo, 1, v23
	v_cndmask_b32_e32 v24, v2, v3, vcc_lo
	v_cmp_eq_u32_e32 vcc_lo, 2, v23
	s_delay_alu instid0(VALU_DEP_2) | instskip(SKIP_1) | instid1(VALU_DEP_2)
	v_cndmask_b32_e32 v24, v24, v4, vcc_lo
	v_cmp_eq_u32_e32 vcc_lo, 3, v23
	v_cndmask_b32_e32 v24, v24, v5, vcc_lo
	v_cmp_eq_u32_e32 vcc_lo, 4, v23
	s_delay_alu instid0(VALU_DEP_2) | instskip(SKIP_1) | instid1(VALU_DEP_2)
	v_cndmask_b32_e32 v24, v24, v6, vcc_lo
	;; [unrolled: 5-line block ×9, first 2 shown]
	v_cmp_eq_u32_e32 vcc_lo, 19, v23
	v_cndmask_b32_e32 v23, v24, v21, vcc_lo
	s_wait_dscnt 0x0
	s_delay_alu instid0(VALU_DEP_1)
	v_fmac_f32_e32 v22, v23, v25
	s_and_saveexec_b32 s8, s1
	s_cbranch_execz .LBB19_376
; %bb.371:
	v_add_nc_u32_e32 v23, 6, v0
	ds_load_b32 v25, v109 offset:24
	s_mov_b32 s1, exec_lo
	v_cmp_eq_u32_e32 vcc_lo, 1, v23
	v_cndmask_b32_e32 v24, v2, v3, vcc_lo
	v_cmp_eq_u32_e32 vcc_lo, 2, v23
	s_delay_alu instid0(VALU_DEP_2) | instskip(SKIP_1) | instid1(VALU_DEP_2)
	v_cndmask_b32_e32 v24, v24, v4, vcc_lo
	v_cmp_eq_u32_e32 vcc_lo, 3, v23
	v_cndmask_b32_e32 v24, v24, v5, vcc_lo
	v_cmp_eq_u32_e32 vcc_lo, 4, v23
	s_delay_alu instid0(VALU_DEP_2) | instskip(SKIP_1) | instid1(VALU_DEP_2)
	v_cndmask_b32_e32 v24, v24, v6, vcc_lo
	;; [unrolled: 5-line block ×9, first 2 shown]
	v_cmp_eq_u32_e32 vcc_lo, 19, v23
	v_cndmask_b32_e32 v23, v24, v21, vcc_lo
	s_wait_dscnt 0x0
	s_delay_alu instid0(VALU_DEP_1)
	v_fmac_f32_e32 v22, v23, v25
	v_cmpx_ne_u32_e32 2, v0
	s_cbranch_execz .LBB19_375
; %bb.372:
	v_add_nc_u32_e32 v23, 7, v0
	s_delay_alu instid0(VALU_DEP_1) | instskip(SKIP_2) | instid1(VALU_DEP_2)
	v_cmp_eq_u32_e32 vcc_lo, 1, v23
	v_cndmask_b32_e32 v24, v2, v3, vcc_lo
	v_cmp_eq_u32_e32 vcc_lo, 2, v23
	v_cndmask_b32_e32 v24, v24, v4, vcc_lo
	v_cmp_eq_u32_e32 vcc_lo, 3, v23
	s_delay_alu instid0(VALU_DEP_2) | instskip(SKIP_1) | instid1(VALU_DEP_2)
	v_cndmask_b32_e32 v24, v24, v5, vcc_lo
	v_cmp_eq_u32_e32 vcc_lo, 4, v23
	v_cndmask_b32_e32 v24, v24, v6, vcc_lo
	v_cmp_eq_u32_e32 vcc_lo, 5, v23
	s_delay_alu instid0(VALU_DEP_2) | instskip(SKIP_1) | instid1(VALU_DEP_2)
	;; [unrolled: 5-line block ×3, first 2 shown]
	v_cndmask_b32_e32 v24, v24, v9, vcc_lo
	v_cmp_eq_u32_e32 vcc_lo, 8, v23
	v_cndmask_b32_e32 v24, v24, v10, vcc_lo
	v_cmp_eq_u32_e32 vcc_lo, 9, v23
	s_delay_alu instid0(VALU_DEP_2) | instskip(SKIP_4) | instid1(VALU_DEP_2)
	v_cndmask_b32_e32 v11, v24, v11, vcc_lo
	v_cmp_eq_u32_e32 vcc_lo, 10, v23
	ds_load_b32 v24, v109 offset:28
	v_cndmask_b32_e32 v11, v11, v12, vcc_lo
	v_cmp_eq_u32_e32 vcc_lo, 11, v23
	v_cndmask_b32_e32 v11, v11, v13, vcc_lo
	v_cmp_eq_u32_e32 vcc_lo, 12, v23
	s_delay_alu instid0(VALU_DEP_2) | instskip(SKIP_1) | instid1(VALU_DEP_2)
	v_cndmask_b32_e32 v11, v11, v14, vcc_lo
	v_cmp_eq_u32_e32 vcc_lo, 13, v23
	v_cndmask_b32_e32 v11, v11, v15, vcc_lo
	v_cmp_eq_u32_e32 vcc_lo, 14, v23
	s_delay_alu instid0(VALU_DEP_2) | instskip(SKIP_1) | instid1(VALU_DEP_2)
	;; [unrolled: 5-line block ×4, first 2 shown]
	v_cndmask_b32_e32 v11, v11, v20, vcc_lo
	v_cmp_eq_u32_e32 vcc_lo, 19, v23
	v_cndmask_b32_e32 v11, v11, v21, vcc_lo
	s_wait_dscnt 0x0
	s_delay_alu instid0(VALU_DEP_1)
	v_fmac_f32_e32 v22, v11, v24
	s_and_saveexec_b32 s9, s0
	s_cbranch_execz .LBB19_374
; %bb.373:
	ds_load_b32 v11, v109 offset:32
	s_wait_dscnt 0x0
	v_fmac_f32_e32 v22, v10, v11
.LBB19_374:
	s_or_b32 exec_lo, exec_lo, s9
.LBB19_375:
	s_delay_alu instid0(SALU_CYCLE_1)
	s_or_b32 exec_lo, exec_lo, s1
.LBB19_376:
	s_delay_alu instid0(SALU_CYCLE_1)
	s_or_b32 exec_lo, exec_lo, s8
.LBB19_377:
	s_delay_alu instid0(SALU_CYCLE_1)
	s_or_b32 exec_lo, exec_lo, s2
.LBB19_378:
	s_delay_alu instid0(SALU_CYCLE_1)
	s_or_b32 exec_lo, exec_lo, s7
.LBB19_379:
	s_delay_alu instid0(SALU_CYCLE_1)
	s_or_b32 exec_lo, exec_lo, s3
.LBB19_380:
	s_delay_alu instid0(SALU_CYCLE_1)
	s_or_b32 exec_lo, exec_lo, s6
.LBB19_381:
	s_delay_alu instid0(SALU_CYCLE_1)
	s_or_b32 exec_lo, exec_lo, s5
	v_mov_b32_e32 v11, 0
	ds_load_b32 v11, v11 offset:36
	s_wait_dscnt 0x0
	v_mul_f32_e32 v11, v22, v11
.LBB19_382:
	s_or_b32 exec_lo, exec_lo, s4
	s_delay_alu instid0(SALU_CYCLE_1)
	s_mov_b32 s0, exec_lo
	ds_store_b32 v109, v12
	s_wait_dscnt 0x0
	s_barrier_signal -1
	s_barrier_wait -1
	v_cmpx_gt_u32_e32 10, v0
	s_cbranch_execz .LBB19_392
; %bb.383:
	v_cmp_ne_u32_e32 vcc_lo, 1, v34
	s_cbranch_vccnz .LBB19_385
; %bb.384:
	v_cmp_eq_u32_e32 vcc_lo, 1, v0
	ds_load_b32 v23, v109
	v_cndmask_b32_e32 v22, v2, v3, vcc_lo
	v_cmp_eq_u32_e32 vcc_lo, 2, v0
	s_delay_alu instid0(VALU_DEP_2) | instskip(SKIP_1) | instid1(VALU_DEP_2)
	v_cndmask_b32_e32 v22, v22, v4, vcc_lo
	v_cmp_eq_u32_e32 vcc_lo, 3, v0
	v_cndmask_b32_e32 v22, v22, v5, vcc_lo
	v_cmp_eq_u32_e32 vcc_lo, 4, v0
	s_delay_alu instid0(VALU_DEP_2) | instskip(SKIP_1) | instid1(VALU_DEP_2)
	v_cndmask_b32_e32 v22, v22, v6, vcc_lo
	v_cmp_eq_u32_e32 vcc_lo, 5, v0
	;; [unrolled: 5-line block ×9, first 2 shown]
	v_cndmask_b32_e32 v22, v22, v21, vcc_lo
	s_wait_dscnt 0x0
	s_delay_alu instid0(VALU_DEP_1)
	v_mul_f32_e32 v24, v22, v23
	s_cbranch_execz .LBB19_386
	s_branch .LBB19_387
.LBB19_385:
                                        ; implicit-def: $vgpr24
.LBB19_386:
	ds_load_b32 v24, v109
.LBB19_387:
	s_mov_b32 s1, exec_lo
	v_cmpx_ne_u32_e32 9, v0
	s_cbranch_execz .LBB19_391
; %bb.388:
	v_mov_b64_e32 v[22:23], v[0:1]
	v_lshl_add_u32 v25, v0, 2, 0x54
	s_mov_b32 s2, 0
.LBB19_389:                             ; =>This Inner Loop Header: Depth=1
	s_delay_alu instid0(VALU_DEP_2)
	v_add_nc_u64_e32 v[22:23], 1, v[22:23]
	ds_load_b32 v27, v25
	v_add_nc_u32_e32 v25, 4, v25
	v_cmp_eq_u32_e32 vcc_lo, 1, v22
	v_cndmask_b32_e32 v26, v2, v3, vcc_lo
	v_cmp_eq_u32_e32 vcc_lo, 2, v22
	s_delay_alu instid0(VALU_DEP_2) | instskip(SKIP_1) | instid1(VALU_DEP_2)
	v_cndmask_b32_e32 v26, v26, v4, vcc_lo
	v_cmp_eq_u32_e32 vcc_lo, 3, v22
	v_cndmask_b32_e32 v26, v26, v5, vcc_lo
	v_cmp_eq_u32_e32 vcc_lo, 4, v22
	s_delay_alu instid0(VALU_DEP_2) | instskip(SKIP_1) | instid1(VALU_DEP_2)
	v_cndmask_b32_e32 v26, v26, v6, vcc_lo
	;; [unrolled: 5-line block ×9, first 2 shown]
	v_cmp_eq_u32_e32 vcc_lo, 19, v22
	v_cndmask_b32_e32 v26, v26, v21, vcc_lo
	v_cmp_lt_u32_e32 vcc_lo, 8, v22
	s_wait_dscnt 0x0
	s_delay_alu instid0(VALU_DEP_2) | instskip(SKIP_1) | instid1(SALU_CYCLE_1)
	v_fmac_f32_e32 v24, v26, v27
	s_or_b32 s2, vcc_lo, s2
	s_and_not1_b32 exec_lo, exec_lo, s2
	s_cbranch_execnz .LBB19_389
; %bb.390:
	s_or_b32 exec_lo, exec_lo, s2
.LBB19_391:
	s_delay_alu instid0(SALU_CYCLE_1)
	s_or_b32 exec_lo, exec_lo, s1
	v_mov_b32_e32 v12, 0
	ds_load_b32 v12, v12 offset:40
	s_wait_dscnt 0x0
	v_mul_f32_e32 v12, v24, v12
.LBB19_392:
	s_or_b32 exec_lo, exec_lo, s0
	s_delay_alu instid0(SALU_CYCLE_1)
	s_mov_b32 s0, exec_lo
	ds_store_b32 v109, v13
	s_wait_dscnt 0x0
	s_barrier_signal -1
	s_barrier_wait -1
	v_cmpx_gt_u32_e32 11, v0
	s_cbranch_execz .LBB19_402
; %bb.393:
	v_cmp_ne_u32_e32 vcc_lo, 1, v34
	s_cbranch_vccnz .LBB19_395
; %bb.394:
	v_cmp_eq_u32_e32 vcc_lo, 1, v0
	ds_load_b32 v23, v109
	v_cndmask_b32_e32 v22, v2, v3, vcc_lo
	v_cmp_eq_u32_e32 vcc_lo, 2, v0
	s_delay_alu instid0(VALU_DEP_2) | instskip(SKIP_1) | instid1(VALU_DEP_2)
	v_cndmask_b32_e32 v22, v22, v4, vcc_lo
	v_cmp_eq_u32_e32 vcc_lo, 3, v0
	v_cndmask_b32_e32 v22, v22, v5, vcc_lo
	v_cmp_eq_u32_e32 vcc_lo, 4, v0
	s_delay_alu instid0(VALU_DEP_2) | instskip(SKIP_1) | instid1(VALU_DEP_2)
	v_cndmask_b32_e32 v22, v22, v6, vcc_lo
	v_cmp_eq_u32_e32 vcc_lo, 5, v0
	v_cndmask_b32_e32 v22, v22, v7, vcc_lo
	v_cmp_eq_u32_e32 vcc_lo, 6, v0
	s_delay_alu instid0(VALU_DEP_2) | instskip(SKIP_1) | instid1(VALU_DEP_2)
	v_cndmask_b32_e32 v22, v22, v8, vcc_lo
	v_cmp_eq_u32_e32 vcc_lo, 7, v0
	v_cndmask_b32_e32 v22, v22, v9, vcc_lo
	v_cmp_eq_u32_e32 vcc_lo, 8, v0
	s_delay_alu instid0(VALU_DEP_2) | instskip(SKIP_1) | instid1(VALU_DEP_2)
	v_cndmask_b32_e32 v22, v22, v10, vcc_lo
	v_cmp_eq_u32_e32 vcc_lo, 9, v0
	v_cndmask_b32_e32 v22, v22, v11, vcc_lo
	v_cmp_eq_u32_e32 vcc_lo, 10, v0
	s_delay_alu instid0(VALU_DEP_2) | instskip(SKIP_1) | instid1(VALU_DEP_2)
	v_cndmask_b32_e32 v22, v22, v12, vcc_lo
	v_cmp_eq_u32_e32 vcc_lo, 11, v0
	v_cndmask_b32_e32 v22, v22, v13, vcc_lo
	v_cmp_eq_u32_e32 vcc_lo, 12, v0
	s_delay_alu instid0(VALU_DEP_2) | instskip(SKIP_1) | instid1(VALU_DEP_2)
	v_cndmask_b32_e32 v22, v22, v14, vcc_lo
	v_cmp_eq_u32_e32 vcc_lo, 13, v0
	v_cndmask_b32_e32 v22, v22, v15, vcc_lo
	v_cmp_eq_u32_e32 vcc_lo, 14, v0
	s_delay_alu instid0(VALU_DEP_2) | instskip(SKIP_1) | instid1(VALU_DEP_2)
	v_cndmask_b32_e32 v22, v22, v16, vcc_lo
	v_cmp_eq_u32_e32 vcc_lo, 15, v0
	v_cndmask_b32_e32 v22, v22, v17, vcc_lo
	v_cmp_eq_u32_e32 vcc_lo, 16, v0
	s_delay_alu instid0(VALU_DEP_2) | instskip(SKIP_1) | instid1(VALU_DEP_2)
	v_cndmask_b32_e32 v22, v22, v18, vcc_lo
	v_cmp_eq_u32_e32 vcc_lo, 17, v0
	v_cndmask_b32_e32 v22, v22, v19, vcc_lo
	v_cmp_eq_u32_e32 vcc_lo, 18, v0
	s_delay_alu instid0(VALU_DEP_2) | instskip(SKIP_1) | instid1(VALU_DEP_2)
	v_cndmask_b32_e32 v22, v22, v20, vcc_lo
	v_cmp_eq_u32_e32 vcc_lo, 19, v0
	v_cndmask_b32_e32 v22, v22, v21, vcc_lo
	s_wait_dscnt 0x0
	s_delay_alu instid0(VALU_DEP_1)
	v_mul_f32_e32 v24, v22, v23
	s_cbranch_execz .LBB19_396
	s_branch .LBB19_397
.LBB19_395:
                                        ; implicit-def: $vgpr24
.LBB19_396:
	ds_load_b32 v24, v109
.LBB19_397:
	s_mov_b32 s1, exec_lo
	v_cmpx_ne_u32_e32 10, v0
	s_cbranch_execz .LBB19_401
; %bb.398:
	v_mov_b64_e32 v[22:23], v[0:1]
	v_lshl_add_u32 v25, v0, 2, 0x54
	s_mov_b32 s2, 0
.LBB19_399:                             ; =>This Inner Loop Header: Depth=1
	s_delay_alu instid0(VALU_DEP_2)
	v_add_nc_u64_e32 v[22:23], 1, v[22:23]
	ds_load_b32 v27, v25
	v_add_nc_u32_e32 v25, 4, v25
	v_cmp_eq_u32_e32 vcc_lo, 1, v22
	v_cndmask_b32_e32 v26, v2, v3, vcc_lo
	v_cmp_eq_u32_e32 vcc_lo, 2, v22
	s_delay_alu instid0(VALU_DEP_2) | instskip(SKIP_1) | instid1(VALU_DEP_2)
	v_cndmask_b32_e32 v26, v26, v4, vcc_lo
	v_cmp_eq_u32_e32 vcc_lo, 3, v22
	v_cndmask_b32_e32 v26, v26, v5, vcc_lo
	v_cmp_eq_u32_e32 vcc_lo, 4, v22
	s_delay_alu instid0(VALU_DEP_2) | instskip(SKIP_1) | instid1(VALU_DEP_2)
	v_cndmask_b32_e32 v26, v26, v6, vcc_lo
	;; [unrolled: 5-line block ×9, first 2 shown]
	v_cmp_eq_u32_e32 vcc_lo, 19, v22
	v_cndmask_b32_e32 v26, v26, v21, vcc_lo
	v_cmp_lt_u32_e32 vcc_lo, 9, v22
	s_wait_dscnt 0x0
	s_delay_alu instid0(VALU_DEP_2) | instskip(SKIP_1) | instid1(SALU_CYCLE_1)
	v_fmac_f32_e32 v24, v26, v27
	s_or_b32 s2, vcc_lo, s2
	s_and_not1_b32 exec_lo, exec_lo, s2
	s_cbranch_execnz .LBB19_399
; %bb.400:
	s_or_b32 exec_lo, exec_lo, s2
.LBB19_401:
	s_delay_alu instid0(SALU_CYCLE_1)
	s_or_b32 exec_lo, exec_lo, s1
	v_mov_b32_e32 v13, 0
	ds_load_b32 v13, v13 offset:44
	s_wait_dscnt 0x0
	v_mul_f32_e32 v13, v24, v13
.LBB19_402:
	s_or_b32 exec_lo, exec_lo, s0
	s_delay_alu instid0(SALU_CYCLE_1)
	s_mov_b32 s0, exec_lo
	ds_store_b32 v109, v14
	s_wait_dscnt 0x0
	s_barrier_signal -1
	s_barrier_wait -1
	v_cmpx_gt_u32_e32 12, v0
	s_cbranch_execz .LBB19_412
; %bb.403:
	v_cmp_ne_u32_e32 vcc_lo, 1, v34
	s_cbranch_vccnz .LBB19_405
; %bb.404:
	v_cmp_eq_u32_e32 vcc_lo, 1, v0
	ds_load_b32 v23, v109
	v_cndmask_b32_e32 v22, v2, v3, vcc_lo
	v_cmp_eq_u32_e32 vcc_lo, 2, v0
	s_delay_alu instid0(VALU_DEP_2) | instskip(SKIP_1) | instid1(VALU_DEP_2)
	v_cndmask_b32_e32 v22, v22, v4, vcc_lo
	v_cmp_eq_u32_e32 vcc_lo, 3, v0
	v_cndmask_b32_e32 v22, v22, v5, vcc_lo
	v_cmp_eq_u32_e32 vcc_lo, 4, v0
	s_delay_alu instid0(VALU_DEP_2) | instskip(SKIP_1) | instid1(VALU_DEP_2)
	v_cndmask_b32_e32 v22, v22, v6, vcc_lo
	v_cmp_eq_u32_e32 vcc_lo, 5, v0
	;; [unrolled: 5-line block ×9, first 2 shown]
	v_cndmask_b32_e32 v22, v22, v21, vcc_lo
	s_wait_dscnt 0x0
	s_delay_alu instid0(VALU_DEP_1)
	v_mul_f32_e32 v24, v22, v23
	s_cbranch_execz .LBB19_406
	s_branch .LBB19_407
.LBB19_405:
                                        ; implicit-def: $vgpr24
.LBB19_406:
	ds_load_b32 v24, v109
.LBB19_407:
	s_mov_b32 s1, exec_lo
	v_cmpx_ne_u32_e32 11, v0
	s_cbranch_execz .LBB19_411
; %bb.408:
	v_mov_b64_e32 v[22:23], v[0:1]
	v_lshl_add_u32 v25, v0, 2, 0x54
	s_mov_b32 s2, 0
.LBB19_409:                             ; =>This Inner Loop Header: Depth=1
	s_delay_alu instid0(VALU_DEP_2)
	v_add_nc_u64_e32 v[22:23], 1, v[22:23]
	ds_load_b32 v27, v25
	v_add_nc_u32_e32 v25, 4, v25
	v_cmp_eq_u32_e32 vcc_lo, 1, v22
	v_cndmask_b32_e32 v26, v2, v3, vcc_lo
	v_cmp_eq_u32_e32 vcc_lo, 2, v22
	s_delay_alu instid0(VALU_DEP_2) | instskip(SKIP_1) | instid1(VALU_DEP_2)
	v_cndmask_b32_e32 v26, v26, v4, vcc_lo
	v_cmp_eq_u32_e32 vcc_lo, 3, v22
	v_cndmask_b32_e32 v26, v26, v5, vcc_lo
	v_cmp_eq_u32_e32 vcc_lo, 4, v22
	s_delay_alu instid0(VALU_DEP_2) | instskip(SKIP_1) | instid1(VALU_DEP_2)
	v_cndmask_b32_e32 v26, v26, v6, vcc_lo
	v_cmp_eq_u32_e32 vcc_lo, 5, v22
	v_cndmask_b32_e32 v26, v26, v7, vcc_lo
	v_cmp_eq_u32_e32 vcc_lo, 6, v22
	s_delay_alu instid0(VALU_DEP_2) | instskip(SKIP_1) | instid1(VALU_DEP_2)
	v_cndmask_b32_e32 v26, v26, v8, vcc_lo
	v_cmp_eq_u32_e32 vcc_lo, 7, v22
	v_cndmask_b32_e32 v26, v26, v9, vcc_lo
	v_cmp_eq_u32_e32 vcc_lo, 8, v22
	s_delay_alu instid0(VALU_DEP_2) | instskip(SKIP_1) | instid1(VALU_DEP_2)
	v_cndmask_b32_e32 v26, v26, v10, vcc_lo
	v_cmp_eq_u32_e32 vcc_lo, 9, v22
	v_cndmask_b32_e32 v26, v26, v11, vcc_lo
	v_cmp_eq_u32_e32 vcc_lo, 10, v22
	s_delay_alu instid0(VALU_DEP_2) | instskip(SKIP_1) | instid1(VALU_DEP_2)
	v_cndmask_b32_e32 v26, v26, v12, vcc_lo
	v_cmp_eq_u32_e32 vcc_lo, 11, v22
	v_cndmask_b32_e32 v26, v26, v13, vcc_lo
	v_cmp_eq_u32_e32 vcc_lo, 12, v22
	s_delay_alu instid0(VALU_DEP_2) | instskip(SKIP_1) | instid1(VALU_DEP_2)
	v_cndmask_b32_e32 v26, v26, v14, vcc_lo
	v_cmp_eq_u32_e32 vcc_lo, 13, v22
	v_cndmask_b32_e32 v26, v26, v15, vcc_lo
	v_cmp_eq_u32_e32 vcc_lo, 14, v22
	s_delay_alu instid0(VALU_DEP_2) | instskip(SKIP_1) | instid1(VALU_DEP_2)
	v_cndmask_b32_e32 v26, v26, v16, vcc_lo
	v_cmp_eq_u32_e32 vcc_lo, 15, v22
	v_cndmask_b32_e32 v26, v26, v17, vcc_lo
	v_cmp_eq_u32_e32 vcc_lo, 16, v22
	s_delay_alu instid0(VALU_DEP_2) | instskip(SKIP_1) | instid1(VALU_DEP_2)
	v_cndmask_b32_e32 v26, v26, v18, vcc_lo
	v_cmp_eq_u32_e32 vcc_lo, 17, v22
	v_cndmask_b32_e32 v26, v26, v19, vcc_lo
	v_cmp_eq_u32_e32 vcc_lo, 18, v22
	s_delay_alu instid0(VALU_DEP_2) | instskip(SKIP_1) | instid1(VALU_DEP_2)
	v_cndmask_b32_e32 v26, v26, v20, vcc_lo
	v_cmp_eq_u32_e32 vcc_lo, 19, v22
	v_cndmask_b32_e32 v26, v26, v21, vcc_lo
	v_cmp_lt_u32_e32 vcc_lo, 10, v22
	s_wait_dscnt 0x0
	s_delay_alu instid0(VALU_DEP_2) | instskip(SKIP_1) | instid1(SALU_CYCLE_1)
	v_fmac_f32_e32 v24, v26, v27
	s_or_b32 s2, vcc_lo, s2
	s_and_not1_b32 exec_lo, exec_lo, s2
	s_cbranch_execnz .LBB19_409
; %bb.410:
	s_or_b32 exec_lo, exec_lo, s2
.LBB19_411:
	s_delay_alu instid0(SALU_CYCLE_1)
	s_or_b32 exec_lo, exec_lo, s1
	v_mov_b32_e32 v14, 0
	ds_load_b32 v14, v14 offset:48
	s_wait_dscnt 0x0
	v_mul_f32_e32 v14, v24, v14
.LBB19_412:
	s_or_b32 exec_lo, exec_lo, s0
	s_delay_alu instid0(SALU_CYCLE_1)
	s_mov_b32 s0, exec_lo
	ds_store_b32 v109, v15
	s_wait_dscnt 0x0
	s_barrier_signal -1
	s_barrier_wait -1
	v_cmpx_gt_u32_e32 13, v0
	s_cbranch_execz .LBB19_422
; %bb.413:
	v_cmp_ne_u32_e32 vcc_lo, 1, v34
	s_cbranch_vccnz .LBB19_415
; %bb.414:
	v_cmp_eq_u32_e32 vcc_lo, 1, v0
	ds_load_b32 v23, v109
	v_cndmask_b32_e32 v22, v2, v3, vcc_lo
	v_cmp_eq_u32_e32 vcc_lo, 2, v0
	s_delay_alu instid0(VALU_DEP_2) | instskip(SKIP_1) | instid1(VALU_DEP_2)
	v_cndmask_b32_e32 v22, v22, v4, vcc_lo
	v_cmp_eq_u32_e32 vcc_lo, 3, v0
	v_cndmask_b32_e32 v22, v22, v5, vcc_lo
	v_cmp_eq_u32_e32 vcc_lo, 4, v0
	s_delay_alu instid0(VALU_DEP_2) | instskip(SKIP_1) | instid1(VALU_DEP_2)
	v_cndmask_b32_e32 v22, v22, v6, vcc_lo
	v_cmp_eq_u32_e32 vcc_lo, 5, v0
	;; [unrolled: 5-line block ×9, first 2 shown]
	v_cndmask_b32_e32 v22, v22, v21, vcc_lo
	s_wait_dscnt 0x0
	s_delay_alu instid0(VALU_DEP_1)
	v_mul_f32_e32 v24, v22, v23
	s_cbranch_execz .LBB19_416
	s_branch .LBB19_417
.LBB19_415:
                                        ; implicit-def: $vgpr24
.LBB19_416:
	ds_load_b32 v24, v109
.LBB19_417:
	s_mov_b32 s1, exec_lo
	v_cmpx_ne_u32_e32 12, v0
	s_cbranch_execz .LBB19_421
; %bb.418:
	v_mov_b64_e32 v[22:23], v[0:1]
	v_lshl_add_u32 v25, v0, 2, 0x54
	s_mov_b32 s2, 0
.LBB19_419:                             ; =>This Inner Loop Header: Depth=1
	s_delay_alu instid0(VALU_DEP_2)
	v_add_nc_u64_e32 v[22:23], 1, v[22:23]
	ds_load_b32 v27, v25
	v_add_nc_u32_e32 v25, 4, v25
	v_cmp_eq_u32_e32 vcc_lo, 1, v22
	v_cndmask_b32_e32 v26, v2, v3, vcc_lo
	v_cmp_eq_u32_e32 vcc_lo, 2, v22
	s_delay_alu instid0(VALU_DEP_2) | instskip(SKIP_1) | instid1(VALU_DEP_2)
	v_cndmask_b32_e32 v26, v26, v4, vcc_lo
	v_cmp_eq_u32_e32 vcc_lo, 3, v22
	v_cndmask_b32_e32 v26, v26, v5, vcc_lo
	v_cmp_eq_u32_e32 vcc_lo, 4, v22
	s_delay_alu instid0(VALU_DEP_2) | instskip(SKIP_1) | instid1(VALU_DEP_2)
	v_cndmask_b32_e32 v26, v26, v6, vcc_lo
	v_cmp_eq_u32_e32 vcc_lo, 5, v22
	v_cndmask_b32_e32 v26, v26, v7, vcc_lo
	v_cmp_eq_u32_e32 vcc_lo, 6, v22
	s_delay_alu instid0(VALU_DEP_2) | instskip(SKIP_1) | instid1(VALU_DEP_2)
	v_cndmask_b32_e32 v26, v26, v8, vcc_lo
	v_cmp_eq_u32_e32 vcc_lo, 7, v22
	v_cndmask_b32_e32 v26, v26, v9, vcc_lo
	v_cmp_eq_u32_e32 vcc_lo, 8, v22
	s_delay_alu instid0(VALU_DEP_2) | instskip(SKIP_1) | instid1(VALU_DEP_2)
	v_cndmask_b32_e32 v26, v26, v10, vcc_lo
	v_cmp_eq_u32_e32 vcc_lo, 9, v22
	v_cndmask_b32_e32 v26, v26, v11, vcc_lo
	v_cmp_eq_u32_e32 vcc_lo, 10, v22
	s_delay_alu instid0(VALU_DEP_2) | instskip(SKIP_1) | instid1(VALU_DEP_2)
	v_cndmask_b32_e32 v26, v26, v12, vcc_lo
	v_cmp_eq_u32_e32 vcc_lo, 11, v22
	v_cndmask_b32_e32 v26, v26, v13, vcc_lo
	v_cmp_eq_u32_e32 vcc_lo, 12, v22
	s_delay_alu instid0(VALU_DEP_2) | instskip(SKIP_1) | instid1(VALU_DEP_2)
	v_cndmask_b32_e32 v26, v26, v14, vcc_lo
	v_cmp_eq_u32_e32 vcc_lo, 13, v22
	v_cndmask_b32_e32 v26, v26, v15, vcc_lo
	v_cmp_eq_u32_e32 vcc_lo, 14, v22
	s_delay_alu instid0(VALU_DEP_2) | instskip(SKIP_1) | instid1(VALU_DEP_2)
	v_cndmask_b32_e32 v26, v26, v16, vcc_lo
	v_cmp_eq_u32_e32 vcc_lo, 15, v22
	v_cndmask_b32_e32 v26, v26, v17, vcc_lo
	v_cmp_eq_u32_e32 vcc_lo, 16, v22
	s_delay_alu instid0(VALU_DEP_2) | instskip(SKIP_1) | instid1(VALU_DEP_2)
	v_cndmask_b32_e32 v26, v26, v18, vcc_lo
	v_cmp_eq_u32_e32 vcc_lo, 17, v22
	v_cndmask_b32_e32 v26, v26, v19, vcc_lo
	v_cmp_eq_u32_e32 vcc_lo, 18, v22
	s_delay_alu instid0(VALU_DEP_2) | instskip(SKIP_1) | instid1(VALU_DEP_2)
	v_cndmask_b32_e32 v26, v26, v20, vcc_lo
	v_cmp_eq_u32_e32 vcc_lo, 19, v22
	v_cndmask_b32_e32 v26, v26, v21, vcc_lo
	v_cmp_lt_u32_e32 vcc_lo, 11, v22
	s_wait_dscnt 0x0
	s_delay_alu instid0(VALU_DEP_2) | instskip(SKIP_1) | instid1(SALU_CYCLE_1)
	v_fmac_f32_e32 v24, v26, v27
	s_or_b32 s2, vcc_lo, s2
	s_and_not1_b32 exec_lo, exec_lo, s2
	s_cbranch_execnz .LBB19_419
; %bb.420:
	s_or_b32 exec_lo, exec_lo, s2
.LBB19_421:
	s_delay_alu instid0(SALU_CYCLE_1)
	s_or_b32 exec_lo, exec_lo, s1
	v_mov_b32_e32 v15, 0
	ds_load_b32 v15, v15 offset:52
	s_wait_dscnt 0x0
	v_mul_f32_e32 v15, v24, v15
.LBB19_422:
	s_or_b32 exec_lo, exec_lo, s0
	s_delay_alu instid0(SALU_CYCLE_1)
	s_mov_b32 s0, exec_lo
	ds_store_b32 v109, v16
	s_wait_dscnt 0x0
	s_barrier_signal -1
	s_barrier_wait -1
	v_cmpx_gt_u32_e32 14, v0
	s_cbranch_execz .LBB19_432
; %bb.423:
	v_cmp_ne_u32_e32 vcc_lo, 1, v34
	s_cbranch_vccnz .LBB19_425
; %bb.424:
	v_cmp_eq_u32_e32 vcc_lo, 1, v0
	ds_load_b32 v23, v109
	v_cndmask_b32_e32 v22, v2, v3, vcc_lo
	v_cmp_eq_u32_e32 vcc_lo, 2, v0
	s_delay_alu instid0(VALU_DEP_2) | instskip(SKIP_1) | instid1(VALU_DEP_2)
	v_cndmask_b32_e32 v22, v22, v4, vcc_lo
	v_cmp_eq_u32_e32 vcc_lo, 3, v0
	v_cndmask_b32_e32 v22, v22, v5, vcc_lo
	v_cmp_eq_u32_e32 vcc_lo, 4, v0
	s_delay_alu instid0(VALU_DEP_2) | instskip(SKIP_1) | instid1(VALU_DEP_2)
	v_cndmask_b32_e32 v22, v22, v6, vcc_lo
	v_cmp_eq_u32_e32 vcc_lo, 5, v0
	;; [unrolled: 5-line block ×9, first 2 shown]
	v_cndmask_b32_e32 v22, v22, v21, vcc_lo
	s_wait_dscnt 0x0
	s_delay_alu instid0(VALU_DEP_1)
	v_mul_f32_e32 v24, v22, v23
	s_cbranch_execz .LBB19_426
	s_branch .LBB19_427
.LBB19_425:
                                        ; implicit-def: $vgpr24
.LBB19_426:
	ds_load_b32 v24, v109
.LBB19_427:
	s_mov_b32 s1, exec_lo
	v_cmpx_ne_u32_e32 13, v0
	s_cbranch_execz .LBB19_431
; %bb.428:
	v_mov_b64_e32 v[22:23], v[0:1]
	v_lshl_add_u32 v25, v0, 2, 0x54
	s_mov_b32 s2, 0
.LBB19_429:                             ; =>This Inner Loop Header: Depth=1
	s_delay_alu instid0(VALU_DEP_2)
	v_add_nc_u64_e32 v[22:23], 1, v[22:23]
	ds_load_b32 v27, v25
	v_add_nc_u32_e32 v25, 4, v25
	v_cmp_eq_u32_e32 vcc_lo, 1, v22
	v_cndmask_b32_e32 v26, v2, v3, vcc_lo
	v_cmp_eq_u32_e32 vcc_lo, 2, v22
	s_delay_alu instid0(VALU_DEP_2) | instskip(SKIP_1) | instid1(VALU_DEP_2)
	v_cndmask_b32_e32 v26, v26, v4, vcc_lo
	v_cmp_eq_u32_e32 vcc_lo, 3, v22
	v_cndmask_b32_e32 v26, v26, v5, vcc_lo
	v_cmp_eq_u32_e32 vcc_lo, 4, v22
	s_delay_alu instid0(VALU_DEP_2) | instskip(SKIP_1) | instid1(VALU_DEP_2)
	v_cndmask_b32_e32 v26, v26, v6, vcc_lo
	;; [unrolled: 5-line block ×9, first 2 shown]
	v_cmp_eq_u32_e32 vcc_lo, 19, v22
	v_cndmask_b32_e32 v26, v26, v21, vcc_lo
	v_cmp_lt_u32_e32 vcc_lo, 12, v22
	s_wait_dscnt 0x0
	s_delay_alu instid0(VALU_DEP_2) | instskip(SKIP_1) | instid1(SALU_CYCLE_1)
	v_fmac_f32_e32 v24, v26, v27
	s_or_b32 s2, vcc_lo, s2
	s_and_not1_b32 exec_lo, exec_lo, s2
	s_cbranch_execnz .LBB19_429
; %bb.430:
	s_or_b32 exec_lo, exec_lo, s2
.LBB19_431:
	s_delay_alu instid0(SALU_CYCLE_1)
	s_or_b32 exec_lo, exec_lo, s1
	v_mov_b32_e32 v16, 0
	ds_load_b32 v16, v16 offset:56
	s_wait_dscnt 0x0
	v_mul_f32_e32 v16, v24, v16
.LBB19_432:
	s_or_b32 exec_lo, exec_lo, s0
	s_delay_alu instid0(SALU_CYCLE_1)
	s_mov_b32 s0, exec_lo
	ds_store_b32 v109, v17
	s_wait_dscnt 0x0
	s_barrier_signal -1
	s_barrier_wait -1
	v_cmpx_gt_u32_e32 15, v0
	s_cbranch_execz .LBB19_442
; %bb.433:
	v_cmp_ne_u32_e32 vcc_lo, 1, v34
	s_cbranch_vccnz .LBB19_435
; %bb.434:
	v_cmp_eq_u32_e32 vcc_lo, 1, v0
	ds_load_b32 v23, v109
	v_cndmask_b32_e32 v22, v2, v3, vcc_lo
	v_cmp_eq_u32_e32 vcc_lo, 2, v0
	s_delay_alu instid0(VALU_DEP_2) | instskip(SKIP_1) | instid1(VALU_DEP_2)
	v_cndmask_b32_e32 v22, v22, v4, vcc_lo
	v_cmp_eq_u32_e32 vcc_lo, 3, v0
	v_cndmask_b32_e32 v22, v22, v5, vcc_lo
	v_cmp_eq_u32_e32 vcc_lo, 4, v0
	s_delay_alu instid0(VALU_DEP_2) | instskip(SKIP_1) | instid1(VALU_DEP_2)
	v_cndmask_b32_e32 v22, v22, v6, vcc_lo
	v_cmp_eq_u32_e32 vcc_lo, 5, v0
	;; [unrolled: 5-line block ×9, first 2 shown]
	v_cndmask_b32_e32 v22, v22, v21, vcc_lo
	s_wait_dscnt 0x0
	s_delay_alu instid0(VALU_DEP_1)
	v_mul_f32_e32 v24, v22, v23
	s_cbranch_execz .LBB19_436
	s_branch .LBB19_437
.LBB19_435:
                                        ; implicit-def: $vgpr24
.LBB19_436:
	ds_load_b32 v24, v109
.LBB19_437:
	s_mov_b32 s1, exec_lo
	v_cmpx_ne_u32_e32 14, v0
	s_cbranch_execz .LBB19_441
; %bb.438:
	v_mov_b64_e32 v[22:23], v[0:1]
	v_lshl_add_u32 v25, v0, 2, 0x54
	s_mov_b32 s2, 0
.LBB19_439:                             ; =>This Inner Loop Header: Depth=1
	s_delay_alu instid0(VALU_DEP_2)
	v_add_nc_u64_e32 v[22:23], 1, v[22:23]
	ds_load_b32 v27, v25
	v_add_nc_u32_e32 v25, 4, v25
	v_cmp_eq_u32_e32 vcc_lo, 1, v22
	v_cndmask_b32_e32 v26, v2, v3, vcc_lo
	v_cmp_eq_u32_e32 vcc_lo, 2, v22
	s_delay_alu instid0(VALU_DEP_2) | instskip(SKIP_1) | instid1(VALU_DEP_2)
	v_cndmask_b32_e32 v26, v26, v4, vcc_lo
	v_cmp_eq_u32_e32 vcc_lo, 3, v22
	v_cndmask_b32_e32 v26, v26, v5, vcc_lo
	v_cmp_eq_u32_e32 vcc_lo, 4, v22
	s_delay_alu instid0(VALU_DEP_2) | instskip(SKIP_1) | instid1(VALU_DEP_2)
	v_cndmask_b32_e32 v26, v26, v6, vcc_lo
	;; [unrolled: 5-line block ×9, first 2 shown]
	v_cmp_eq_u32_e32 vcc_lo, 19, v22
	v_cndmask_b32_e32 v26, v26, v21, vcc_lo
	v_cmp_lt_u32_e32 vcc_lo, 13, v22
	s_wait_dscnt 0x0
	s_delay_alu instid0(VALU_DEP_2) | instskip(SKIP_1) | instid1(SALU_CYCLE_1)
	v_fmac_f32_e32 v24, v26, v27
	s_or_b32 s2, vcc_lo, s2
	s_and_not1_b32 exec_lo, exec_lo, s2
	s_cbranch_execnz .LBB19_439
; %bb.440:
	s_or_b32 exec_lo, exec_lo, s2
.LBB19_441:
	s_delay_alu instid0(SALU_CYCLE_1)
	s_or_b32 exec_lo, exec_lo, s1
	v_mov_b32_e32 v17, 0
	ds_load_b32 v17, v17 offset:60
	s_wait_dscnt 0x0
	v_mul_f32_e32 v17, v24, v17
.LBB19_442:
	s_or_b32 exec_lo, exec_lo, s0
	s_delay_alu instid0(SALU_CYCLE_1)
	s_mov_b32 s0, exec_lo
	ds_store_b32 v109, v18
	s_wait_dscnt 0x0
	s_barrier_signal -1
	s_barrier_wait -1
	v_cmpx_gt_u32_e32 16, v0
	s_cbranch_execz .LBB19_452
; %bb.443:
	v_cmp_ne_u32_e32 vcc_lo, 1, v34
	s_cbranch_vccnz .LBB19_445
; %bb.444:
	v_cmp_eq_u32_e32 vcc_lo, 1, v0
	ds_load_b32 v23, v109
	v_cndmask_b32_e32 v22, v2, v3, vcc_lo
	v_cmp_eq_u32_e32 vcc_lo, 2, v0
	s_delay_alu instid0(VALU_DEP_2) | instskip(SKIP_1) | instid1(VALU_DEP_2)
	v_cndmask_b32_e32 v22, v22, v4, vcc_lo
	v_cmp_eq_u32_e32 vcc_lo, 3, v0
	v_cndmask_b32_e32 v22, v22, v5, vcc_lo
	v_cmp_eq_u32_e32 vcc_lo, 4, v0
	s_delay_alu instid0(VALU_DEP_2) | instskip(SKIP_1) | instid1(VALU_DEP_2)
	v_cndmask_b32_e32 v22, v22, v6, vcc_lo
	v_cmp_eq_u32_e32 vcc_lo, 5, v0
	;; [unrolled: 5-line block ×9, first 2 shown]
	v_cndmask_b32_e32 v22, v22, v21, vcc_lo
	s_wait_dscnt 0x0
	s_delay_alu instid0(VALU_DEP_1)
	v_mul_f32_e32 v24, v22, v23
	s_cbranch_execz .LBB19_446
	s_branch .LBB19_447
.LBB19_445:
                                        ; implicit-def: $vgpr24
.LBB19_446:
	ds_load_b32 v24, v109
.LBB19_447:
	s_mov_b32 s1, exec_lo
	v_cmpx_ne_u32_e32 15, v0
	s_cbranch_execz .LBB19_451
; %bb.448:
	v_mov_b64_e32 v[22:23], v[0:1]
	v_lshl_add_u32 v25, v0, 2, 0x54
	s_mov_b32 s2, 0
.LBB19_449:                             ; =>This Inner Loop Header: Depth=1
	s_delay_alu instid0(VALU_DEP_2)
	v_add_nc_u64_e32 v[22:23], 1, v[22:23]
	ds_load_b32 v27, v25
	v_add_nc_u32_e32 v25, 4, v25
	v_cmp_eq_u32_e32 vcc_lo, 1, v22
	v_cndmask_b32_e32 v26, v2, v3, vcc_lo
	v_cmp_eq_u32_e32 vcc_lo, 2, v22
	s_delay_alu instid0(VALU_DEP_2) | instskip(SKIP_1) | instid1(VALU_DEP_2)
	v_cndmask_b32_e32 v26, v26, v4, vcc_lo
	v_cmp_eq_u32_e32 vcc_lo, 3, v22
	v_cndmask_b32_e32 v26, v26, v5, vcc_lo
	v_cmp_eq_u32_e32 vcc_lo, 4, v22
	s_delay_alu instid0(VALU_DEP_2) | instskip(SKIP_1) | instid1(VALU_DEP_2)
	v_cndmask_b32_e32 v26, v26, v6, vcc_lo
	;; [unrolled: 5-line block ×9, first 2 shown]
	v_cmp_eq_u32_e32 vcc_lo, 19, v22
	v_cndmask_b32_e32 v26, v26, v21, vcc_lo
	v_cmp_lt_u32_e32 vcc_lo, 14, v22
	s_wait_dscnt 0x0
	s_delay_alu instid0(VALU_DEP_2) | instskip(SKIP_1) | instid1(SALU_CYCLE_1)
	v_fmac_f32_e32 v24, v26, v27
	s_or_b32 s2, vcc_lo, s2
	s_and_not1_b32 exec_lo, exec_lo, s2
	s_cbranch_execnz .LBB19_449
; %bb.450:
	s_or_b32 exec_lo, exec_lo, s2
.LBB19_451:
	s_delay_alu instid0(SALU_CYCLE_1)
	s_or_b32 exec_lo, exec_lo, s1
	v_mov_b32_e32 v18, 0
	ds_load_b32 v18, v18 offset:64
	s_wait_dscnt 0x0
	v_mul_f32_e32 v18, v24, v18
.LBB19_452:
	s_or_b32 exec_lo, exec_lo, s0
	s_delay_alu instid0(SALU_CYCLE_1)
	s_mov_b32 s0, exec_lo
	ds_store_b32 v109, v19
	s_wait_dscnt 0x0
	s_barrier_signal -1
	s_barrier_wait -1
	v_cmpx_gt_u32_e32 17, v0
	s_cbranch_execz .LBB19_462
; %bb.453:
	v_cmp_ne_u32_e32 vcc_lo, 1, v34
	s_cbranch_vccnz .LBB19_455
; %bb.454:
	v_cmp_eq_u32_e32 vcc_lo, 1, v0
	ds_load_b32 v23, v109
	v_cndmask_b32_e32 v22, v2, v3, vcc_lo
	v_cmp_eq_u32_e32 vcc_lo, 2, v0
	s_delay_alu instid0(VALU_DEP_2) | instskip(SKIP_1) | instid1(VALU_DEP_2)
	v_cndmask_b32_e32 v22, v22, v4, vcc_lo
	v_cmp_eq_u32_e32 vcc_lo, 3, v0
	v_cndmask_b32_e32 v22, v22, v5, vcc_lo
	v_cmp_eq_u32_e32 vcc_lo, 4, v0
	s_delay_alu instid0(VALU_DEP_2) | instskip(SKIP_1) | instid1(VALU_DEP_2)
	v_cndmask_b32_e32 v22, v22, v6, vcc_lo
	v_cmp_eq_u32_e32 vcc_lo, 5, v0
	v_cndmask_b32_e32 v22, v22, v7, vcc_lo
	v_cmp_eq_u32_e32 vcc_lo, 6, v0
	s_delay_alu instid0(VALU_DEP_2) | instskip(SKIP_1) | instid1(VALU_DEP_2)
	v_cndmask_b32_e32 v22, v22, v8, vcc_lo
	v_cmp_eq_u32_e32 vcc_lo, 7, v0
	v_cndmask_b32_e32 v22, v22, v9, vcc_lo
	v_cmp_eq_u32_e32 vcc_lo, 8, v0
	s_delay_alu instid0(VALU_DEP_2) | instskip(SKIP_1) | instid1(VALU_DEP_2)
	v_cndmask_b32_e32 v22, v22, v10, vcc_lo
	v_cmp_eq_u32_e32 vcc_lo, 9, v0
	v_cndmask_b32_e32 v22, v22, v11, vcc_lo
	v_cmp_eq_u32_e32 vcc_lo, 10, v0
	s_delay_alu instid0(VALU_DEP_2) | instskip(SKIP_1) | instid1(VALU_DEP_2)
	v_cndmask_b32_e32 v22, v22, v12, vcc_lo
	v_cmp_eq_u32_e32 vcc_lo, 11, v0
	v_cndmask_b32_e32 v22, v22, v13, vcc_lo
	v_cmp_eq_u32_e32 vcc_lo, 12, v0
	s_delay_alu instid0(VALU_DEP_2) | instskip(SKIP_1) | instid1(VALU_DEP_2)
	v_cndmask_b32_e32 v22, v22, v14, vcc_lo
	v_cmp_eq_u32_e32 vcc_lo, 13, v0
	v_cndmask_b32_e32 v22, v22, v15, vcc_lo
	v_cmp_eq_u32_e32 vcc_lo, 14, v0
	s_delay_alu instid0(VALU_DEP_2) | instskip(SKIP_1) | instid1(VALU_DEP_2)
	v_cndmask_b32_e32 v22, v22, v16, vcc_lo
	v_cmp_eq_u32_e32 vcc_lo, 15, v0
	v_cndmask_b32_e32 v22, v22, v17, vcc_lo
	v_cmp_eq_u32_e32 vcc_lo, 16, v0
	s_delay_alu instid0(VALU_DEP_2) | instskip(SKIP_1) | instid1(VALU_DEP_2)
	v_cndmask_b32_e32 v22, v22, v18, vcc_lo
	v_cmp_eq_u32_e32 vcc_lo, 17, v0
	v_cndmask_b32_e32 v22, v22, v19, vcc_lo
	v_cmp_eq_u32_e32 vcc_lo, 18, v0
	s_delay_alu instid0(VALU_DEP_2) | instskip(SKIP_1) | instid1(VALU_DEP_2)
	v_cndmask_b32_e32 v22, v22, v20, vcc_lo
	v_cmp_eq_u32_e32 vcc_lo, 19, v0
	v_cndmask_b32_e32 v22, v22, v21, vcc_lo
	s_wait_dscnt 0x0
	s_delay_alu instid0(VALU_DEP_1)
	v_mul_f32_e32 v24, v22, v23
	s_cbranch_execz .LBB19_456
	s_branch .LBB19_457
.LBB19_455:
                                        ; implicit-def: $vgpr24
.LBB19_456:
	ds_load_b32 v24, v109
.LBB19_457:
	s_mov_b32 s1, exec_lo
	v_cmpx_ne_u32_e32 16, v0
	s_cbranch_execz .LBB19_461
; %bb.458:
	v_mov_b64_e32 v[22:23], v[0:1]
	v_lshl_add_u32 v25, v0, 2, 0x54
	s_mov_b32 s2, 0
.LBB19_459:                             ; =>This Inner Loop Header: Depth=1
	s_delay_alu instid0(VALU_DEP_2)
	v_add_nc_u64_e32 v[22:23], 1, v[22:23]
	ds_load_b32 v27, v25
	v_add_nc_u32_e32 v25, 4, v25
	v_cmp_eq_u32_e32 vcc_lo, 1, v22
	v_cndmask_b32_e32 v26, v2, v3, vcc_lo
	v_cmp_eq_u32_e32 vcc_lo, 2, v22
	s_delay_alu instid0(VALU_DEP_2) | instskip(SKIP_1) | instid1(VALU_DEP_2)
	v_cndmask_b32_e32 v26, v26, v4, vcc_lo
	v_cmp_eq_u32_e32 vcc_lo, 3, v22
	v_cndmask_b32_e32 v26, v26, v5, vcc_lo
	v_cmp_eq_u32_e32 vcc_lo, 4, v22
	s_delay_alu instid0(VALU_DEP_2) | instskip(SKIP_1) | instid1(VALU_DEP_2)
	v_cndmask_b32_e32 v26, v26, v6, vcc_lo
	;; [unrolled: 5-line block ×9, first 2 shown]
	v_cmp_eq_u32_e32 vcc_lo, 19, v22
	v_cndmask_b32_e32 v26, v26, v21, vcc_lo
	v_cmp_lt_u32_e32 vcc_lo, 15, v22
	s_wait_dscnt 0x0
	s_delay_alu instid0(VALU_DEP_2) | instskip(SKIP_1) | instid1(SALU_CYCLE_1)
	v_fmac_f32_e32 v24, v26, v27
	s_or_b32 s2, vcc_lo, s2
	s_and_not1_b32 exec_lo, exec_lo, s2
	s_cbranch_execnz .LBB19_459
; %bb.460:
	s_or_b32 exec_lo, exec_lo, s2
.LBB19_461:
	s_delay_alu instid0(SALU_CYCLE_1)
	s_or_b32 exec_lo, exec_lo, s1
	v_mov_b32_e32 v19, 0
	ds_load_b32 v19, v19 offset:68
	s_wait_dscnt 0x0
	v_mul_f32_e32 v19, v24, v19
.LBB19_462:
	s_or_b32 exec_lo, exec_lo, s0
	v_cmp_gt_u32_e64 s0, 18, v0
	ds_store_b32 v109, v20
	s_wait_dscnt 0x0
	s_barrier_signal -1
	s_barrier_wait -1
	s_and_saveexec_b32 s1, s0
	s_cbranch_execz .LBB19_472
; %bb.463:
	v_cmp_ne_u32_e32 vcc_lo, 1, v34
	s_cbranch_vccnz .LBB19_465
; %bb.464:
	v_cmp_eq_u32_e32 vcc_lo, 1, v0
	ds_load_b32 v23, v109
	v_cndmask_b32_e32 v22, v2, v3, vcc_lo
	v_cmp_eq_u32_e32 vcc_lo, 2, v0
	s_delay_alu instid0(VALU_DEP_2) | instskip(SKIP_1) | instid1(VALU_DEP_2)
	v_cndmask_b32_e32 v22, v22, v4, vcc_lo
	v_cmp_eq_u32_e32 vcc_lo, 3, v0
	v_cndmask_b32_e32 v22, v22, v5, vcc_lo
	v_cmp_eq_u32_e32 vcc_lo, 4, v0
	s_delay_alu instid0(VALU_DEP_2) | instskip(SKIP_1) | instid1(VALU_DEP_2)
	v_cndmask_b32_e32 v22, v22, v6, vcc_lo
	v_cmp_eq_u32_e32 vcc_lo, 5, v0
	;; [unrolled: 5-line block ×9, first 2 shown]
	v_cndmask_b32_e32 v22, v22, v21, vcc_lo
	s_wait_dscnt 0x0
	s_delay_alu instid0(VALU_DEP_1)
	v_mul_f32_e32 v24, v22, v23
	s_cbranch_execz .LBB19_466
	s_branch .LBB19_467
.LBB19_465:
                                        ; implicit-def: $vgpr24
.LBB19_466:
	ds_load_b32 v24, v109
.LBB19_467:
	s_mov_b32 s2, exec_lo
	v_cmpx_ne_u32_e32 17, v0
	s_cbranch_execz .LBB19_471
; %bb.468:
	v_mov_b64_e32 v[22:23], v[0:1]
	v_lshl_add_u32 v25, v0, 2, 0x54
	s_mov_b32 s3, 0
.LBB19_469:                             ; =>This Inner Loop Header: Depth=1
	s_delay_alu instid0(VALU_DEP_2)
	v_add_nc_u64_e32 v[22:23], 1, v[22:23]
	ds_load_b32 v27, v25
	v_add_nc_u32_e32 v25, 4, v25
	v_cmp_eq_u32_e32 vcc_lo, 1, v22
	v_cndmask_b32_e32 v26, v2, v3, vcc_lo
	v_cmp_eq_u32_e32 vcc_lo, 2, v22
	s_delay_alu instid0(VALU_DEP_2) | instskip(SKIP_1) | instid1(VALU_DEP_2)
	v_cndmask_b32_e32 v26, v26, v4, vcc_lo
	v_cmp_eq_u32_e32 vcc_lo, 3, v22
	v_cndmask_b32_e32 v26, v26, v5, vcc_lo
	v_cmp_eq_u32_e32 vcc_lo, 4, v22
	s_delay_alu instid0(VALU_DEP_2) | instskip(SKIP_1) | instid1(VALU_DEP_2)
	v_cndmask_b32_e32 v26, v26, v6, vcc_lo
	;; [unrolled: 5-line block ×9, first 2 shown]
	v_cmp_eq_u32_e32 vcc_lo, 19, v22
	v_cndmask_b32_e32 v26, v26, v21, vcc_lo
	v_cmp_lt_u32_e32 vcc_lo, 16, v22
	s_wait_dscnt 0x0
	s_delay_alu instid0(VALU_DEP_2) | instskip(SKIP_1) | instid1(SALU_CYCLE_1)
	v_fmac_f32_e32 v24, v26, v27
	s_or_b32 s3, vcc_lo, s3
	s_and_not1_b32 exec_lo, exec_lo, s3
	s_cbranch_execnz .LBB19_469
; %bb.470:
	s_or_b32 exec_lo, exec_lo, s3
.LBB19_471:
	s_delay_alu instid0(SALU_CYCLE_1)
	s_or_b32 exec_lo, exec_lo, s2
	v_mov_b32_e32 v20, 0
	ds_load_b32 v20, v20 offset:72
	s_wait_dscnt 0x0
	v_mul_f32_e32 v20, v24, v20
.LBB19_472:
	s_or_b32 exec_lo, exec_lo, s1
	s_delay_alu instid0(SALU_CYCLE_1)
	s_mov_b32 s1, exec_lo
	ds_store_b32 v109, v21
	s_wait_dscnt 0x0
	s_barrier_signal -1
	s_barrier_wait -1
	v_cmpx_ne_u32_e32 19, v0
	s_cbranch_execz .LBB19_482
; %bb.473:
	v_cmp_ne_u32_e32 vcc_lo, 1, v34
	s_cbranch_vccnz .LBB19_475
; %bb.474:
	v_cmp_eq_u32_e32 vcc_lo, 1, v0
	ds_load_b32 v23, v109
	v_cndmask_b32_e32 v22, v2, v3, vcc_lo
	v_cmp_eq_u32_e32 vcc_lo, 2, v0
	s_delay_alu instid0(VALU_DEP_2) | instskip(SKIP_1) | instid1(VALU_DEP_2)
	v_cndmask_b32_e32 v22, v22, v4, vcc_lo
	v_cmp_eq_u32_e32 vcc_lo, 3, v0
	v_cndmask_b32_e32 v22, v22, v5, vcc_lo
	v_cmp_eq_u32_e32 vcc_lo, 4, v0
	s_delay_alu instid0(VALU_DEP_2) | instskip(SKIP_1) | instid1(VALU_DEP_2)
	v_cndmask_b32_e32 v22, v22, v6, vcc_lo
	v_cmp_eq_u32_e32 vcc_lo, 5, v0
	v_cndmask_b32_e32 v22, v22, v7, vcc_lo
	v_cmp_eq_u32_e32 vcc_lo, 6, v0
	s_delay_alu instid0(VALU_DEP_2) | instskip(SKIP_1) | instid1(VALU_DEP_2)
	v_cndmask_b32_e32 v22, v22, v8, vcc_lo
	v_cmp_eq_u32_e32 vcc_lo, 7, v0
	v_cndmask_b32_e32 v22, v22, v9, vcc_lo
	v_cmp_eq_u32_e32 vcc_lo, 8, v0
	s_delay_alu instid0(VALU_DEP_2) | instskip(SKIP_1) | instid1(VALU_DEP_2)
	v_cndmask_b32_e32 v22, v22, v10, vcc_lo
	v_cmp_eq_u32_e32 vcc_lo, 9, v0
	v_cndmask_b32_e32 v22, v22, v11, vcc_lo
	v_cmp_eq_u32_e32 vcc_lo, 10, v0
	s_delay_alu instid0(VALU_DEP_2) | instskip(SKIP_1) | instid1(VALU_DEP_2)
	v_cndmask_b32_e32 v22, v22, v12, vcc_lo
	v_cmp_eq_u32_e32 vcc_lo, 11, v0
	v_cndmask_b32_e32 v22, v22, v13, vcc_lo
	v_cmp_eq_u32_e32 vcc_lo, 12, v0
	s_delay_alu instid0(VALU_DEP_2) | instskip(SKIP_1) | instid1(VALU_DEP_2)
	v_cndmask_b32_e32 v22, v22, v14, vcc_lo
	v_cmp_eq_u32_e32 vcc_lo, 13, v0
	v_cndmask_b32_e32 v22, v22, v15, vcc_lo
	v_cmp_eq_u32_e32 vcc_lo, 14, v0
	s_delay_alu instid0(VALU_DEP_2) | instskip(SKIP_1) | instid1(VALU_DEP_2)
	v_cndmask_b32_e32 v22, v22, v16, vcc_lo
	v_cmp_eq_u32_e32 vcc_lo, 15, v0
	v_cndmask_b32_e32 v22, v22, v17, vcc_lo
	v_cmp_eq_u32_e32 vcc_lo, 16, v0
	s_delay_alu instid0(VALU_DEP_2) | instskip(SKIP_1) | instid1(VALU_DEP_2)
	v_cndmask_b32_e32 v22, v22, v18, vcc_lo
	v_cmp_eq_u32_e32 vcc_lo, 17, v0
	v_cndmask_b32_e32 v22, v22, v19, vcc_lo
	v_cmp_eq_u32_e32 vcc_lo, 18, v0
	s_delay_alu instid0(VALU_DEP_2) | instskip(SKIP_1) | instid1(VALU_DEP_2)
	v_cndmask_b32_e32 v22, v22, v20, vcc_lo
	v_cmp_eq_u32_e32 vcc_lo, 19, v0
	v_cndmask_b32_e32 v22, v22, v21, vcc_lo
	s_wait_dscnt 0x0
	s_delay_alu instid0(VALU_DEP_1)
	v_mul_f32_e32 v22, v22, v23
	s_cbranch_execz .LBB19_476
	s_branch .LBB19_477
.LBB19_475:
                                        ; implicit-def: $vgpr22
.LBB19_476:
	ds_load_b32 v22, v109
.LBB19_477:
	s_and_saveexec_b32 s2, s0
	s_cbranch_execz .LBB19_481
; %bb.478:
	v_lshl_add_u32 v23, v0, 2, 0x54
	s_mov_b32 s0, 0
.LBB19_479:                             ; =>This Inner Loop Header: Depth=1
	v_add_nc_u64_e32 v[0:1], 1, v[0:1]
	ds_load_b32 v25, v23
	v_add_nc_u32_e32 v23, 4, v23
	v_cmp_eq_u32_e32 vcc_lo, 1, v0
	v_cndmask_b32_e32 v24, v2, v3, vcc_lo
	v_cmp_eq_u32_e32 vcc_lo, 2, v0
	s_delay_alu instid0(VALU_DEP_2) | instskip(SKIP_1) | instid1(VALU_DEP_2)
	v_cndmask_b32_e32 v24, v24, v4, vcc_lo
	v_cmp_eq_u32_e32 vcc_lo, 3, v0
	v_cndmask_b32_e32 v24, v24, v5, vcc_lo
	v_cmp_eq_u32_e32 vcc_lo, 4, v0
	s_delay_alu instid0(VALU_DEP_2) | instskip(SKIP_1) | instid1(VALU_DEP_2)
	v_cndmask_b32_e32 v24, v24, v6, vcc_lo
	;; [unrolled: 5-line block ×9, first 2 shown]
	v_cmp_eq_u32_e32 vcc_lo, 19, v0
	v_cndmask_b32_e32 v24, v24, v21, vcc_lo
	v_cmp_lt_u32_e32 vcc_lo, 17, v0
	s_wait_dscnt 0x0
	s_delay_alu instid0(VALU_DEP_2) | instskip(SKIP_1) | instid1(SALU_CYCLE_1)
	v_fmac_f32_e32 v22, v24, v25
	s_or_b32 s0, vcc_lo, s0
	s_and_not1_b32 exec_lo, exec_lo, s0
	s_cbranch_execnz .LBB19_479
; %bb.480:
	s_or_b32 exec_lo, exec_lo, s0
.LBB19_481:
	s_delay_alu instid0(SALU_CYCLE_1)
	s_or_b32 exec_lo, exec_lo, s2
	v_mov_b32_e32 v0, 0
	ds_load_b32 v0, v0 offset:76
	s_wait_dscnt 0x0
	v_mul_f32_e32 v21, v22, v0
.LBB19_482:
	s_or_b32 exec_lo, exec_lo, s1
	v_mov_b64_e32 v[64:65], v[32:33]
	s_delay_alu instid0(VALU_DEP_2)
	v_mov_b64_e32 v[52:53], v[20:21]
	v_mov_b64_e32 v[50:51], v[18:19]
	;; [unrolled: 1-line block ×15, first 2 shown]
.LBB19_483:
	s_wait_xcnt 0x3
	v_lshl_add_u64 v[0:1], v[66:67], 2, s[22:23]
	s_wait_loadcnt 0x3
	v_lshl_add_u64 v[2:3], v[68:69], 2, s[22:23]
	v_lshl_add_u64 v[4:5], v[70:71], 2, s[22:23]
	;; [unrolled: 1-line block ×8, first 2 shown]
	s_wait_loadcnt 0x2
	v_lshl_add_u64 v[18:19], v[84:85], 2, s[22:23]
	s_wait_loadcnt 0x0
	v_lshl_add_u64 v[20:21], v[86:87], 2, s[22:23]
	v_lshl_add_u64 v[22:23], v[88:89], 2, s[22:23]
	;; [unrolled: 1-line block ×8, first 2 shown]
	s_clause 0x13
	global_store_b32 v[90:91], v34, off
	global_store_b32 v[96:97], v35, off
	global_store_b32 v[0:1], v36, off
	global_store_b32 v[2:3], v37, off
	global_store_b32 v[4:5], v38, off
	global_store_b32 v[6:7], v39, off
	global_store_b32 v[8:9], v40, off
	global_store_b32 v[10:11], v41, off
	global_store_b32 v[12:13], v42, off
	global_store_b32 v[14:15], v43, off
	global_store_b32 v[16:17], v44, off
	global_store_b32 v[18:19], v45, off
	global_store_b32 v[20:21], v46, off
	global_store_b32 v[22:23], v47, off
	global_store_b32 v[24:25], v48, off
	global_store_b32 v[26:27], v49, off
	global_store_b32 v[28:29], v50, off
	global_store_b32 v[30:31], v51, off
	global_store_b32 v[32:33], v52, off
	global_store_b32 v[54:55], v53, off
.LBB19_484:
	s_sendmsg sendmsg(MSG_DEALLOC_VGPRS)
	s_endpgm
	.section	.rodata,"a",@progbits
	.p2align	6, 0x0
	.amdhsa_kernel _ZN9rocsolver6v33100L18trti2_kernel_smallILi20EfPfEEv13rocblas_fill_17rocblas_diagonal_T1_iil
		.amdhsa_group_segment_fixed_size 160
		.amdhsa_private_segment_fixed_size 0
		.amdhsa_kernarg_size 32
		.amdhsa_user_sgpr_count 2
		.amdhsa_user_sgpr_dispatch_ptr 0
		.amdhsa_user_sgpr_queue_ptr 0
		.amdhsa_user_sgpr_kernarg_segment_ptr 1
		.amdhsa_user_sgpr_dispatch_id 0
		.amdhsa_user_sgpr_kernarg_preload_length 0
		.amdhsa_user_sgpr_kernarg_preload_offset 0
		.amdhsa_user_sgpr_private_segment_size 0
		.amdhsa_wavefront_size32 1
		.amdhsa_uses_dynamic_stack 0
		.amdhsa_enable_private_segment 0
		.amdhsa_system_sgpr_workgroup_id_x 1
		.amdhsa_system_sgpr_workgroup_id_y 0
		.amdhsa_system_sgpr_workgroup_id_z 0
		.amdhsa_system_sgpr_workgroup_info 0
		.amdhsa_system_vgpr_workitem_id 0
		.amdhsa_next_free_vgpr 121
		.amdhsa_next_free_sgpr 28
		.amdhsa_named_barrier_count 0
		.amdhsa_reserve_vcc 1
		.amdhsa_float_round_mode_32 0
		.amdhsa_float_round_mode_16_64 0
		.amdhsa_float_denorm_mode_32 3
		.amdhsa_float_denorm_mode_16_64 3
		.amdhsa_fp16_overflow 0
		.amdhsa_memory_ordered 1
		.amdhsa_forward_progress 1
		.amdhsa_inst_pref_size 225
		.amdhsa_round_robin_scheduling 0
		.amdhsa_exception_fp_ieee_invalid_op 0
		.amdhsa_exception_fp_denorm_src 0
		.amdhsa_exception_fp_ieee_div_zero 0
		.amdhsa_exception_fp_ieee_overflow 0
		.amdhsa_exception_fp_ieee_underflow 0
		.amdhsa_exception_fp_ieee_inexact 0
		.amdhsa_exception_int_div_zero 0
	.end_amdhsa_kernel
	.section	.text._ZN9rocsolver6v33100L18trti2_kernel_smallILi20EfPfEEv13rocblas_fill_17rocblas_diagonal_T1_iil,"axG",@progbits,_ZN9rocsolver6v33100L18trti2_kernel_smallILi20EfPfEEv13rocblas_fill_17rocblas_diagonal_T1_iil,comdat
.Lfunc_end19:
	.size	_ZN9rocsolver6v33100L18trti2_kernel_smallILi20EfPfEEv13rocblas_fill_17rocblas_diagonal_T1_iil, .Lfunc_end19-_ZN9rocsolver6v33100L18trti2_kernel_smallILi20EfPfEEv13rocblas_fill_17rocblas_diagonal_T1_iil
                                        ; -- End function
	.set _ZN9rocsolver6v33100L18trti2_kernel_smallILi20EfPfEEv13rocblas_fill_17rocblas_diagonal_T1_iil.num_vgpr, 121
	.set _ZN9rocsolver6v33100L18trti2_kernel_smallILi20EfPfEEv13rocblas_fill_17rocblas_diagonal_T1_iil.num_agpr, 0
	.set _ZN9rocsolver6v33100L18trti2_kernel_smallILi20EfPfEEv13rocblas_fill_17rocblas_diagonal_T1_iil.numbered_sgpr, 28
	.set _ZN9rocsolver6v33100L18trti2_kernel_smallILi20EfPfEEv13rocblas_fill_17rocblas_diagonal_T1_iil.num_named_barrier, 0
	.set _ZN9rocsolver6v33100L18trti2_kernel_smallILi20EfPfEEv13rocblas_fill_17rocblas_diagonal_T1_iil.private_seg_size, 0
	.set _ZN9rocsolver6v33100L18trti2_kernel_smallILi20EfPfEEv13rocblas_fill_17rocblas_diagonal_T1_iil.uses_vcc, 1
	.set _ZN9rocsolver6v33100L18trti2_kernel_smallILi20EfPfEEv13rocblas_fill_17rocblas_diagonal_T1_iil.uses_flat_scratch, 0
	.set _ZN9rocsolver6v33100L18trti2_kernel_smallILi20EfPfEEv13rocblas_fill_17rocblas_diagonal_T1_iil.has_dyn_sized_stack, 0
	.set _ZN9rocsolver6v33100L18trti2_kernel_smallILi20EfPfEEv13rocblas_fill_17rocblas_diagonal_T1_iil.has_recursion, 0
	.set _ZN9rocsolver6v33100L18trti2_kernel_smallILi20EfPfEEv13rocblas_fill_17rocblas_diagonal_T1_iil.has_indirect_call, 0
	.section	.AMDGPU.csdata,"",@progbits
; Kernel info:
; codeLenInByte = 28688
; TotalNumSgprs: 30
; NumVgprs: 121
; ScratchSize: 0
; MemoryBound: 0
; FloatMode: 240
; IeeeMode: 1
; LDSByteSize: 160 bytes/workgroup (compile time only)
; SGPRBlocks: 0
; VGPRBlocks: 7
; NumSGPRsForWavesPerEU: 30
; NumVGPRsForWavesPerEU: 121
; NamedBarCnt: 0
; Occupancy: 8
; WaveLimiterHint : 0
; COMPUTE_PGM_RSRC2:SCRATCH_EN: 0
; COMPUTE_PGM_RSRC2:USER_SGPR: 2
; COMPUTE_PGM_RSRC2:TRAP_HANDLER: 0
; COMPUTE_PGM_RSRC2:TGID_X_EN: 1
; COMPUTE_PGM_RSRC2:TGID_Y_EN: 0
; COMPUTE_PGM_RSRC2:TGID_Z_EN: 0
; COMPUTE_PGM_RSRC2:TIDIG_COMP_CNT: 0
	.section	.text._ZN9rocsolver6v33100L18trti2_kernel_smallILi21EfPfEEv13rocblas_fill_17rocblas_diagonal_T1_iil,"axG",@progbits,_ZN9rocsolver6v33100L18trti2_kernel_smallILi21EfPfEEv13rocblas_fill_17rocblas_diagonal_T1_iil,comdat
	.globl	_ZN9rocsolver6v33100L18trti2_kernel_smallILi21EfPfEEv13rocblas_fill_17rocblas_diagonal_T1_iil ; -- Begin function _ZN9rocsolver6v33100L18trti2_kernel_smallILi21EfPfEEv13rocblas_fill_17rocblas_diagonal_T1_iil
	.p2align	8
	.type	_ZN9rocsolver6v33100L18trti2_kernel_smallILi21EfPfEEv13rocblas_fill_17rocblas_diagonal_T1_iil,@function
_ZN9rocsolver6v33100L18trti2_kernel_smallILi21EfPfEEv13rocblas_fill_17rocblas_diagonal_T1_iil: ; @_ZN9rocsolver6v33100L18trti2_kernel_smallILi21EfPfEEv13rocblas_fill_17rocblas_diagonal_T1_iil
; %bb.0:
	s_mov_b32 s2, exec_lo
	v_cmpx_gt_u32_e32 21, v0
	s_cbranch_execz .LBB20_510
; %bb.1:
	s_load_b256 s[24:31], s[0:1], 0x0
	s_wait_xcnt 0x0
	s_bfe_u32 s0, ttmp6, 0x4000c
	s_and_b32 s1, ttmp6, 15
	s_add_co_i32 s0, s0, 1
	s_getreg_b32 s2, hwreg(HW_REG_IB_STS2, 6, 4)
	s_mul_i32 s0, ttmp9, s0
	v_mov_b32_e32 v1, 0
	s_add_co_i32 s0, s1, s0
	s_delay_alu instid0(VALU_DEP_1)
	v_dual_mov_b32 v35, v1 :: v_dual_lshlrev_b32 v34, 2, v0
	s_wait_kmcnt 0x0
	v_add3_u32 v66, s29, s29, v0
	s_ashr_i32 s1, s28, 31
	s_cmp_eq_u32 s2, 0
	s_cselect_b32 s2, ttmp9, s0
	s_delay_alu instid0(VALU_DEP_1)
	v_add_nc_u32_e32 v68, s29, v66
	s_ashr_i32 s3, s2, 31
	s_mov_b32 s0, s28
	s_mul_u64 s[2:3], s[30:31], s[2:3]
	s_lshl_b64 s[0:1], s[0:1], 2
	v_add_nc_u32_e32 v70, s29, v68
	s_lshl_b64 s[2:3], s[2:3], 2
	s_delay_alu instid0(SALU_CYCLE_1) | instskip(NEXT) | instid1(VALU_DEP_1)
	s_add_nc_u64 s[2:3], s[26:27], s[2:3]
	v_add_nc_u32_e32 v72, s29, v70
	s_add_nc_u64 s[22:23], s[2:3], s[0:1]
	s_mov_b32 s0, s29
	s_ashr_i32 s1, s29, 31
	s_cmp_lg_u32 s25, 0x84
	v_add_nc_u32_e32 v74, s29, v72
	s_cselect_b32 s21, -1, 0
	s_cmp_eq_u32 s25, 0x84
	v_add_nc_u64_e32 v[90:91], s[22:23], v[34:35]
	s_delay_alu instid0(VALU_DEP_2) | instskip(NEXT) | instid1(VALU_DEP_1)
	v_dual_mov_b32 v35, -1.0 :: v_dual_add_nc_u32 v76, s29, v74
	v_add_nc_u32_e32 v78, s29, v76
	s_delay_alu instid0(VALU_DEP_3)
	v_lshl_add_u64 v[94:95], s[0:1], 2, v[90:91]
	v_cmp_eq_u32_e64 s0, 0, v0
	s_clause 0x7
	global_load_b32 v3, v[94:95], off
	global_load_b32 v4, v66, s[22:23] scale_offset
	global_load_b32 v5, v68, s[22:23] scale_offset
	;; [unrolled: 1-line block ×7, first 2 shown]
	v_add_nc_u32_e32 v80, s29, v78
	s_delay_alu instid0(VALU_DEP_1) | instskip(NEXT) | instid1(VALU_DEP_1)
	v_add_nc_u32_e32 v82, s29, v80
	v_add_nc_u32_e32 v84, s29, v82
	s_delay_alu instid0(VALU_DEP_1) | instskip(NEXT) | instid1(VALU_DEP_1)
	v_add_nc_u32_e32 v86, s29, v84
	v_add_nc_u32_e32 v88, s29, v86
	s_delay_alu instid0(VALU_DEP_1) | instskip(NEXT) | instid1(VALU_DEP_1)
	v_add_nc_u32_e32 v92, s29, v88
	v_add_nc_u32_e32 v96, s29, v92
	s_delay_alu instid0(VALU_DEP_1) | instskip(NEXT) | instid1(VALU_DEP_1)
	v_add_nc_u32_e32 v98, s29, v96
	v_add_nc_u32_e32 v100, s29, v98
	s_delay_alu instid0(VALU_DEP_1) | instskip(NEXT) | instid1(VALU_DEP_1)
	v_add_nc_u32_e32 v102, s29, v100
	v_add_nc_u32_e32 v104, s29, v102
	s_clause 0x7
	global_load_b32 v11, v80, s[22:23] scale_offset
	global_load_b32 v12, v82, s[22:23] scale_offset
	;; [unrolled: 1-line block ×8, first 2 shown]
	v_add_nc_u32_e32 v106, s29, v104
	s_clause 0x4
	global_load_b32 v2, v0, s[22:23] scale_offset
	global_load_b32 v19, v100, s[22:23] scale_offset
	;; [unrolled: 1-line block ×5, first 2 shown]
	s_cbranch_scc1 .LBB20_3
; %bb.2:
	v_cmp_eq_u32_e64 s1, 1, v0
	v_cmp_eq_u32_e64 s2, 2, v0
	;; [unrolled: 1-line block ×5, first 2 shown]
	s_wait_loadcnt 0x4
	v_cndmask_b32_e64 v23, v2, v3, s1
	v_cmp_eq_u32_e64 s6, 6, v0
	v_cmp_eq_u32_e64 s7, 7, v0
	v_cmp_eq_u32_e64 s8, 8, v0
	v_cmp_eq_u32_e64 s9, 9, v0
	v_cndmask_b32_e64 v23, v23, v4, s2
	v_cmp_eq_u32_e64 s10, 10, v0
	v_cmp_eq_u32_e64 s11, 11, v0
	v_cmp_eq_u32_e64 s12, 12, v0
	v_cmp_eq_u32_e64 s13, 13, v0
	;; [unrolled: 5-line block ×3, first 2 shown]
	v_cndmask_b32_e64 v23, v23, v6, s4
	v_cmp_eq_u32_e64 s18, 18, v0
	v_cmp_eq_u32_e64 s19, 19, v0
	;; [unrolled: 1-line block ×3, first 2 shown]
	s_delay_alu instid0(VALU_DEP_4) | instskip(NEXT) | instid1(VALU_DEP_1)
	v_cndmask_b32_e64 v23, v23, v7, s5
	v_cndmask_b32_e64 v23, v23, v8, s6
	s_delay_alu instid0(VALU_DEP_1) | instskip(NEXT) | instid1(VALU_DEP_1)
	v_cndmask_b32_e64 v23, v23, v9, s7
	v_cndmask_b32_e64 v23, v23, v10, s8
	s_delay_alu instid0(VALU_DEP_1) | instskip(NEXT) | instid1(VALU_DEP_1)
	;; [unrolled: 3-line block ×5, first 2 shown]
	v_cndmask_b32_e64 v23, v23, v17, s15
	v_cndmask_b32_e64 v23, v23, v18, s16
	s_wait_loadcnt 0x3
	s_delay_alu instid0(VALU_DEP_1) | instskip(SKIP_1) | instid1(VALU_DEP_1)
	v_cndmask_b32_e64 v23, v23, v19, s17
	s_wait_loadcnt 0x2
	v_cndmask_b32_e64 v23, v23, v20, s18
	s_wait_loadcnt 0x1
	s_delay_alu instid0(VALU_DEP_1) | instskip(SKIP_1) | instid1(VALU_DEP_1)
	v_cndmask_b32_e64 v23, v23, v21, s19
	s_wait_loadcnt 0x0
	v_cndmask_b32_e64 v23, v23, v22, s20
	s_delay_alu instid0(VALU_DEP_1) | instskip(SKIP_1) | instid1(VALU_DEP_2)
	v_div_scale_f32 v24, null, v23, v23, 1.0
	v_div_scale_f32 v27, vcc_lo, 1.0, v23, 1.0
	v_rcp_f32_e32 v25, v24
	v_nop
	s_delay_alu instid0(TRANS32_DEP_1) | instskip(NEXT) | instid1(VALU_DEP_1)
	v_fma_f32 v26, -v24, v25, 1.0
	v_fmac_f32_e32 v25, v26, v25
	s_delay_alu instid0(VALU_DEP_1) | instskip(NEXT) | instid1(VALU_DEP_1)
	v_mul_f32_e32 v26, v27, v25
	v_fma_f32 v28, -v24, v26, v27
	s_delay_alu instid0(VALU_DEP_1) | instskip(NEXT) | instid1(VALU_DEP_1)
	v_fmac_f32_e32 v26, v28, v25
	v_fma_f32 v24, -v24, v26, v27
	s_delay_alu instid0(VALU_DEP_1) | instskip(NEXT) | instid1(VALU_DEP_1)
	v_div_fmas_f32 v24, v24, v25, v26
	v_div_fixup_f32 v23, v24, v23, 1.0
	s_delay_alu instid0(VALU_DEP_1)
	v_dual_cndmask_b32 v22, v22, v23, s20 :: v_dual_cndmask_b32 v21, v21, v23, s19
	v_dual_cndmask_b32 v20, v20, v23, s18 :: v_dual_cndmask_b32 v19, v19, v23, s17
	;; [unrolled: 1-line block ×10, first 2 shown]
	v_cndmask_b32_e64 v2, v2, v23, s0
	v_xor_b32_e32 v35, 0x80000000, v23
.LBB20_3:
	v_dual_ashrrev_i32 v67, 31, v66 :: v_dual_ashrrev_i32 v69, 31, v68
	v_dual_ashrrev_i32 v71, 31, v70 :: v_dual_ashrrev_i32 v73, 31, v72
	v_dual_ashrrev_i32 v75, 31, v74 :: v_dual_ashrrev_i32 v77, 31, v76
	v_dual_ashrrev_i32 v79, 31, v78 :: v_dual_ashrrev_i32 v81, 31, v80
	v_dual_ashrrev_i32 v83, 31, v82 :: v_dual_ashrrev_i32 v85, 31, v84
	v_dual_ashrrev_i32 v87, 31, v86 :: v_dual_ashrrev_i32 v89, 31, v88
	v_dual_ashrrev_i32 v93, 31, v92 :: v_dual_ashrrev_i32 v99, 31, v98
	v_dual_ashrrev_i32 v97, 31, v96 :: v_dual_ashrrev_i32 v103, 31, v102
	v_dual_ashrrev_i32 v101, 31, v100 :: v_dual_ashrrev_i32 v107, 31, v106
	v_ashrrev_i32_e32 v105, 31, v104
	v_add_nc_u32_e32 v111, 0x60, v34
	s_cmp_eq_u32 s24, 0x79
	ds_store_b32 v34, v35
	s_cbranch_scc1 .LBB20_7
; %bb.4:
	s_wait_loadcnt 0x0
	v_mov_b64_e32 v[64:65], v[32:33]
	v_mov_b64_e32 v[62:63], v[30:31]
	;; [unrolled: 1-line block ×16, first 2 shown]
	v_cmp_eq_u32_e64 s1, 20, v0
	ds_store_b32 v111, v21
	s_wait_dscnt 0x0
	s_barrier_signal -1
	s_barrier_wait -1
	s_and_saveexec_b32 s0, s1
	s_cbranch_execz .LBB20_11
; %bb.5:
	s_and_b32 vcc_lo, exec_lo, s21
	s_cbranch_vccz .LBB20_8
; %bb.6:
	v_cmp_eq_u32_e32 vcc_lo, 1, v0
	ds_load_b32 v35, v111
	v_cndmask_b32_e32 v34, v2, v3, vcc_lo
	v_cmp_eq_u32_e32 vcc_lo, 2, v0
	s_delay_alu instid0(VALU_DEP_2) | instskip(SKIP_1) | instid1(VALU_DEP_2)
	v_cndmask_b32_e32 v34, v34, v4, vcc_lo
	v_cmp_eq_u32_e32 vcc_lo, 3, v0
	v_cndmask_b32_e32 v34, v34, v5, vcc_lo
	v_cmp_eq_u32_e32 vcc_lo, 4, v0
	s_delay_alu instid0(VALU_DEP_2) | instskip(SKIP_1) | instid1(VALU_DEP_2)
	v_cndmask_b32_e32 v34, v34, v6, vcc_lo
	v_cmp_eq_u32_e32 vcc_lo, 5, v0
	;; [unrolled: 5-line block ×9, first 2 shown]
	v_cndmask_b32_e32 v34, v34, v21, vcc_lo
	v_cmp_eq_u32_e32 vcc_lo, 20, v0
	s_delay_alu instid0(VALU_DEP_2) | instskip(SKIP_1) | instid1(VALU_DEP_1)
	v_cndmask_b32_e32 v34, v34, v22, vcc_lo
	s_wait_dscnt 0x0
	v_mul_f32_e32 v53, v34, v35
	s_cbranch_execz .LBB20_9
	s_branch .LBB20_10
.LBB20_7:
                                        ; implicit-def: $vgpr34_vgpr35_vgpr36_vgpr37_vgpr38_vgpr39_vgpr40_vgpr41_vgpr42_vgpr43_vgpr44_vgpr45_vgpr46_vgpr47_vgpr48_vgpr49_vgpr50_vgpr51_vgpr52_vgpr53_vgpr54_vgpr55_vgpr56_vgpr57_vgpr58_vgpr59_vgpr60_vgpr61_vgpr62_vgpr63_vgpr64_vgpr65
	s_cbranch_execnz .LBB20_306
	s_branch .LBB20_509
.LBB20_8:
                                        ; implicit-def: $vgpr53
.LBB20_9:
	ds_load_b32 v53, v111
.LBB20_10:
	v_dual_mov_b32 v34, 0 :: v_dual_mov_b32 v35, v3
	v_dual_mov_b32 v37, v5 :: v_dual_mov_b32 v38, v6
	v_dual_mov_b32 v39, v7 :: v_dual_mov_b32 v40, v8
	ds_load_b32 v54, v34 offset:76
	v_dual_mov_b32 v34, v2 :: v_dual_mov_b32 v36, v4
	v_dual_mov_b32 v41, v9 :: v_dual_mov_b32 v42, v10
	;; [unrolled: 1-line block ×7, first 2 shown]
	s_wait_dscnt 0x0
	v_dual_mul_f32 v53, v53, v54 :: v_dual_mov_b32 v54, v22
.LBB20_11:
	s_or_b32 exec_lo, exec_lo, s0
	v_cmp_lt_u32_e64 s0, 18, v0
	ds_store_b32 v111, v52
	s_wait_dscnt 0x0
	s_barrier_signal -1
	s_barrier_wait -1
	s_and_saveexec_b32 s2, s0
	s_cbranch_execz .LBB20_17
; %bb.12:
	s_and_not1_b32 vcc_lo, exec_lo, s21
	s_cbranch_vccnz .LBB20_14
; %bb.13:
	v_cmp_eq_u32_e32 vcc_lo, 1, v0
	ds_load_b32 v56, v111
	v_cndmask_b32_e32 v55, v34, v35, vcc_lo
	v_cmp_eq_u32_e32 vcc_lo, 2, v0
	s_delay_alu instid0(VALU_DEP_2) | instskip(SKIP_1) | instid1(VALU_DEP_2)
	v_cndmask_b32_e32 v55, v55, v36, vcc_lo
	v_cmp_eq_u32_e32 vcc_lo, 3, v0
	v_cndmask_b32_e32 v55, v55, v37, vcc_lo
	v_cmp_eq_u32_e32 vcc_lo, 4, v0
	s_delay_alu instid0(VALU_DEP_2) | instskip(SKIP_1) | instid1(VALU_DEP_2)
	v_cndmask_b32_e32 v55, v55, v38, vcc_lo
	v_cmp_eq_u32_e32 vcc_lo, 5, v0
	;; [unrolled: 5-line block ×9, first 2 shown]
	v_cndmask_b32_e32 v52, v52, v53, vcc_lo
	v_cmp_eq_u32_e32 vcc_lo, 20, v0
	s_delay_alu instid0(VALU_DEP_2) | instskip(SKIP_1) | instid1(VALU_DEP_1)
	v_cndmask_b32_e32 v52, v52, v54, vcc_lo
	s_wait_dscnt 0x0
	v_mul_f32_e32 v52, v52, v56
	s_cbranch_execz .LBB20_15
	s_branch .LBB20_16
.LBB20_14:
                                        ; implicit-def: $vgpr52
.LBB20_15:
	ds_load_b32 v52, v111
.LBB20_16:
	v_mov_b32_e32 v55, 0
	ds_load_2addr_b32 v[56:57], v55 offset0:18 offset1:43
	s_wait_dscnt 0x0
	v_fma_f32 v55, v53, v57, v52
	s_delay_alu instid0(VALU_DEP_1) | instskip(NEXT) | instid1(VALU_DEP_1)
	v_cndmask_b32_e64 v52, v52, v55, s1
	v_mul_f32_e32 v52, v52, v56
.LBB20_17:
	s_or_b32 exec_lo, exec_lo, s2
	v_cmp_lt_u32_e64 s1, 17, v0
	ds_store_b32 v111, v51
	s_wait_dscnt 0x0
	s_barrier_signal -1
	s_barrier_wait -1
	s_and_saveexec_b32 s4, s1
	s_cbranch_execz .LBB20_33
; %bb.18:
	s_and_not1_b32 vcc_lo, exec_lo, s21
	s_cbranch_vccnz .LBB20_20
; %bb.19:
	v_cmp_eq_u32_e32 vcc_lo, 1, v0
	ds_load_b32 v109, v111
	v_cndmask_b32_e32 v108, v34, v35, vcc_lo
	v_cmp_eq_u32_e32 vcc_lo, 2, v0
	s_delay_alu instid0(VALU_DEP_2) | instskip(SKIP_1) | instid1(VALU_DEP_2)
	v_cndmask_b32_e32 v108, v108, v36, vcc_lo
	v_cmp_eq_u32_e32 vcc_lo, 3, v0
	v_cndmask_b32_e32 v108, v108, v37, vcc_lo
	v_cmp_eq_u32_e32 vcc_lo, 4, v0
	s_delay_alu instid0(VALU_DEP_2) | instskip(SKIP_1) | instid1(VALU_DEP_2)
	v_cndmask_b32_e32 v108, v108, v38, vcc_lo
	v_cmp_eq_u32_e32 vcc_lo, 5, v0
	;; [unrolled: 5-line block ×9, first 2 shown]
	v_cndmask_b32_e32 v108, v108, v53, vcc_lo
	v_cmp_eq_u32_e32 vcc_lo, 20, v0
	s_delay_alu instid0(VALU_DEP_2) | instskip(SKIP_1) | instid1(VALU_DEP_1)
	v_cndmask_b32_e32 v108, v108, v54, vcc_lo
	s_wait_dscnt 0x0
	v_mul_f32_e32 v112, v108, v109
	s_cbranch_execz .LBB20_21
	s_branch .LBB20_22
.LBB20_20:
                                        ; implicit-def: $vgpr112
.LBB20_21:
	ds_load_b32 v112, v111
.LBB20_22:
	s_and_saveexec_b32 s5, s0
	s_cbranch_execz .LBB20_32
; %bb.23:
	v_subrev_nc_u32_e32 v110, 19, v0
	v_mov_b32_e32 v108, 18
	v_subrev_nc_u32_e32 v109, 18, v0
	s_mov_b32 s0, exec_lo
	s_delay_alu instid0(VALU_DEP_3)
	v_cmpx_lt_u32_e32 6, v110
	s_cbranch_execz .LBB20_27
; %bb.24:
	s_delay_alu instid0(VALU_DEP_2) | instskip(SKIP_3) | instid1(VALU_DEP_1)
	v_and_b32_e32 v108, -8, v109
	s_mov_b32 s6, 0
	s_mov_b64 s[2:3], 25
	s_movk_i32 s7, 0xa8
	v_sub_nc_u32_e32 v110, 0, v108
.LBB20_25:                              ; =>This Inner Loop Header: Depth=1
	s_add_co_i32 m0, s2, -7
	v_movrels_b32_e32 v113, v34
	v_mov_b32_e32 v108, s7
	s_add_co_i32 m0, s2, -6
	s_add_co_i32 s7, s7, 32
	v_movrels_b32_e32 v122, v34
	s_add_co_i32 m0, s2, -5
	ds_load_2addr_b64 v[114:117], v108 offset1:1
	ds_load_2addr_b64 v[118:121], v108 offset0:2 offset1:3
	v_movrels_b32_e32 v108, v34
	s_add_co_i32 m0, s2, -4
	s_wait_dscnt 0x1
	v_fmac_f32_e32 v112, v113, v114
	v_movrels_b32_e32 v113, v34
	s_add_co_i32 m0, s2, -3
	s_delay_alu instid0(VALU_DEP_2) | instskip(NEXT) | instid1(VALU_DEP_1)
	v_fmac_f32_e32 v112, v122, v115
	v_fmac_f32_e32 v112, v108, v116
	v_movrels_b32_e32 v108, v34
	s_add_co_i32 m0, s2, -2
	s_delay_alu instid0(VALU_DEP_2) | instskip(SKIP_3) | instid1(VALU_DEP_2)
	v_fmac_f32_e32 v112, v113, v117
	v_movrels_b32_e32 v113, v34
	s_add_co_i32 m0, s2, -1
	s_wait_dscnt 0x0
	v_fmac_f32_e32 v112, v108, v118
	v_movrels_b32_e32 v108, v34
	s_mov_b32 m0, s2
	s_add_nc_u64 s[2:3], s[2:3], 8
	v_movrels_b32_e32 v114, v34
	v_dual_fmac_f32 v112, v113, v119 :: v_dual_add_nc_u32 v113, s2, v110
	s_add_co_i32 s8, s2, -7
	s_delay_alu instid0(VALU_DEP_1) | instskip(NEXT) | instid1(VALU_DEP_2)
	v_fmac_f32_e32 v112, v108, v120
	v_cmp_eq_u32_e32 vcc_lo, 25, v113
	s_delay_alu instid0(VALU_DEP_2) | instskip(SKIP_1) | instid1(SALU_CYCLE_1)
	v_dual_mov_b32 v108, s8 :: v_dual_fmac_f32 v112, v114, v121
	s_or_b32 s6, vcc_lo, s6
	s_and_not1_b32 exec_lo, exec_lo, s6
	s_cbranch_execnz .LBB20_25
; %bb.26:
	s_or_b32 exec_lo, exec_lo, s6
.LBB20_27:
	s_delay_alu instid0(SALU_CYCLE_1) | instskip(SKIP_3) | instid1(VALU_DEP_1)
	s_or_b32 exec_lo, exec_lo, s0
	v_and_b32_e32 v55, 7, v109
	s_mov_b32 s2, 0
	s_mov_b32 s0, exec_lo
	v_cmpx_ne_u32_e32 0, v55
	s_cbranch_execz .LBB20_31
; %bb.28:
	v_lshl_add_u32 v56, v108, 2, 0x60
	v_mov_b32_e32 v109, 0
.LBB20_29:                              ; =>This Inner Loop Header: Depth=1
	v_cmp_eq_u32_e32 vcc_lo, 1, v108
	ds_load_b32 v58, v56
	v_dual_add_nc_u32 v56, 4, v56 :: v_dual_add_nc_u32 v55, -1, v55
	v_cndmask_b32_e32 v57, v34, v35, vcc_lo
	v_cmp_eq_u32_e32 vcc_lo, 2, v108
	s_delay_alu instid0(VALU_DEP_2) | instskip(SKIP_1) | instid1(VALU_DEP_2)
	v_cndmask_b32_e32 v57, v57, v36, vcc_lo
	v_cmp_eq_u32_e32 vcc_lo, 3, v108
	v_cndmask_b32_e32 v57, v57, v37, vcc_lo
	v_cmp_eq_u32_e32 vcc_lo, 4, v108
	s_delay_alu instid0(VALU_DEP_2) | instskip(SKIP_1) | instid1(VALU_DEP_2)
	v_cndmask_b32_e32 v57, v57, v38, vcc_lo
	v_cmp_eq_u32_e32 vcc_lo, 5, v108
	;; [unrolled: 5-line block ×9, first 2 shown]
	v_cndmask_b32_e32 v57, v57, v53, vcc_lo
	v_cmp_eq_u32_e32 vcc_lo, 20, v108
	v_add_nc_u64_e32 v[108:109], 1, v[108:109]
	s_delay_alu instid0(VALU_DEP_3) | instskip(SKIP_2) | instid1(VALU_DEP_2)
	v_cndmask_b32_e32 v57, v57, v54, vcc_lo
	v_cmp_eq_u32_e32 vcc_lo, 0, v55
	s_wait_dscnt 0x0
	v_fmac_f32_e32 v112, v57, v58
	s_or_b32 s2, vcc_lo, s2
	s_delay_alu instid0(SALU_CYCLE_1)
	s_and_not1_b32 exec_lo, exec_lo, s2
	s_cbranch_execnz .LBB20_29
; %bb.30:
	s_or_b32 exec_lo, exec_lo, s2
.LBB20_31:
	s_delay_alu instid0(SALU_CYCLE_1)
	s_or_b32 exec_lo, exec_lo, s0
.LBB20_32:
	s_delay_alu instid0(SALU_CYCLE_1)
	s_or_b32 exec_lo, exec_lo, s5
	v_mov_b32_e32 v51, 0
	ds_load_b32 v51, v51 offset:68
	s_wait_dscnt 0x0
	v_mul_f32_e32 v51, v112, v51
.LBB20_33:
	s_or_b32 exec_lo, exec_lo, s4
	v_cmp_lt_u32_e64 s0, 16, v0
	ds_store_b32 v111, v50
	s_wait_dscnt 0x0
	s_barrier_signal -1
	s_barrier_wait -1
	s_and_saveexec_b32 s4, s0
	s_cbranch_execz .LBB20_49
; %bb.34:
	s_and_not1_b32 vcc_lo, exec_lo, s21
	s_cbranch_vccnz .LBB20_36
; %bb.35:
	v_cmp_eq_u32_e32 vcc_lo, 1, v0
	ds_load_b32 v109, v111
	v_cndmask_b32_e32 v108, v34, v35, vcc_lo
	v_cmp_eq_u32_e32 vcc_lo, 2, v0
	s_delay_alu instid0(VALU_DEP_2) | instskip(SKIP_1) | instid1(VALU_DEP_2)
	v_cndmask_b32_e32 v108, v108, v36, vcc_lo
	v_cmp_eq_u32_e32 vcc_lo, 3, v0
	v_cndmask_b32_e32 v108, v108, v37, vcc_lo
	v_cmp_eq_u32_e32 vcc_lo, 4, v0
	s_delay_alu instid0(VALU_DEP_2) | instskip(SKIP_1) | instid1(VALU_DEP_2)
	v_cndmask_b32_e32 v108, v108, v38, vcc_lo
	v_cmp_eq_u32_e32 vcc_lo, 5, v0
	;; [unrolled: 5-line block ×9, first 2 shown]
	v_cndmask_b32_e32 v108, v108, v53, vcc_lo
	v_cmp_eq_u32_e32 vcc_lo, 20, v0
	s_delay_alu instid0(VALU_DEP_2) | instskip(SKIP_1) | instid1(VALU_DEP_1)
	v_cndmask_b32_e32 v108, v108, v54, vcc_lo
	s_wait_dscnt 0x0
	v_mul_f32_e32 v112, v108, v109
	s_cbranch_execz .LBB20_37
	s_branch .LBB20_38
.LBB20_36:
                                        ; implicit-def: $vgpr112
.LBB20_37:
	ds_load_b32 v112, v111
.LBB20_38:
	s_and_saveexec_b32 s5, s1
	s_cbranch_execz .LBB20_48
; %bb.39:
	v_subrev_nc_u32_e32 v110, 18, v0
	v_mov_b32_e32 v108, 17
	v_subrev_nc_u32_e32 v109, 17, v0
	s_mov_b32 s1, exec_lo
	s_delay_alu instid0(VALU_DEP_3)
	v_cmpx_lt_u32_e32 6, v110
	s_cbranch_execz .LBB20_43
; %bb.40:
	s_delay_alu instid0(VALU_DEP_2) | instskip(SKIP_3) | instid1(VALU_DEP_1)
	v_and_b32_e32 v108, -8, v109
	s_mov_b32 s6, 0
	s_mov_b64 s[2:3], 24
	s_movk_i32 s7, 0xa4
	v_sub_nc_u32_e32 v110, 0, v108
.LBB20_41:                              ; =>This Inner Loop Header: Depth=1
	s_add_co_i32 m0, s2, -7
	v_movrels_b32_e32 v113, v34
	v_mov_b32_e32 v108, s7
	s_add_co_i32 m0, s2, -6
	s_add_co_i32 s7, s7, 32
	v_movrels_b32_e32 v122, v34
	ds_load_2addr_b32 v[114:115], v108 offset1:1
	ds_load_2addr_b32 v[116:117], v108 offset0:2 offset1:3
	s_add_co_i32 m0, s2, -5
	s_wait_dscnt 0x1
	v_fmac_f32_e32 v112, v113, v114
	ds_load_2addr_b32 v[118:119], v108 offset0:4 offset1:5
	ds_load_2addr_b32 v[120:121], v108 offset0:6 offset1:7
	v_movrels_b32_e32 v108, v34
	s_add_co_i32 m0, s2, -4
	v_fmac_f32_e32 v112, v122, v115
	v_movrels_b32_e32 v113, v34
	s_add_co_i32 m0, s2, -3
	s_wait_dscnt 0x2
	s_delay_alu instid0(VALU_DEP_2) | instskip(SKIP_2) | instid1(VALU_DEP_2)
	v_fmac_f32_e32 v112, v108, v116
	v_movrels_b32_e32 v108, v34
	s_add_co_i32 m0, s2, -2
	v_fmac_f32_e32 v112, v113, v117
	v_movrels_b32_e32 v113, v34
	s_add_co_i32 m0, s2, -1
	s_wait_dscnt 0x1
	s_delay_alu instid0(VALU_DEP_2)
	v_fmac_f32_e32 v112, v108, v118
	v_movrels_b32_e32 v108, v34
	s_mov_b32 m0, s2
	s_add_nc_u64 s[2:3], s[2:3], 8
	v_movrels_b32_e32 v114, v34
	v_dual_fmac_f32 v112, v113, v119 :: v_dual_add_nc_u32 v113, s2, v110
	s_add_co_i32 s8, s2, -7
	s_wait_dscnt 0x0
	s_delay_alu instid0(VALU_DEP_1) | instskip(NEXT) | instid1(VALU_DEP_2)
	v_fmac_f32_e32 v112, v108, v120
	v_cmp_eq_u32_e32 vcc_lo, 24, v113
	s_delay_alu instid0(VALU_DEP_2) | instskip(SKIP_1) | instid1(SALU_CYCLE_1)
	v_dual_mov_b32 v108, s8 :: v_dual_fmac_f32 v112, v114, v121
	s_or_b32 s6, vcc_lo, s6
	s_and_not1_b32 exec_lo, exec_lo, s6
	s_cbranch_execnz .LBB20_41
; %bb.42:
	s_or_b32 exec_lo, exec_lo, s6
.LBB20_43:
	s_delay_alu instid0(SALU_CYCLE_1) | instskip(SKIP_3) | instid1(VALU_DEP_1)
	s_or_b32 exec_lo, exec_lo, s1
	v_and_b32_e32 v55, 7, v109
	s_mov_b32 s2, 0
	s_mov_b32 s1, exec_lo
	v_cmpx_ne_u32_e32 0, v55
	s_cbranch_execz .LBB20_47
; %bb.44:
	v_lshl_add_u32 v56, v108, 2, 0x60
	v_mov_b32_e32 v109, 0
.LBB20_45:                              ; =>This Inner Loop Header: Depth=1
	v_cmp_eq_u32_e32 vcc_lo, 1, v108
	ds_load_b32 v58, v56
	v_dual_add_nc_u32 v56, 4, v56 :: v_dual_add_nc_u32 v55, -1, v55
	v_cndmask_b32_e32 v57, v34, v35, vcc_lo
	v_cmp_eq_u32_e32 vcc_lo, 2, v108
	s_delay_alu instid0(VALU_DEP_2) | instskip(SKIP_1) | instid1(VALU_DEP_2)
	v_cndmask_b32_e32 v57, v57, v36, vcc_lo
	v_cmp_eq_u32_e32 vcc_lo, 3, v108
	v_cndmask_b32_e32 v57, v57, v37, vcc_lo
	v_cmp_eq_u32_e32 vcc_lo, 4, v108
	s_delay_alu instid0(VALU_DEP_2) | instskip(SKIP_1) | instid1(VALU_DEP_2)
	v_cndmask_b32_e32 v57, v57, v38, vcc_lo
	v_cmp_eq_u32_e32 vcc_lo, 5, v108
	;; [unrolled: 5-line block ×9, first 2 shown]
	v_cndmask_b32_e32 v57, v57, v53, vcc_lo
	v_cmp_eq_u32_e32 vcc_lo, 20, v108
	v_add_nc_u64_e32 v[108:109], 1, v[108:109]
	s_delay_alu instid0(VALU_DEP_3) | instskip(SKIP_2) | instid1(VALU_DEP_2)
	v_cndmask_b32_e32 v57, v57, v54, vcc_lo
	v_cmp_eq_u32_e32 vcc_lo, 0, v55
	s_wait_dscnt 0x0
	v_fmac_f32_e32 v112, v57, v58
	s_or_b32 s2, vcc_lo, s2
	s_delay_alu instid0(SALU_CYCLE_1)
	s_and_not1_b32 exec_lo, exec_lo, s2
	s_cbranch_execnz .LBB20_45
; %bb.46:
	s_or_b32 exec_lo, exec_lo, s2
.LBB20_47:
	s_delay_alu instid0(SALU_CYCLE_1)
	s_or_b32 exec_lo, exec_lo, s1
.LBB20_48:
	s_delay_alu instid0(SALU_CYCLE_1)
	s_or_b32 exec_lo, exec_lo, s5
	v_mov_b32_e32 v50, 0
	ds_load_b32 v50, v50 offset:64
	s_wait_dscnt 0x0
	v_mul_f32_e32 v50, v112, v50
.LBB20_49:
	s_or_b32 exec_lo, exec_lo, s4
	v_cmp_lt_u32_e64 s1, 15, v0
	ds_store_b32 v111, v49
	s_wait_dscnt 0x0
	s_barrier_signal -1
	s_barrier_wait -1
	s_and_saveexec_b32 s4, s1
	s_cbranch_execz .LBB20_65
; %bb.50:
	s_and_not1_b32 vcc_lo, exec_lo, s21
	s_cbranch_vccnz .LBB20_52
; %bb.51:
	v_cmp_eq_u32_e32 vcc_lo, 1, v0
	ds_load_b32 v109, v111
	v_cndmask_b32_e32 v108, v34, v35, vcc_lo
	v_cmp_eq_u32_e32 vcc_lo, 2, v0
	s_delay_alu instid0(VALU_DEP_2) | instskip(SKIP_1) | instid1(VALU_DEP_2)
	v_cndmask_b32_e32 v108, v108, v36, vcc_lo
	v_cmp_eq_u32_e32 vcc_lo, 3, v0
	v_cndmask_b32_e32 v108, v108, v37, vcc_lo
	v_cmp_eq_u32_e32 vcc_lo, 4, v0
	s_delay_alu instid0(VALU_DEP_2) | instskip(SKIP_1) | instid1(VALU_DEP_2)
	v_cndmask_b32_e32 v108, v108, v38, vcc_lo
	v_cmp_eq_u32_e32 vcc_lo, 5, v0
	v_cndmask_b32_e32 v108, v108, v39, vcc_lo
	v_cmp_eq_u32_e32 vcc_lo, 6, v0
	s_delay_alu instid0(VALU_DEP_2) | instskip(SKIP_1) | instid1(VALU_DEP_2)
	v_cndmask_b32_e32 v108, v108, v40, vcc_lo
	v_cmp_eq_u32_e32 vcc_lo, 7, v0
	v_cndmask_b32_e32 v108, v108, v41, vcc_lo
	v_cmp_eq_u32_e32 vcc_lo, 8, v0
	s_delay_alu instid0(VALU_DEP_2) | instskip(SKIP_1) | instid1(VALU_DEP_2)
	v_cndmask_b32_e32 v108, v108, v42, vcc_lo
	v_cmp_eq_u32_e32 vcc_lo, 9, v0
	v_cndmask_b32_e32 v108, v108, v43, vcc_lo
	v_cmp_eq_u32_e32 vcc_lo, 10, v0
	s_delay_alu instid0(VALU_DEP_2) | instskip(SKIP_1) | instid1(VALU_DEP_2)
	v_cndmask_b32_e32 v108, v108, v44, vcc_lo
	v_cmp_eq_u32_e32 vcc_lo, 11, v0
	v_cndmask_b32_e32 v108, v108, v45, vcc_lo
	v_cmp_eq_u32_e32 vcc_lo, 12, v0
	s_delay_alu instid0(VALU_DEP_2) | instskip(SKIP_1) | instid1(VALU_DEP_2)
	v_cndmask_b32_e32 v108, v108, v46, vcc_lo
	v_cmp_eq_u32_e32 vcc_lo, 13, v0
	v_cndmask_b32_e32 v108, v108, v47, vcc_lo
	v_cmp_eq_u32_e32 vcc_lo, 14, v0
	s_delay_alu instid0(VALU_DEP_2) | instskip(SKIP_1) | instid1(VALU_DEP_2)
	v_cndmask_b32_e32 v108, v108, v48, vcc_lo
	v_cmp_eq_u32_e32 vcc_lo, 15, v0
	v_cndmask_b32_e32 v108, v108, v49, vcc_lo
	v_cmp_eq_u32_e32 vcc_lo, 16, v0
	s_delay_alu instid0(VALU_DEP_2) | instskip(SKIP_1) | instid1(VALU_DEP_2)
	v_cndmask_b32_e32 v108, v108, v50, vcc_lo
	v_cmp_eq_u32_e32 vcc_lo, 17, v0
	v_cndmask_b32_e32 v108, v108, v51, vcc_lo
	v_cmp_eq_u32_e32 vcc_lo, 18, v0
	s_delay_alu instid0(VALU_DEP_2) | instskip(SKIP_1) | instid1(VALU_DEP_2)
	v_cndmask_b32_e32 v108, v108, v52, vcc_lo
	v_cmp_eq_u32_e32 vcc_lo, 19, v0
	v_cndmask_b32_e32 v108, v108, v53, vcc_lo
	v_cmp_eq_u32_e32 vcc_lo, 20, v0
	s_delay_alu instid0(VALU_DEP_2) | instskip(SKIP_1) | instid1(VALU_DEP_1)
	v_cndmask_b32_e32 v108, v108, v54, vcc_lo
	s_wait_dscnt 0x0
	v_mul_f32_e32 v112, v108, v109
	s_cbranch_execz .LBB20_53
	s_branch .LBB20_54
.LBB20_52:
                                        ; implicit-def: $vgpr112
.LBB20_53:
	ds_load_b32 v112, v111
.LBB20_54:
	s_and_saveexec_b32 s5, s0
	s_cbranch_execz .LBB20_64
; %bb.55:
	v_subrev_nc_u32_e32 v108, 17, v0
	s_delay_alu instid0(VALU_DEP_1)
	v_cmp_lt_u32_e32 vcc_lo, 6, v108
	v_mov_b32_e32 v108, 16
	s_and_saveexec_b32 s0, vcc_lo
	s_cbranch_execz .LBB20_59
; %bb.56:
	v_and_b32_e32 v108, 24, v0
	s_mov_b32 s6, 0
	s_mov_b64 s[2:3], 23
	s_movk_i32 s7, 0xa0
	s_delay_alu instid0(VALU_DEP_1)
	v_sub_nc_u32_e32 v110, 0, v108
.LBB20_57:                              ; =>This Inner Loop Header: Depth=1
	s_add_co_i32 m0, s2, -7
	v_movrels_b32_e32 v109, v34
	v_mov_b32_e32 v108, s7
	s_add_co_i32 m0, s2, -6
	s_add_co_i32 s7, s7, 32
	v_movrels_b32_e32 v113, v34
	s_add_co_i32 m0, s2, -5
	ds_load_b128 v[114:117], v108
	ds_load_b128 v[118:121], v108 offset:16
	v_movrels_b32_e32 v108, v34
	s_add_co_i32 m0, s2, -4
	s_wait_dscnt 0x1
	v_fmac_f32_e32 v112, v109, v114
	v_movrels_b32_e32 v109, v34
	s_add_co_i32 m0, s2, -3
	s_delay_alu instid0(VALU_DEP_2) | instskip(NEXT) | instid1(VALU_DEP_1)
	v_fmac_f32_e32 v112, v113, v115
	v_fmac_f32_e32 v112, v108, v116
	v_movrels_b32_e32 v108, v34
	s_add_co_i32 m0, s2, -2
	s_delay_alu instid0(VALU_DEP_2) | instskip(SKIP_3) | instid1(VALU_DEP_2)
	v_fmac_f32_e32 v112, v109, v117
	v_movrels_b32_e32 v109, v34
	s_add_co_i32 m0, s2, -1
	s_wait_dscnt 0x0
	v_fmac_f32_e32 v112, v108, v118
	v_movrels_b32_e32 v108, v34
	s_mov_b32 m0, s2
	s_add_nc_u64 s[2:3], s[2:3], 8
	v_movrels_b32_e32 v113, v34
	v_dual_fmac_f32 v112, v109, v119 :: v_dual_add_nc_u32 v109, s2, v110
	s_add_co_i32 s8, s2, -7
	s_delay_alu instid0(VALU_DEP_1) | instskip(NEXT) | instid1(VALU_DEP_2)
	v_fmac_f32_e32 v112, v108, v120
	v_cmp_eq_u32_e32 vcc_lo, 7, v109
	s_delay_alu instid0(VALU_DEP_2) | instskip(SKIP_1) | instid1(SALU_CYCLE_1)
	v_dual_mov_b32 v108, s8 :: v_dual_fmac_f32 v112, v113, v121
	s_or_b32 s6, vcc_lo, s6
	s_and_not1_b32 exec_lo, exec_lo, s6
	s_cbranch_execnz .LBB20_57
; %bb.58:
	s_or_b32 exec_lo, exec_lo, s6
.LBB20_59:
	s_delay_alu instid0(SALU_CYCLE_1) | instskip(SKIP_3) | instid1(VALU_DEP_1)
	s_or_b32 exec_lo, exec_lo, s0
	v_and_b32_e32 v55, 7, v0
	s_mov_b32 s2, 0
	s_mov_b32 s0, exec_lo
	v_cmpx_ne_u32_e32 0, v55
	s_cbranch_execz .LBB20_63
; %bb.60:
	v_lshl_add_u32 v56, v108, 2, 0x60
	v_mov_b32_e32 v109, 0
.LBB20_61:                              ; =>This Inner Loop Header: Depth=1
	v_cmp_eq_u32_e32 vcc_lo, 1, v108
	ds_load_b32 v58, v56
	v_dual_add_nc_u32 v56, 4, v56 :: v_dual_add_nc_u32 v55, -1, v55
	v_cndmask_b32_e32 v57, v34, v35, vcc_lo
	v_cmp_eq_u32_e32 vcc_lo, 2, v108
	s_delay_alu instid0(VALU_DEP_2) | instskip(SKIP_1) | instid1(VALU_DEP_2)
	v_cndmask_b32_e32 v57, v57, v36, vcc_lo
	v_cmp_eq_u32_e32 vcc_lo, 3, v108
	v_cndmask_b32_e32 v57, v57, v37, vcc_lo
	v_cmp_eq_u32_e32 vcc_lo, 4, v108
	s_delay_alu instid0(VALU_DEP_2) | instskip(SKIP_1) | instid1(VALU_DEP_2)
	v_cndmask_b32_e32 v57, v57, v38, vcc_lo
	v_cmp_eq_u32_e32 vcc_lo, 5, v108
	;; [unrolled: 5-line block ×9, first 2 shown]
	v_cndmask_b32_e32 v57, v57, v53, vcc_lo
	v_cmp_eq_u32_e32 vcc_lo, 20, v108
	v_add_nc_u64_e32 v[108:109], 1, v[108:109]
	s_delay_alu instid0(VALU_DEP_3) | instskip(SKIP_2) | instid1(VALU_DEP_2)
	v_cndmask_b32_e32 v57, v57, v54, vcc_lo
	v_cmp_eq_u32_e32 vcc_lo, 0, v55
	s_wait_dscnt 0x0
	v_fmac_f32_e32 v112, v57, v58
	s_or_b32 s2, vcc_lo, s2
	s_delay_alu instid0(SALU_CYCLE_1)
	s_and_not1_b32 exec_lo, exec_lo, s2
	s_cbranch_execnz .LBB20_61
; %bb.62:
	s_or_b32 exec_lo, exec_lo, s2
.LBB20_63:
	s_delay_alu instid0(SALU_CYCLE_1)
	s_or_b32 exec_lo, exec_lo, s0
.LBB20_64:
	s_delay_alu instid0(SALU_CYCLE_1)
	s_or_b32 exec_lo, exec_lo, s5
	v_mov_b32_e32 v49, 0
	ds_load_b32 v49, v49 offset:60
	s_wait_dscnt 0x0
	v_mul_f32_e32 v49, v112, v49
.LBB20_65:
	s_or_b32 exec_lo, exec_lo, s4
	v_cmp_lt_u32_e64 s0, 14, v0
	ds_store_b32 v111, v48
	s_wait_dscnt 0x0
	s_barrier_signal -1
	s_barrier_wait -1
	s_and_saveexec_b32 s4, s0
	s_cbranch_execz .LBB20_81
; %bb.66:
	s_and_not1_b32 vcc_lo, exec_lo, s21
	s_cbranch_vccnz .LBB20_68
; %bb.67:
	v_cmp_eq_u32_e32 vcc_lo, 1, v0
	ds_load_b32 v109, v111
	v_cndmask_b32_e32 v108, v34, v35, vcc_lo
	v_cmp_eq_u32_e32 vcc_lo, 2, v0
	s_delay_alu instid0(VALU_DEP_2) | instskip(SKIP_1) | instid1(VALU_DEP_2)
	v_cndmask_b32_e32 v108, v108, v36, vcc_lo
	v_cmp_eq_u32_e32 vcc_lo, 3, v0
	v_cndmask_b32_e32 v108, v108, v37, vcc_lo
	v_cmp_eq_u32_e32 vcc_lo, 4, v0
	s_delay_alu instid0(VALU_DEP_2) | instskip(SKIP_1) | instid1(VALU_DEP_2)
	v_cndmask_b32_e32 v108, v108, v38, vcc_lo
	v_cmp_eq_u32_e32 vcc_lo, 5, v0
	;; [unrolled: 5-line block ×9, first 2 shown]
	v_cndmask_b32_e32 v108, v108, v53, vcc_lo
	v_cmp_eq_u32_e32 vcc_lo, 20, v0
	s_delay_alu instid0(VALU_DEP_2) | instskip(SKIP_1) | instid1(VALU_DEP_1)
	v_cndmask_b32_e32 v108, v108, v54, vcc_lo
	s_wait_dscnt 0x0
	v_mul_f32_e32 v112, v108, v109
	s_cbranch_execz .LBB20_69
	s_branch .LBB20_70
.LBB20_68:
                                        ; implicit-def: $vgpr112
.LBB20_69:
	ds_load_b32 v112, v111
.LBB20_70:
	s_and_saveexec_b32 s5, s1
	s_cbranch_execz .LBB20_80
; %bb.71:
	v_dual_add_nc_u32 v108, -16, v0 :: v_dual_add_nc_u32 v109, -15, v0
	s_delay_alu instid0(VALU_DEP_1)
	v_cmp_lt_u32_e32 vcc_lo, 6, v108
	v_mov_b32_e32 v108, 15
	s_and_saveexec_b32 s1, vcc_lo
	s_cbranch_execz .LBB20_75
; %bb.72:
	v_and_b32_e32 v108, -8, v109
	s_mov_b32 s6, 0
	s_mov_b64 s[2:3], 22
	s_movk_i32 s7, 0x9c
	s_delay_alu instid0(VALU_DEP_1)
	v_sub_nc_u32_e32 v110, 0, v108
.LBB20_73:                              ; =>This Inner Loop Header: Depth=1
	s_add_co_i32 m0, s2, -7
	v_movrels_b32_e32 v113, v34
	v_mov_b32_e32 v108, s7
	s_add_co_i32 m0, s2, -6
	s_add_co_i32 s7, s7, 32
	v_movrels_b32_e32 v122, v34
	ds_load_2addr_b32 v[114:115], v108 offset1:1
	ds_load_2addr_b32 v[116:117], v108 offset0:2 offset1:3
	s_add_co_i32 m0, s2, -5
	s_wait_dscnt 0x1
	v_fmac_f32_e32 v112, v113, v114
	ds_load_2addr_b32 v[118:119], v108 offset0:4 offset1:5
	ds_load_2addr_b32 v[120:121], v108 offset0:6 offset1:7
	v_movrels_b32_e32 v108, v34
	s_add_co_i32 m0, s2, -4
	v_fmac_f32_e32 v112, v122, v115
	v_movrels_b32_e32 v113, v34
	s_add_co_i32 m0, s2, -3
	s_wait_dscnt 0x2
	s_delay_alu instid0(VALU_DEP_2) | instskip(SKIP_2) | instid1(VALU_DEP_2)
	v_fmac_f32_e32 v112, v108, v116
	v_movrels_b32_e32 v108, v34
	s_add_co_i32 m0, s2, -2
	v_fmac_f32_e32 v112, v113, v117
	v_movrels_b32_e32 v113, v34
	s_add_co_i32 m0, s2, -1
	s_wait_dscnt 0x1
	s_delay_alu instid0(VALU_DEP_2)
	v_fmac_f32_e32 v112, v108, v118
	v_movrels_b32_e32 v108, v34
	s_mov_b32 m0, s2
	s_add_nc_u64 s[2:3], s[2:3], 8
	v_movrels_b32_e32 v114, v34
	v_dual_fmac_f32 v112, v113, v119 :: v_dual_add_nc_u32 v113, s2, v110
	s_add_co_i32 s8, s2, -7
	s_wait_dscnt 0x0
	s_delay_alu instid0(VALU_DEP_1) | instskip(NEXT) | instid1(VALU_DEP_2)
	v_fmac_f32_e32 v112, v108, v120
	v_cmp_eq_u32_e32 vcc_lo, 22, v113
	s_delay_alu instid0(VALU_DEP_2) | instskip(SKIP_1) | instid1(SALU_CYCLE_1)
	v_dual_mov_b32 v108, s8 :: v_dual_fmac_f32 v112, v114, v121
	s_or_b32 s6, vcc_lo, s6
	s_and_not1_b32 exec_lo, exec_lo, s6
	s_cbranch_execnz .LBB20_73
; %bb.74:
	s_or_b32 exec_lo, exec_lo, s6
.LBB20_75:
	s_delay_alu instid0(SALU_CYCLE_1) | instskip(SKIP_3) | instid1(VALU_DEP_1)
	s_or_b32 exec_lo, exec_lo, s1
	v_and_b32_e32 v55, 7, v109
	s_mov_b32 s2, 0
	s_mov_b32 s1, exec_lo
	v_cmpx_ne_u32_e32 0, v55
	s_cbranch_execz .LBB20_79
; %bb.76:
	v_lshl_add_u32 v56, v108, 2, 0x60
	v_mov_b32_e32 v109, 0
.LBB20_77:                              ; =>This Inner Loop Header: Depth=1
	v_cmp_eq_u32_e32 vcc_lo, 1, v108
	ds_load_b32 v58, v56
	v_dual_add_nc_u32 v56, 4, v56 :: v_dual_add_nc_u32 v55, -1, v55
	v_cndmask_b32_e32 v57, v34, v35, vcc_lo
	v_cmp_eq_u32_e32 vcc_lo, 2, v108
	s_delay_alu instid0(VALU_DEP_2) | instskip(SKIP_1) | instid1(VALU_DEP_2)
	v_cndmask_b32_e32 v57, v57, v36, vcc_lo
	v_cmp_eq_u32_e32 vcc_lo, 3, v108
	v_cndmask_b32_e32 v57, v57, v37, vcc_lo
	v_cmp_eq_u32_e32 vcc_lo, 4, v108
	s_delay_alu instid0(VALU_DEP_2) | instskip(SKIP_1) | instid1(VALU_DEP_2)
	v_cndmask_b32_e32 v57, v57, v38, vcc_lo
	v_cmp_eq_u32_e32 vcc_lo, 5, v108
	v_cndmask_b32_e32 v57, v57, v39, vcc_lo
	v_cmp_eq_u32_e32 vcc_lo, 6, v108
	s_delay_alu instid0(VALU_DEP_2) | instskip(SKIP_1) | instid1(VALU_DEP_2)
	v_cndmask_b32_e32 v57, v57, v40, vcc_lo
	v_cmp_eq_u32_e32 vcc_lo, 7, v108
	v_cndmask_b32_e32 v57, v57, v41, vcc_lo
	v_cmp_eq_u32_e32 vcc_lo, 8, v108
	s_delay_alu instid0(VALU_DEP_2) | instskip(SKIP_1) | instid1(VALU_DEP_2)
	v_cndmask_b32_e32 v57, v57, v42, vcc_lo
	v_cmp_eq_u32_e32 vcc_lo, 9, v108
	v_cndmask_b32_e32 v57, v57, v43, vcc_lo
	v_cmp_eq_u32_e32 vcc_lo, 10, v108
	s_delay_alu instid0(VALU_DEP_2) | instskip(SKIP_1) | instid1(VALU_DEP_2)
	v_cndmask_b32_e32 v57, v57, v44, vcc_lo
	v_cmp_eq_u32_e32 vcc_lo, 11, v108
	v_cndmask_b32_e32 v57, v57, v45, vcc_lo
	v_cmp_eq_u32_e32 vcc_lo, 12, v108
	s_delay_alu instid0(VALU_DEP_2) | instskip(SKIP_1) | instid1(VALU_DEP_2)
	v_cndmask_b32_e32 v57, v57, v46, vcc_lo
	v_cmp_eq_u32_e32 vcc_lo, 13, v108
	v_cndmask_b32_e32 v57, v57, v47, vcc_lo
	v_cmp_eq_u32_e32 vcc_lo, 14, v108
	s_delay_alu instid0(VALU_DEP_2) | instskip(SKIP_1) | instid1(VALU_DEP_2)
	v_cndmask_b32_e32 v57, v57, v48, vcc_lo
	v_cmp_eq_u32_e32 vcc_lo, 15, v108
	v_cndmask_b32_e32 v57, v57, v49, vcc_lo
	v_cmp_eq_u32_e32 vcc_lo, 16, v108
	s_delay_alu instid0(VALU_DEP_2) | instskip(SKIP_1) | instid1(VALU_DEP_2)
	v_cndmask_b32_e32 v57, v57, v50, vcc_lo
	v_cmp_eq_u32_e32 vcc_lo, 17, v108
	v_cndmask_b32_e32 v57, v57, v51, vcc_lo
	v_cmp_eq_u32_e32 vcc_lo, 18, v108
	s_delay_alu instid0(VALU_DEP_2) | instskip(SKIP_1) | instid1(VALU_DEP_2)
	v_cndmask_b32_e32 v57, v57, v52, vcc_lo
	v_cmp_eq_u32_e32 vcc_lo, 19, v108
	v_cndmask_b32_e32 v57, v57, v53, vcc_lo
	v_cmp_eq_u32_e32 vcc_lo, 20, v108
	v_add_nc_u64_e32 v[108:109], 1, v[108:109]
	s_delay_alu instid0(VALU_DEP_3) | instskip(SKIP_2) | instid1(VALU_DEP_2)
	v_cndmask_b32_e32 v57, v57, v54, vcc_lo
	v_cmp_eq_u32_e32 vcc_lo, 0, v55
	s_wait_dscnt 0x0
	v_fmac_f32_e32 v112, v57, v58
	s_or_b32 s2, vcc_lo, s2
	s_delay_alu instid0(SALU_CYCLE_1)
	s_and_not1_b32 exec_lo, exec_lo, s2
	s_cbranch_execnz .LBB20_77
; %bb.78:
	s_or_b32 exec_lo, exec_lo, s2
.LBB20_79:
	s_delay_alu instid0(SALU_CYCLE_1)
	s_or_b32 exec_lo, exec_lo, s1
.LBB20_80:
	s_delay_alu instid0(SALU_CYCLE_1)
	s_or_b32 exec_lo, exec_lo, s5
	v_mov_b32_e32 v48, 0
	ds_load_b32 v48, v48 offset:56
	s_wait_dscnt 0x0
	v_mul_f32_e32 v48, v112, v48
.LBB20_81:
	s_or_b32 exec_lo, exec_lo, s4
	v_cmp_lt_u32_e64 s1, 13, v0
	ds_store_b32 v111, v47
	s_wait_dscnt 0x0
	s_barrier_signal -1
	s_barrier_wait -1
	s_and_saveexec_b32 s4, s1
	s_cbranch_execz .LBB20_97
; %bb.82:
	s_and_not1_b32 vcc_lo, exec_lo, s21
	s_cbranch_vccnz .LBB20_84
; %bb.83:
	v_cmp_eq_u32_e32 vcc_lo, 1, v0
	ds_load_b32 v109, v111
	v_cndmask_b32_e32 v108, v34, v35, vcc_lo
	v_cmp_eq_u32_e32 vcc_lo, 2, v0
	s_delay_alu instid0(VALU_DEP_2) | instskip(SKIP_1) | instid1(VALU_DEP_2)
	v_cndmask_b32_e32 v108, v108, v36, vcc_lo
	v_cmp_eq_u32_e32 vcc_lo, 3, v0
	v_cndmask_b32_e32 v108, v108, v37, vcc_lo
	v_cmp_eq_u32_e32 vcc_lo, 4, v0
	s_delay_alu instid0(VALU_DEP_2) | instskip(SKIP_1) | instid1(VALU_DEP_2)
	v_cndmask_b32_e32 v108, v108, v38, vcc_lo
	v_cmp_eq_u32_e32 vcc_lo, 5, v0
	;; [unrolled: 5-line block ×9, first 2 shown]
	v_cndmask_b32_e32 v108, v108, v53, vcc_lo
	v_cmp_eq_u32_e32 vcc_lo, 20, v0
	s_delay_alu instid0(VALU_DEP_2) | instskip(SKIP_1) | instid1(VALU_DEP_1)
	v_cndmask_b32_e32 v108, v108, v54, vcc_lo
	s_wait_dscnt 0x0
	v_mul_f32_e32 v112, v108, v109
	s_cbranch_execz .LBB20_85
	s_branch .LBB20_86
.LBB20_84:
                                        ; implicit-def: $vgpr112
.LBB20_85:
	ds_load_b32 v112, v111
.LBB20_86:
	s_and_saveexec_b32 s5, s0
	s_cbranch_execz .LBB20_96
; %bb.87:
	v_dual_add_nc_u32 v108, -15, v0 :: v_dual_add_nc_u32 v109, -14, v0
	s_delay_alu instid0(VALU_DEP_1)
	v_cmp_lt_u32_e32 vcc_lo, 6, v108
	v_mov_b32_e32 v108, 14
	s_and_saveexec_b32 s0, vcc_lo
	s_cbranch_execz .LBB20_91
; %bb.88:
	v_and_b32_e32 v108, -8, v109
	s_mov_b32 s6, 0
	s_mov_b64 s[2:3], 21
	s_movk_i32 s7, 0x98
	s_delay_alu instid0(VALU_DEP_1)
	v_sub_nc_u32_e32 v110, 0, v108
.LBB20_89:                              ; =>This Inner Loop Header: Depth=1
	s_add_co_i32 m0, s2, -7
	v_movrels_b32_e32 v113, v34
	v_mov_b32_e32 v108, s7
	s_add_co_i32 m0, s2, -6
	s_add_co_i32 s7, s7, 32
	v_movrels_b32_e32 v122, v34
	s_add_co_i32 m0, s2, -5
	ds_load_2addr_b64 v[114:117], v108 offset1:1
	ds_load_2addr_b64 v[118:121], v108 offset0:2 offset1:3
	v_movrels_b32_e32 v108, v34
	s_add_co_i32 m0, s2, -4
	s_wait_dscnt 0x1
	v_fmac_f32_e32 v112, v113, v114
	v_movrels_b32_e32 v113, v34
	s_add_co_i32 m0, s2, -3
	s_delay_alu instid0(VALU_DEP_2) | instskip(NEXT) | instid1(VALU_DEP_1)
	v_fmac_f32_e32 v112, v122, v115
	v_fmac_f32_e32 v112, v108, v116
	v_movrels_b32_e32 v108, v34
	s_add_co_i32 m0, s2, -2
	s_delay_alu instid0(VALU_DEP_2) | instskip(SKIP_3) | instid1(VALU_DEP_2)
	v_fmac_f32_e32 v112, v113, v117
	v_movrels_b32_e32 v113, v34
	s_add_co_i32 m0, s2, -1
	s_wait_dscnt 0x0
	v_fmac_f32_e32 v112, v108, v118
	v_movrels_b32_e32 v108, v34
	s_mov_b32 m0, s2
	s_add_nc_u64 s[2:3], s[2:3], 8
	v_movrels_b32_e32 v114, v34
	v_dual_fmac_f32 v112, v113, v119 :: v_dual_add_nc_u32 v113, s2, v110
	s_add_co_i32 s8, s2, -7
	s_delay_alu instid0(VALU_DEP_1) | instskip(NEXT) | instid1(VALU_DEP_2)
	v_fmac_f32_e32 v112, v108, v120
	v_cmp_eq_u32_e32 vcc_lo, 21, v113
	s_delay_alu instid0(VALU_DEP_2) | instskip(SKIP_1) | instid1(SALU_CYCLE_1)
	v_dual_mov_b32 v108, s8 :: v_dual_fmac_f32 v112, v114, v121
	s_or_b32 s6, vcc_lo, s6
	s_and_not1_b32 exec_lo, exec_lo, s6
	s_cbranch_execnz .LBB20_89
; %bb.90:
	s_or_b32 exec_lo, exec_lo, s6
.LBB20_91:
	s_delay_alu instid0(SALU_CYCLE_1) | instskip(SKIP_3) | instid1(VALU_DEP_1)
	s_or_b32 exec_lo, exec_lo, s0
	v_and_b32_e32 v55, 7, v109
	s_mov_b32 s2, 0
	s_mov_b32 s0, exec_lo
	v_cmpx_ne_u32_e32 0, v55
	s_cbranch_execz .LBB20_95
; %bb.92:
	v_lshl_add_u32 v56, v108, 2, 0x60
	v_mov_b32_e32 v109, 0
.LBB20_93:                              ; =>This Inner Loop Header: Depth=1
	v_cmp_eq_u32_e32 vcc_lo, 1, v108
	ds_load_b32 v58, v56
	v_dual_add_nc_u32 v56, 4, v56 :: v_dual_add_nc_u32 v55, -1, v55
	v_cndmask_b32_e32 v57, v34, v35, vcc_lo
	v_cmp_eq_u32_e32 vcc_lo, 2, v108
	s_delay_alu instid0(VALU_DEP_2) | instskip(SKIP_1) | instid1(VALU_DEP_2)
	v_cndmask_b32_e32 v57, v57, v36, vcc_lo
	v_cmp_eq_u32_e32 vcc_lo, 3, v108
	v_cndmask_b32_e32 v57, v57, v37, vcc_lo
	v_cmp_eq_u32_e32 vcc_lo, 4, v108
	s_delay_alu instid0(VALU_DEP_2) | instskip(SKIP_1) | instid1(VALU_DEP_2)
	v_cndmask_b32_e32 v57, v57, v38, vcc_lo
	v_cmp_eq_u32_e32 vcc_lo, 5, v108
	;; [unrolled: 5-line block ×9, first 2 shown]
	v_cndmask_b32_e32 v57, v57, v53, vcc_lo
	v_cmp_eq_u32_e32 vcc_lo, 20, v108
	v_add_nc_u64_e32 v[108:109], 1, v[108:109]
	s_delay_alu instid0(VALU_DEP_3) | instskip(SKIP_2) | instid1(VALU_DEP_2)
	v_cndmask_b32_e32 v57, v57, v54, vcc_lo
	v_cmp_eq_u32_e32 vcc_lo, 0, v55
	s_wait_dscnt 0x0
	v_fmac_f32_e32 v112, v57, v58
	s_or_b32 s2, vcc_lo, s2
	s_delay_alu instid0(SALU_CYCLE_1)
	s_and_not1_b32 exec_lo, exec_lo, s2
	s_cbranch_execnz .LBB20_93
; %bb.94:
	s_or_b32 exec_lo, exec_lo, s2
.LBB20_95:
	s_delay_alu instid0(SALU_CYCLE_1)
	s_or_b32 exec_lo, exec_lo, s0
.LBB20_96:
	s_delay_alu instid0(SALU_CYCLE_1)
	s_or_b32 exec_lo, exec_lo, s5
	v_mov_b32_e32 v47, 0
	ds_load_b32 v47, v47 offset:52
	s_wait_dscnt 0x0
	v_mul_f32_e32 v47, v112, v47
.LBB20_97:
	s_or_b32 exec_lo, exec_lo, s4
	v_cmp_lt_u32_e64 s0, 12, v0
	ds_store_b32 v111, v46
	s_wait_dscnt 0x0
	s_barrier_signal -1
	s_barrier_wait -1
	s_and_saveexec_b32 s4, s0
	s_cbranch_execz .LBB20_113
; %bb.98:
	s_and_not1_b32 vcc_lo, exec_lo, s21
	s_cbranch_vccnz .LBB20_100
; %bb.99:
	v_cmp_eq_u32_e32 vcc_lo, 1, v0
	ds_load_b32 v109, v111
	v_cndmask_b32_e32 v108, v34, v35, vcc_lo
	v_cmp_eq_u32_e32 vcc_lo, 2, v0
	s_delay_alu instid0(VALU_DEP_2) | instskip(SKIP_1) | instid1(VALU_DEP_2)
	v_cndmask_b32_e32 v108, v108, v36, vcc_lo
	v_cmp_eq_u32_e32 vcc_lo, 3, v0
	v_cndmask_b32_e32 v108, v108, v37, vcc_lo
	v_cmp_eq_u32_e32 vcc_lo, 4, v0
	s_delay_alu instid0(VALU_DEP_2) | instskip(SKIP_1) | instid1(VALU_DEP_2)
	v_cndmask_b32_e32 v108, v108, v38, vcc_lo
	v_cmp_eq_u32_e32 vcc_lo, 5, v0
	;; [unrolled: 5-line block ×9, first 2 shown]
	v_cndmask_b32_e32 v108, v108, v53, vcc_lo
	v_cmp_eq_u32_e32 vcc_lo, 20, v0
	s_delay_alu instid0(VALU_DEP_2) | instskip(SKIP_1) | instid1(VALU_DEP_1)
	v_cndmask_b32_e32 v108, v108, v54, vcc_lo
	s_wait_dscnt 0x0
	v_mul_f32_e32 v112, v108, v109
	s_cbranch_execz .LBB20_101
	s_branch .LBB20_102
.LBB20_100:
                                        ; implicit-def: $vgpr112
.LBB20_101:
	ds_load_b32 v112, v111
.LBB20_102:
	s_and_saveexec_b32 s5, s1
	s_cbranch_execz .LBB20_112
; %bb.103:
	v_dual_add_nc_u32 v108, -14, v0 :: v_dual_add_nc_u32 v109, -13, v0
	s_delay_alu instid0(VALU_DEP_1)
	v_cmp_lt_u32_e32 vcc_lo, 6, v108
	v_mov_b32_e32 v108, 13
	s_and_saveexec_b32 s1, vcc_lo
	s_cbranch_execz .LBB20_107
; %bb.104:
	v_and_b32_e32 v108, -8, v109
	s_mov_b32 s6, 0
	s_mov_b64 s[2:3], 20
	s_movk_i32 s7, 0x94
	s_delay_alu instid0(VALU_DEP_1)
	v_sub_nc_u32_e32 v110, 0, v108
.LBB20_105:                             ; =>This Inner Loop Header: Depth=1
	s_add_co_i32 m0, s2, -7
	v_movrels_b32_e32 v113, v34
	v_mov_b32_e32 v108, s7
	s_add_co_i32 m0, s2, -6
	s_add_co_i32 s7, s7, 32
	v_movrels_b32_e32 v122, v34
	ds_load_2addr_b32 v[114:115], v108 offset1:1
	ds_load_2addr_b32 v[116:117], v108 offset0:2 offset1:3
	s_add_co_i32 m0, s2, -5
	s_wait_dscnt 0x1
	v_fmac_f32_e32 v112, v113, v114
	ds_load_2addr_b32 v[118:119], v108 offset0:4 offset1:5
	ds_load_2addr_b32 v[120:121], v108 offset0:6 offset1:7
	v_movrels_b32_e32 v108, v34
	s_add_co_i32 m0, s2, -4
	v_fmac_f32_e32 v112, v122, v115
	v_movrels_b32_e32 v113, v34
	s_add_co_i32 m0, s2, -3
	s_wait_dscnt 0x2
	s_delay_alu instid0(VALU_DEP_2) | instskip(SKIP_2) | instid1(VALU_DEP_2)
	v_fmac_f32_e32 v112, v108, v116
	v_movrels_b32_e32 v108, v34
	s_add_co_i32 m0, s2, -2
	v_fmac_f32_e32 v112, v113, v117
	v_movrels_b32_e32 v113, v34
	s_add_co_i32 m0, s2, -1
	s_wait_dscnt 0x1
	s_delay_alu instid0(VALU_DEP_2)
	v_fmac_f32_e32 v112, v108, v118
	v_movrels_b32_e32 v108, v34
	s_mov_b32 m0, s2
	s_add_nc_u64 s[2:3], s[2:3], 8
	v_movrels_b32_e32 v114, v34
	v_dual_fmac_f32 v112, v113, v119 :: v_dual_add_nc_u32 v113, s2, v110
	s_add_co_i32 s8, s2, -7
	s_wait_dscnt 0x0
	s_delay_alu instid0(VALU_DEP_1) | instskip(NEXT) | instid1(VALU_DEP_2)
	v_fmac_f32_e32 v112, v108, v120
	v_cmp_eq_u32_e32 vcc_lo, 20, v113
	s_delay_alu instid0(VALU_DEP_2) | instskip(SKIP_1) | instid1(SALU_CYCLE_1)
	v_dual_mov_b32 v108, s8 :: v_dual_fmac_f32 v112, v114, v121
	s_or_b32 s6, vcc_lo, s6
	s_and_not1_b32 exec_lo, exec_lo, s6
	s_cbranch_execnz .LBB20_105
; %bb.106:
	s_or_b32 exec_lo, exec_lo, s6
.LBB20_107:
	s_delay_alu instid0(SALU_CYCLE_1) | instskip(SKIP_3) | instid1(VALU_DEP_1)
	s_or_b32 exec_lo, exec_lo, s1
	v_and_b32_e32 v55, 7, v109
	s_mov_b32 s2, 0
	s_mov_b32 s1, exec_lo
	v_cmpx_ne_u32_e32 0, v55
	s_cbranch_execz .LBB20_111
; %bb.108:
	v_lshl_add_u32 v56, v108, 2, 0x60
	v_mov_b32_e32 v109, 0
.LBB20_109:                             ; =>This Inner Loop Header: Depth=1
	v_cmp_eq_u32_e32 vcc_lo, 1, v108
	ds_load_b32 v58, v56
	v_dual_add_nc_u32 v56, 4, v56 :: v_dual_add_nc_u32 v55, -1, v55
	v_cndmask_b32_e32 v57, v34, v35, vcc_lo
	v_cmp_eq_u32_e32 vcc_lo, 2, v108
	s_delay_alu instid0(VALU_DEP_2) | instskip(SKIP_1) | instid1(VALU_DEP_2)
	v_cndmask_b32_e32 v57, v57, v36, vcc_lo
	v_cmp_eq_u32_e32 vcc_lo, 3, v108
	v_cndmask_b32_e32 v57, v57, v37, vcc_lo
	v_cmp_eq_u32_e32 vcc_lo, 4, v108
	s_delay_alu instid0(VALU_DEP_2) | instskip(SKIP_1) | instid1(VALU_DEP_2)
	v_cndmask_b32_e32 v57, v57, v38, vcc_lo
	v_cmp_eq_u32_e32 vcc_lo, 5, v108
	;; [unrolled: 5-line block ×9, first 2 shown]
	v_cndmask_b32_e32 v57, v57, v53, vcc_lo
	v_cmp_eq_u32_e32 vcc_lo, 20, v108
	v_add_nc_u64_e32 v[108:109], 1, v[108:109]
	s_delay_alu instid0(VALU_DEP_3) | instskip(SKIP_2) | instid1(VALU_DEP_2)
	v_cndmask_b32_e32 v57, v57, v54, vcc_lo
	v_cmp_eq_u32_e32 vcc_lo, 0, v55
	s_wait_dscnt 0x0
	v_fmac_f32_e32 v112, v57, v58
	s_or_b32 s2, vcc_lo, s2
	s_delay_alu instid0(SALU_CYCLE_1)
	s_and_not1_b32 exec_lo, exec_lo, s2
	s_cbranch_execnz .LBB20_109
; %bb.110:
	s_or_b32 exec_lo, exec_lo, s2
.LBB20_111:
	s_delay_alu instid0(SALU_CYCLE_1)
	s_or_b32 exec_lo, exec_lo, s1
.LBB20_112:
	s_delay_alu instid0(SALU_CYCLE_1)
	s_or_b32 exec_lo, exec_lo, s5
	v_mov_b32_e32 v46, 0
	ds_load_b32 v46, v46 offset:48
	s_wait_dscnt 0x0
	v_mul_f32_e32 v46, v112, v46
.LBB20_113:
	s_or_b32 exec_lo, exec_lo, s4
	v_cmp_lt_u32_e64 s1, 11, v0
	ds_store_b32 v111, v45
	s_wait_dscnt 0x0
	s_barrier_signal -1
	s_barrier_wait -1
	s_and_saveexec_b32 s4, s1
	s_cbranch_execz .LBB20_129
; %bb.114:
	s_and_not1_b32 vcc_lo, exec_lo, s21
	s_cbranch_vccnz .LBB20_116
; %bb.115:
	v_cmp_eq_u32_e32 vcc_lo, 1, v0
	ds_load_b32 v109, v111
	v_cndmask_b32_e32 v108, v34, v35, vcc_lo
	v_cmp_eq_u32_e32 vcc_lo, 2, v0
	s_delay_alu instid0(VALU_DEP_2) | instskip(SKIP_1) | instid1(VALU_DEP_2)
	v_cndmask_b32_e32 v108, v108, v36, vcc_lo
	v_cmp_eq_u32_e32 vcc_lo, 3, v0
	v_cndmask_b32_e32 v108, v108, v37, vcc_lo
	v_cmp_eq_u32_e32 vcc_lo, 4, v0
	s_delay_alu instid0(VALU_DEP_2) | instskip(SKIP_1) | instid1(VALU_DEP_2)
	v_cndmask_b32_e32 v108, v108, v38, vcc_lo
	v_cmp_eq_u32_e32 vcc_lo, 5, v0
	;; [unrolled: 5-line block ×9, first 2 shown]
	v_cndmask_b32_e32 v108, v108, v53, vcc_lo
	v_cmp_eq_u32_e32 vcc_lo, 20, v0
	s_delay_alu instid0(VALU_DEP_2) | instskip(SKIP_1) | instid1(VALU_DEP_1)
	v_cndmask_b32_e32 v108, v108, v54, vcc_lo
	s_wait_dscnt 0x0
	v_mul_f32_e32 v112, v108, v109
	s_cbranch_execz .LBB20_117
	s_branch .LBB20_118
.LBB20_116:
                                        ; implicit-def: $vgpr112
.LBB20_117:
	ds_load_b32 v112, v111
.LBB20_118:
	s_and_saveexec_b32 s5, s0
	s_cbranch_execz .LBB20_128
; %bb.119:
	v_dual_add_nc_u32 v108, -13, v0 :: v_dual_add_nc_u32 v109, -12, v0
	s_delay_alu instid0(VALU_DEP_1)
	v_cmp_lt_u32_e32 vcc_lo, 6, v108
	v_mov_b32_e32 v108, 12
	s_and_saveexec_b32 s0, vcc_lo
	s_cbranch_execz .LBB20_123
; %bb.120:
	v_and_b32_e32 v108, -8, v109
	s_mov_b32 s6, 0
	s_mov_b64 s[2:3], 19
	s_movk_i32 s7, 0x90
	s_delay_alu instid0(VALU_DEP_1)
	v_sub_nc_u32_e32 v110, 0, v108
.LBB20_121:                             ; =>This Inner Loop Header: Depth=1
	s_add_co_i32 m0, s2, -7
	v_movrels_b32_e32 v113, v34
	v_mov_b32_e32 v108, s7
	s_add_co_i32 m0, s2, -6
	s_add_co_i32 s7, s7, 32
	v_movrels_b32_e32 v122, v34
	s_add_co_i32 m0, s2, -5
	ds_load_b128 v[114:117], v108
	ds_load_b128 v[118:121], v108 offset:16
	v_movrels_b32_e32 v108, v34
	s_add_co_i32 m0, s2, -4
	s_wait_dscnt 0x1
	v_fmac_f32_e32 v112, v113, v114
	v_movrels_b32_e32 v113, v34
	s_add_co_i32 m0, s2, -3
	s_delay_alu instid0(VALU_DEP_2) | instskip(NEXT) | instid1(VALU_DEP_1)
	v_fmac_f32_e32 v112, v122, v115
	v_fmac_f32_e32 v112, v108, v116
	v_movrels_b32_e32 v108, v34
	s_add_co_i32 m0, s2, -2
	s_delay_alu instid0(VALU_DEP_2) | instskip(SKIP_3) | instid1(VALU_DEP_2)
	v_fmac_f32_e32 v112, v113, v117
	v_movrels_b32_e32 v113, v34
	s_add_co_i32 m0, s2, -1
	s_wait_dscnt 0x0
	v_fmac_f32_e32 v112, v108, v118
	v_movrels_b32_e32 v108, v34
	s_mov_b32 m0, s2
	s_add_nc_u64 s[2:3], s[2:3], 8
	v_movrels_b32_e32 v114, v34
	v_dual_fmac_f32 v112, v113, v119 :: v_dual_add_nc_u32 v113, s2, v110
	s_add_co_i32 s8, s2, -7
	s_delay_alu instid0(VALU_DEP_1) | instskip(NEXT) | instid1(VALU_DEP_2)
	v_fmac_f32_e32 v112, v108, v120
	v_cmp_eq_u32_e32 vcc_lo, 19, v113
	s_delay_alu instid0(VALU_DEP_2) | instskip(SKIP_1) | instid1(SALU_CYCLE_1)
	v_dual_mov_b32 v108, s8 :: v_dual_fmac_f32 v112, v114, v121
	s_or_b32 s6, vcc_lo, s6
	s_and_not1_b32 exec_lo, exec_lo, s6
	s_cbranch_execnz .LBB20_121
; %bb.122:
	s_or_b32 exec_lo, exec_lo, s6
.LBB20_123:
	s_delay_alu instid0(SALU_CYCLE_1) | instskip(SKIP_3) | instid1(VALU_DEP_1)
	s_or_b32 exec_lo, exec_lo, s0
	v_and_b32_e32 v55, 7, v109
	s_mov_b32 s2, 0
	s_mov_b32 s0, exec_lo
	v_cmpx_ne_u32_e32 0, v55
	s_cbranch_execz .LBB20_127
; %bb.124:
	v_lshl_add_u32 v56, v108, 2, 0x60
	v_mov_b32_e32 v109, 0
.LBB20_125:                             ; =>This Inner Loop Header: Depth=1
	v_cmp_eq_u32_e32 vcc_lo, 1, v108
	ds_load_b32 v58, v56
	v_dual_add_nc_u32 v56, 4, v56 :: v_dual_add_nc_u32 v55, -1, v55
	v_cndmask_b32_e32 v57, v34, v35, vcc_lo
	v_cmp_eq_u32_e32 vcc_lo, 2, v108
	s_delay_alu instid0(VALU_DEP_2) | instskip(SKIP_1) | instid1(VALU_DEP_2)
	v_cndmask_b32_e32 v57, v57, v36, vcc_lo
	v_cmp_eq_u32_e32 vcc_lo, 3, v108
	v_cndmask_b32_e32 v57, v57, v37, vcc_lo
	v_cmp_eq_u32_e32 vcc_lo, 4, v108
	s_delay_alu instid0(VALU_DEP_2) | instskip(SKIP_1) | instid1(VALU_DEP_2)
	v_cndmask_b32_e32 v57, v57, v38, vcc_lo
	v_cmp_eq_u32_e32 vcc_lo, 5, v108
	;; [unrolled: 5-line block ×9, first 2 shown]
	v_cndmask_b32_e32 v57, v57, v53, vcc_lo
	v_cmp_eq_u32_e32 vcc_lo, 20, v108
	v_add_nc_u64_e32 v[108:109], 1, v[108:109]
	s_delay_alu instid0(VALU_DEP_3) | instskip(SKIP_2) | instid1(VALU_DEP_2)
	v_cndmask_b32_e32 v57, v57, v54, vcc_lo
	v_cmp_eq_u32_e32 vcc_lo, 0, v55
	s_wait_dscnt 0x0
	v_fmac_f32_e32 v112, v57, v58
	s_or_b32 s2, vcc_lo, s2
	s_delay_alu instid0(SALU_CYCLE_1)
	s_and_not1_b32 exec_lo, exec_lo, s2
	s_cbranch_execnz .LBB20_125
; %bb.126:
	s_or_b32 exec_lo, exec_lo, s2
.LBB20_127:
	s_delay_alu instid0(SALU_CYCLE_1)
	s_or_b32 exec_lo, exec_lo, s0
.LBB20_128:
	s_delay_alu instid0(SALU_CYCLE_1)
	s_or_b32 exec_lo, exec_lo, s5
	v_mov_b32_e32 v45, 0
	ds_load_b32 v45, v45 offset:44
	s_wait_dscnt 0x0
	v_mul_f32_e32 v45, v112, v45
.LBB20_129:
	s_or_b32 exec_lo, exec_lo, s4
	v_cmp_lt_u32_e64 s0, 10, v0
	ds_store_b32 v111, v44
	s_wait_dscnt 0x0
	s_barrier_signal -1
	s_barrier_wait -1
	s_and_saveexec_b32 s4, s0
	s_cbranch_execz .LBB20_145
; %bb.130:
	s_and_not1_b32 vcc_lo, exec_lo, s21
	s_cbranch_vccnz .LBB20_132
; %bb.131:
	v_cmp_eq_u32_e32 vcc_lo, 1, v0
	ds_load_b32 v109, v111
	v_cndmask_b32_e32 v108, v34, v35, vcc_lo
	v_cmp_eq_u32_e32 vcc_lo, 2, v0
	s_delay_alu instid0(VALU_DEP_2) | instskip(SKIP_1) | instid1(VALU_DEP_2)
	v_cndmask_b32_e32 v108, v108, v36, vcc_lo
	v_cmp_eq_u32_e32 vcc_lo, 3, v0
	v_cndmask_b32_e32 v108, v108, v37, vcc_lo
	v_cmp_eq_u32_e32 vcc_lo, 4, v0
	s_delay_alu instid0(VALU_DEP_2) | instskip(SKIP_1) | instid1(VALU_DEP_2)
	v_cndmask_b32_e32 v108, v108, v38, vcc_lo
	v_cmp_eq_u32_e32 vcc_lo, 5, v0
	;; [unrolled: 5-line block ×9, first 2 shown]
	v_cndmask_b32_e32 v108, v108, v53, vcc_lo
	v_cmp_eq_u32_e32 vcc_lo, 20, v0
	s_delay_alu instid0(VALU_DEP_2) | instskip(SKIP_1) | instid1(VALU_DEP_1)
	v_cndmask_b32_e32 v108, v108, v54, vcc_lo
	s_wait_dscnt 0x0
	v_mul_f32_e32 v112, v108, v109
	s_cbranch_execz .LBB20_133
	s_branch .LBB20_134
.LBB20_132:
                                        ; implicit-def: $vgpr112
.LBB20_133:
	ds_load_b32 v112, v111
.LBB20_134:
	s_and_saveexec_b32 s5, s1
	s_cbranch_execz .LBB20_144
; %bb.135:
	v_dual_add_nc_u32 v108, -12, v0 :: v_dual_add_nc_u32 v109, -11, v0
	s_delay_alu instid0(VALU_DEP_1)
	v_cmp_lt_u32_e32 vcc_lo, 6, v108
	v_mov_b32_e32 v108, 11
	s_and_saveexec_b32 s1, vcc_lo
	s_cbranch_execz .LBB20_139
; %bb.136:
	v_and_b32_e32 v108, -8, v109
	s_mov_b32 s6, 0
	s_mov_b64 s[2:3], 18
	s_movk_i32 s7, 0x8c
	s_delay_alu instid0(VALU_DEP_1)
	v_sub_nc_u32_e32 v110, 0, v108
.LBB20_137:                             ; =>This Inner Loop Header: Depth=1
	s_add_co_i32 m0, s2, -7
	v_movrels_b32_e32 v113, v34
	v_mov_b32_e32 v108, s7
	s_add_co_i32 m0, s2, -6
	s_add_co_i32 s7, s7, 32
	v_movrels_b32_e32 v122, v34
	ds_load_2addr_b32 v[114:115], v108 offset1:1
	ds_load_2addr_b32 v[116:117], v108 offset0:2 offset1:3
	s_add_co_i32 m0, s2, -5
	s_wait_dscnt 0x1
	v_fmac_f32_e32 v112, v113, v114
	ds_load_2addr_b32 v[118:119], v108 offset0:4 offset1:5
	ds_load_2addr_b32 v[120:121], v108 offset0:6 offset1:7
	v_movrels_b32_e32 v108, v34
	s_add_co_i32 m0, s2, -4
	v_fmac_f32_e32 v112, v122, v115
	v_movrels_b32_e32 v113, v34
	s_add_co_i32 m0, s2, -3
	s_wait_dscnt 0x2
	s_delay_alu instid0(VALU_DEP_2) | instskip(SKIP_2) | instid1(VALU_DEP_2)
	v_fmac_f32_e32 v112, v108, v116
	v_movrels_b32_e32 v108, v34
	s_add_co_i32 m0, s2, -2
	v_fmac_f32_e32 v112, v113, v117
	v_movrels_b32_e32 v113, v34
	s_add_co_i32 m0, s2, -1
	s_wait_dscnt 0x1
	s_delay_alu instid0(VALU_DEP_2)
	v_fmac_f32_e32 v112, v108, v118
	v_movrels_b32_e32 v108, v34
	s_mov_b32 m0, s2
	s_add_nc_u64 s[2:3], s[2:3], 8
	v_movrels_b32_e32 v114, v34
	v_dual_fmac_f32 v112, v113, v119 :: v_dual_add_nc_u32 v113, s2, v110
	s_add_co_i32 s8, s2, -7
	s_wait_dscnt 0x0
	s_delay_alu instid0(VALU_DEP_1) | instskip(NEXT) | instid1(VALU_DEP_2)
	v_fmac_f32_e32 v112, v108, v120
	v_cmp_eq_u32_e32 vcc_lo, 18, v113
	s_delay_alu instid0(VALU_DEP_2) | instskip(SKIP_1) | instid1(SALU_CYCLE_1)
	v_dual_mov_b32 v108, s8 :: v_dual_fmac_f32 v112, v114, v121
	s_or_b32 s6, vcc_lo, s6
	s_and_not1_b32 exec_lo, exec_lo, s6
	s_cbranch_execnz .LBB20_137
; %bb.138:
	s_or_b32 exec_lo, exec_lo, s6
.LBB20_139:
	s_delay_alu instid0(SALU_CYCLE_1) | instskip(SKIP_3) | instid1(VALU_DEP_1)
	s_or_b32 exec_lo, exec_lo, s1
	v_and_b32_e32 v55, 7, v109
	s_mov_b32 s2, 0
	s_mov_b32 s1, exec_lo
	v_cmpx_ne_u32_e32 0, v55
	s_cbranch_execz .LBB20_143
; %bb.140:
	v_lshl_add_u32 v56, v108, 2, 0x60
	v_mov_b32_e32 v109, 0
.LBB20_141:                             ; =>This Inner Loop Header: Depth=1
	v_cmp_eq_u32_e32 vcc_lo, 1, v108
	ds_load_b32 v58, v56
	v_dual_add_nc_u32 v56, 4, v56 :: v_dual_add_nc_u32 v55, -1, v55
	v_cndmask_b32_e32 v57, v34, v35, vcc_lo
	v_cmp_eq_u32_e32 vcc_lo, 2, v108
	s_delay_alu instid0(VALU_DEP_2) | instskip(SKIP_1) | instid1(VALU_DEP_2)
	v_cndmask_b32_e32 v57, v57, v36, vcc_lo
	v_cmp_eq_u32_e32 vcc_lo, 3, v108
	v_cndmask_b32_e32 v57, v57, v37, vcc_lo
	v_cmp_eq_u32_e32 vcc_lo, 4, v108
	s_delay_alu instid0(VALU_DEP_2) | instskip(SKIP_1) | instid1(VALU_DEP_2)
	v_cndmask_b32_e32 v57, v57, v38, vcc_lo
	v_cmp_eq_u32_e32 vcc_lo, 5, v108
	;; [unrolled: 5-line block ×9, first 2 shown]
	v_cndmask_b32_e32 v57, v57, v53, vcc_lo
	v_cmp_eq_u32_e32 vcc_lo, 20, v108
	v_add_nc_u64_e32 v[108:109], 1, v[108:109]
	s_delay_alu instid0(VALU_DEP_3) | instskip(SKIP_2) | instid1(VALU_DEP_2)
	v_cndmask_b32_e32 v57, v57, v54, vcc_lo
	v_cmp_eq_u32_e32 vcc_lo, 0, v55
	s_wait_dscnt 0x0
	v_fmac_f32_e32 v112, v57, v58
	s_or_b32 s2, vcc_lo, s2
	s_delay_alu instid0(SALU_CYCLE_1)
	s_and_not1_b32 exec_lo, exec_lo, s2
	s_cbranch_execnz .LBB20_141
; %bb.142:
	s_or_b32 exec_lo, exec_lo, s2
.LBB20_143:
	s_delay_alu instid0(SALU_CYCLE_1)
	s_or_b32 exec_lo, exec_lo, s1
.LBB20_144:
	s_delay_alu instid0(SALU_CYCLE_1)
	s_or_b32 exec_lo, exec_lo, s5
	v_mov_b32_e32 v44, 0
	ds_load_b32 v44, v44 offset:40
	s_wait_dscnt 0x0
	v_mul_f32_e32 v44, v112, v44
.LBB20_145:
	s_or_b32 exec_lo, exec_lo, s4
	v_cmp_lt_u32_e64 s1, 9, v0
	ds_store_b32 v111, v43
	s_wait_dscnt 0x0
	s_barrier_signal -1
	s_barrier_wait -1
	s_and_saveexec_b32 s4, s1
	s_cbranch_execz .LBB20_161
; %bb.146:
	s_and_not1_b32 vcc_lo, exec_lo, s21
	s_cbranch_vccnz .LBB20_148
; %bb.147:
	v_cmp_eq_u32_e32 vcc_lo, 1, v0
	ds_load_b32 v109, v111
	v_cndmask_b32_e32 v108, v34, v35, vcc_lo
	v_cmp_eq_u32_e32 vcc_lo, 2, v0
	s_delay_alu instid0(VALU_DEP_2) | instskip(SKIP_1) | instid1(VALU_DEP_2)
	v_cndmask_b32_e32 v108, v108, v36, vcc_lo
	v_cmp_eq_u32_e32 vcc_lo, 3, v0
	v_cndmask_b32_e32 v108, v108, v37, vcc_lo
	v_cmp_eq_u32_e32 vcc_lo, 4, v0
	s_delay_alu instid0(VALU_DEP_2) | instskip(SKIP_1) | instid1(VALU_DEP_2)
	v_cndmask_b32_e32 v108, v108, v38, vcc_lo
	v_cmp_eq_u32_e32 vcc_lo, 5, v0
	;; [unrolled: 5-line block ×9, first 2 shown]
	v_cndmask_b32_e32 v108, v108, v53, vcc_lo
	v_cmp_eq_u32_e32 vcc_lo, 20, v0
	s_delay_alu instid0(VALU_DEP_2) | instskip(SKIP_1) | instid1(VALU_DEP_1)
	v_cndmask_b32_e32 v108, v108, v54, vcc_lo
	s_wait_dscnt 0x0
	v_mul_f32_e32 v112, v108, v109
	s_cbranch_execz .LBB20_149
	s_branch .LBB20_150
.LBB20_148:
                                        ; implicit-def: $vgpr112
.LBB20_149:
	ds_load_b32 v112, v111
.LBB20_150:
	s_and_saveexec_b32 s5, s0
	s_cbranch_execz .LBB20_160
; %bb.151:
	v_dual_add_nc_u32 v108, -11, v0 :: v_dual_add_nc_u32 v109, -10, v0
	s_delay_alu instid0(VALU_DEP_1)
	v_cmp_lt_u32_e32 vcc_lo, 6, v108
	v_mov_b32_e32 v108, 10
	s_and_saveexec_b32 s0, vcc_lo
	s_cbranch_execz .LBB20_155
; %bb.152:
	v_and_b32_e32 v108, -8, v109
	s_mov_b32 s6, 0
	s_mov_b64 s[2:3], 17
	s_movk_i32 s7, 0x88
	s_delay_alu instid0(VALU_DEP_1)
	v_sub_nc_u32_e32 v110, 0, v108
.LBB20_153:                             ; =>This Inner Loop Header: Depth=1
	s_add_co_i32 m0, s2, -7
	v_movrels_b32_e32 v113, v34
	v_mov_b32_e32 v108, s7
	s_add_co_i32 m0, s2, -6
	s_add_co_i32 s7, s7, 32
	v_movrels_b32_e32 v122, v34
	s_add_co_i32 m0, s2, -5
	ds_load_2addr_b64 v[114:117], v108 offset1:1
	ds_load_2addr_b64 v[118:121], v108 offset0:2 offset1:3
	v_movrels_b32_e32 v108, v34
	s_add_co_i32 m0, s2, -4
	s_wait_dscnt 0x1
	v_fmac_f32_e32 v112, v113, v114
	v_movrels_b32_e32 v113, v34
	s_add_co_i32 m0, s2, -3
	s_delay_alu instid0(VALU_DEP_2) | instskip(NEXT) | instid1(VALU_DEP_1)
	v_fmac_f32_e32 v112, v122, v115
	v_fmac_f32_e32 v112, v108, v116
	v_movrels_b32_e32 v108, v34
	s_add_co_i32 m0, s2, -2
	s_delay_alu instid0(VALU_DEP_2) | instskip(SKIP_3) | instid1(VALU_DEP_2)
	v_fmac_f32_e32 v112, v113, v117
	v_movrels_b32_e32 v113, v34
	s_add_co_i32 m0, s2, -1
	s_wait_dscnt 0x0
	v_fmac_f32_e32 v112, v108, v118
	v_movrels_b32_e32 v108, v34
	s_mov_b32 m0, s2
	s_add_nc_u64 s[2:3], s[2:3], 8
	v_movrels_b32_e32 v114, v34
	v_dual_fmac_f32 v112, v113, v119 :: v_dual_add_nc_u32 v113, s2, v110
	s_add_co_i32 s8, s2, -7
	s_delay_alu instid0(VALU_DEP_1) | instskip(NEXT) | instid1(VALU_DEP_2)
	v_fmac_f32_e32 v112, v108, v120
	v_cmp_eq_u32_e32 vcc_lo, 17, v113
	s_delay_alu instid0(VALU_DEP_2) | instskip(SKIP_1) | instid1(SALU_CYCLE_1)
	v_dual_mov_b32 v108, s8 :: v_dual_fmac_f32 v112, v114, v121
	s_or_b32 s6, vcc_lo, s6
	s_and_not1_b32 exec_lo, exec_lo, s6
	s_cbranch_execnz .LBB20_153
; %bb.154:
	s_or_b32 exec_lo, exec_lo, s6
.LBB20_155:
	s_delay_alu instid0(SALU_CYCLE_1) | instskip(SKIP_3) | instid1(VALU_DEP_1)
	s_or_b32 exec_lo, exec_lo, s0
	v_and_b32_e32 v55, 7, v109
	s_mov_b32 s2, 0
	s_mov_b32 s0, exec_lo
	v_cmpx_ne_u32_e32 0, v55
	s_cbranch_execz .LBB20_159
; %bb.156:
	v_lshl_add_u32 v56, v108, 2, 0x60
	v_mov_b32_e32 v109, 0
.LBB20_157:                             ; =>This Inner Loop Header: Depth=1
	v_cmp_eq_u32_e32 vcc_lo, 1, v108
	ds_load_b32 v58, v56
	v_dual_add_nc_u32 v56, 4, v56 :: v_dual_add_nc_u32 v55, -1, v55
	v_cndmask_b32_e32 v57, v34, v35, vcc_lo
	v_cmp_eq_u32_e32 vcc_lo, 2, v108
	s_delay_alu instid0(VALU_DEP_2) | instskip(SKIP_1) | instid1(VALU_DEP_2)
	v_cndmask_b32_e32 v57, v57, v36, vcc_lo
	v_cmp_eq_u32_e32 vcc_lo, 3, v108
	v_cndmask_b32_e32 v57, v57, v37, vcc_lo
	v_cmp_eq_u32_e32 vcc_lo, 4, v108
	s_delay_alu instid0(VALU_DEP_2) | instskip(SKIP_1) | instid1(VALU_DEP_2)
	v_cndmask_b32_e32 v57, v57, v38, vcc_lo
	v_cmp_eq_u32_e32 vcc_lo, 5, v108
	;; [unrolled: 5-line block ×9, first 2 shown]
	v_cndmask_b32_e32 v57, v57, v53, vcc_lo
	v_cmp_eq_u32_e32 vcc_lo, 20, v108
	v_add_nc_u64_e32 v[108:109], 1, v[108:109]
	s_delay_alu instid0(VALU_DEP_3) | instskip(SKIP_2) | instid1(VALU_DEP_2)
	v_cndmask_b32_e32 v57, v57, v54, vcc_lo
	v_cmp_eq_u32_e32 vcc_lo, 0, v55
	s_wait_dscnt 0x0
	v_fmac_f32_e32 v112, v57, v58
	s_or_b32 s2, vcc_lo, s2
	s_delay_alu instid0(SALU_CYCLE_1)
	s_and_not1_b32 exec_lo, exec_lo, s2
	s_cbranch_execnz .LBB20_157
; %bb.158:
	s_or_b32 exec_lo, exec_lo, s2
.LBB20_159:
	s_delay_alu instid0(SALU_CYCLE_1)
	s_or_b32 exec_lo, exec_lo, s0
.LBB20_160:
	s_delay_alu instid0(SALU_CYCLE_1)
	s_or_b32 exec_lo, exec_lo, s5
	v_mov_b32_e32 v43, 0
	ds_load_b32 v43, v43 offset:36
	s_wait_dscnt 0x0
	v_mul_f32_e32 v43, v112, v43
.LBB20_161:
	s_or_b32 exec_lo, exec_lo, s4
	v_cmp_lt_u32_e64 s0, 8, v0
	ds_store_b32 v111, v42
	s_wait_dscnt 0x0
	s_barrier_signal -1
	s_barrier_wait -1
	s_and_saveexec_b32 s4, s0
	s_cbranch_execz .LBB20_177
; %bb.162:
	s_and_not1_b32 vcc_lo, exec_lo, s21
	s_cbranch_vccnz .LBB20_164
; %bb.163:
	v_cmp_eq_u32_e32 vcc_lo, 1, v0
	ds_load_b32 v109, v111
	v_cndmask_b32_e32 v108, v34, v35, vcc_lo
	v_cmp_eq_u32_e32 vcc_lo, 2, v0
	s_delay_alu instid0(VALU_DEP_2) | instskip(SKIP_1) | instid1(VALU_DEP_2)
	v_cndmask_b32_e32 v108, v108, v36, vcc_lo
	v_cmp_eq_u32_e32 vcc_lo, 3, v0
	v_cndmask_b32_e32 v108, v108, v37, vcc_lo
	v_cmp_eq_u32_e32 vcc_lo, 4, v0
	s_delay_alu instid0(VALU_DEP_2) | instskip(SKIP_1) | instid1(VALU_DEP_2)
	v_cndmask_b32_e32 v108, v108, v38, vcc_lo
	v_cmp_eq_u32_e32 vcc_lo, 5, v0
	;; [unrolled: 5-line block ×9, first 2 shown]
	v_cndmask_b32_e32 v108, v108, v53, vcc_lo
	v_cmp_eq_u32_e32 vcc_lo, 20, v0
	s_delay_alu instid0(VALU_DEP_2) | instskip(SKIP_1) | instid1(VALU_DEP_1)
	v_cndmask_b32_e32 v108, v108, v54, vcc_lo
	s_wait_dscnt 0x0
	v_mul_f32_e32 v112, v108, v109
	s_cbranch_execz .LBB20_165
	s_branch .LBB20_166
.LBB20_164:
                                        ; implicit-def: $vgpr112
.LBB20_165:
	ds_load_b32 v112, v111
.LBB20_166:
	s_and_saveexec_b32 s5, s1
	s_cbranch_execz .LBB20_176
; %bb.167:
	v_dual_add_nc_u32 v108, -10, v0 :: v_dual_add_nc_u32 v109, -9, v0
	s_delay_alu instid0(VALU_DEP_1)
	v_cmp_lt_u32_e32 vcc_lo, 6, v108
	v_mov_b32_e32 v108, 9
	s_and_saveexec_b32 s1, vcc_lo
	s_cbranch_execz .LBB20_171
; %bb.168:
	v_and_b32_e32 v108, -8, v109
	s_mov_b32 s6, 0
	s_mov_b64 s[2:3], 16
	s_movk_i32 s7, 0x84
	s_delay_alu instid0(VALU_DEP_1)
	v_sub_nc_u32_e32 v110, 0, v108
.LBB20_169:                             ; =>This Inner Loop Header: Depth=1
	s_add_co_i32 m0, s2, -7
	v_movrels_b32_e32 v113, v34
	v_mov_b32_e32 v108, s7
	s_add_co_i32 m0, s2, -6
	s_add_co_i32 s7, s7, 32
	v_movrels_b32_e32 v122, v34
	ds_load_2addr_b32 v[114:115], v108 offset1:1
	ds_load_2addr_b32 v[116:117], v108 offset0:2 offset1:3
	s_add_co_i32 m0, s2, -5
	s_wait_dscnt 0x1
	v_fmac_f32_e32 v112, v113, v114
	ds_load_2addr_b32 v[118:119], v108 offset0:4 offset1:5
	ds_load_2addr_b32 v[120:121], v108 offset0:6 offset1:7
	v_movrels_b32_e32 v108, v34
	s_add_co_i32 m0, s2, -4
	v_fmac_f32_e32 v112, v122, v115
	v_movrels_b32_e32 v113, v34
	s_add_co_i32 m0, s2, -3
	s_wait_dscnt 0x2
	s_delay_alu instid0(VALU_DEP_2) | instskip(SKIP_2) | instid1(VALU_DEP_2)
	v_fmac_f32_e32 v112, v108, v116
	v_movrels_b32_e32 v108, v34
	s_add_co_i32 m0, s2, -2
	v_fmac_f32_e32 v112, v113, v117
	v_movrels_b32_e32 v113, v34
	s_add_co_i32 m0, s2, -1
	s_wait_dscnt 0x1
	s_delay_alu instid0(VALU_DEP_2)
	v_fmac_f32_e32 v112, v108, v118
	v_movrels_b32_e32 v108, v34
	s_mov_b32 m0, s2
	s_add_nc_u64 s[2:3], s[2:3], 8
	v_movrels_b32_e32 v114, v34
	v_dual_fmac_f32 v112, v113, v119 :: v_dual_add_nc_u32 v113, s2, v110
	s_add_co_i32 s8, s2, -7
	s_wait_dscnt 0x0
	s_delay_alu instid0(VALU_DEP_1) | instskip(NEXT) | instid1(VALU_DEP_2)
	v_fmac_f32_e32 v112, v108, v120
	v_cmp_eq_u32_e32 vcc_lo, 16, v113
	s_delay_alu instid0(VALU_DEP_2) | instskip(SKIP_1) | instid1(SALU_CYCLE_1)
	v_dual_mov_b32 v108, s8 :: v_dual_fmac_f32 v112, v114, v121
	s_or_b32 s6, vcc_lo, s6
	s_and_not1_b32 exec_lo, exec_lo, s6
	s_cbranch_execnz .LBB20_169
; %bb.170:
	s_or_b32 exec_lo, exec_lo, s6
.LBB20_171:
	s_delay_alu instid0(SALU_CYCLE_1) | instskip(SKIP_3) | instid1(VALU_DEP_1)
	s_or_b32 exec_lo, exec_lo, s1
	v_and_b32_e32 v55, 7, v109
	s_mov_b32 s2, 0
	s_mov_b32 s1, exec_lo
	v_cmpx_ne_u32_e32 0, v55
	s_cbranch_execz .LBB20_175
; %bb.172:
	v_lshl_add_u32 v56, v108, 2, 0x60
	v_mov_b32_e32 v109, 0
.LBB20_173:                             ; =>This Inner Loop Header: Depth=1
	v_cmp_eq_u32_e32 vcc_lo, 1, v108
	ds_load_b32 v58, v56
	v_dual_add_nc_u32 v56, 4, v56 :: v_dual_add_nc_u32 v55, -1, v55
	v_cndmask_b32_e32 v57, v34, v35, vcc_lo
	v_cmp_eq_u32_e32 vcc_lo, 2, v108
	s_delay_alu instid0(VALU_DEP_2) | instskip(SKIP_1) | instid1(VALU_DEP_2)
	v_cndmask_b32_e32 v57, v57, v36, vcc_lo
	v_cmp_eq_u32_e32 vcc_lo, 3, v108
	v_cndmask_b32_e32 v57, v57, v37, vcc_lo
	v_cmp_eq_u32_e32 vcc_lo, 4, v108
	s_delay_alu instid0(VALU_DEP_2) | instskip(SKIP_1) | instid1(VALU_DEP_2)
	v_cndmask_b32_e32 v57, v57, v38, vcc_lo
	v_cmp_eq_u32_e32 vcc_lo, 5, v108
	;; [unrolled: 5-line block ×9, first 2 shown]
	v_cndmask_b32_e32 v57, v57, v53, vcc_lo
	v_cmp_eq_u32_e32 vcc_lo, 20, v108
	v_add_nc_u64_e32 v[108:109], 1, v[108:109]
	s_delay_alu instid0(VALU_DEP_3) | instskip(SKIP_2) | instid1(VALU_DEP_2)
	v_cndmask_b32_e32 v57, v57, v54, vcc_lo
	v_cmp_eq_u32_e32 vcc_lo, 0, v55
	s_wait_dscnt 0x0
	v_fmac_f32_e32 v112, v57, v58
	s_or_b32 s2, vcc_lo, s2
	s_delay_alu instid0(SALU_CYCLE_1)
	s_and_not1_b32 exec_lo, exec_lo, s2
	s_cbranch_execnz .LBB20_173
; %bb.174:
	s_or_b32 exec_lo, exec_lo, s2
.LBB20_175:
	s_delay_alu instid0(SALU_CYCLE_1)
	s_or_b32 exec_lo, exec_lo, s1
.LBB20_176:
	s_delay_alu instid0(SALU_CYCLE_1)
	s_or_b32 exec_lo, exec_lo, s5
	v_mov_b32_e32 v42, 0
	ds_load_b32 v42, v42 offset:32
	s_wait_dscnt 0x0
	v_mul_f32_e32 v42, v112, v42
.LBB20_177:
	s_or_b32 exec_lo, exec_lo, s4
	v_cmp_lt_u32_e64 s1, 7, v0
	ds_store_b32 v111, v41
	s_wait_dscnt 0x0
	s_barrier_signal -1
	s_barrier_wait -1
	s_and_saveexec_b32 s4, s1
	s_cbranch_execz .LBB20_193
; %bb.178:
	s_and_not1_b32 vcc_lo, exec_lo, s21
	s_cbranch_vccnz .LBB20_180
; %bb.179:
	v_cmp_eq_u32_e32 vcc_lo, 1, v0
	ds_load_b32 v109, v111
	v_cndmask_b32_e32 v108, v34, v35, vcc_lo
	v_cmp_eq_u32_e32 vcc_lo, 2, v0
	s_delay_alu instid0(VALU_DEP_2) | instskip(SKIP_1) | instid1(VALU_DEP_2)
	v_cndmask_b32_e32 v108, v108, v36, vcc_lo
	v_cmp_eq_u32_e32 vcc_lo, 3, v0
	v_cndmask_b32_e32 v108, v108, v37, vcc_lo
	v_cmp_eq_u32_e32 vcc_lo, 4, v0
	s_delay_alu instid0(VALU_DEP_2) | instskip(SKIP_1) | instid1(VALU_DEP_2)
	v_cndmask_b32_e32 v108, v108, v38, vcc_lo
	v_cmp_eq_u32_e32 vcc_lo, 5, v0
	;; [unrolled: 5-line block ×9, first 2 shown]
	v_cndmask_b32_e32 v108, v108, v53, vcc_lo
	v_cmp_eq_u32_e32 vcc_lo, 20, v0
	s_delay_alu instid0(VALU_DEP_2) | instskip(SKIP_1) | instid1(VALU_DEP_1)
	v_cndmask_b32_e32 v108, v108, v54, vcc_lo
	s_wait_dscnt 0x0
	v_mul_f32_e32 v112, v108, v109
	s_cbranch_execz .LBB20_181
	s_branch .LBB20_182
.LBB20_180:
                                        ; implicit-def: $vgpr112
.LBB20_181:
	ds_load_b32 v112, v111
.LBB20_182:
	s_and_saveexec_b32 s5, s0
	s_cbranch_execz .LBB20_192
; %bb.183:
	v_add_nc_u32_e32 v108, -9, v0
	s_delay_alu instid0(VALU_DEP_1)
	v_cmp_lt_u32_e32 vcc_lo, 6, v108
	v_mov_b32_e32 v108, 8
	s_and_saveexec_b32 s0, vcc_lo
	s_cbranch_execz .LBB20_187
; %bb.184:
	v_and_b32_e32 v108, 24, v0
	s_mov_b32 s6, 0
	s_mov_b64 s[2:3], 15
	s_movk_i32 s7, 0x80
	s_delay_alu instid0(VALU_DEP_1)
	v_sub_nc_u32_e32 v110, 0, v108
.LBB20_185:                             ; =>This Inner Loop Header: Depth=1
	s_add_co_i32 m0, s2, -7
	v_movrels_b32_e32 v109, v34
	v_mov_b32_e32 v108, s7
	s_add_co_i32 m0, s2, -6
	s_add_co_i32 s7, s7, 32
	v_movrels_b32_e32 v113, v34
	s_add_co_i32 m0, s2, -5
	ds_load_b128 v[114:117], v108
	ds_load_b128 v[118:121], v108 offset:16
	v_movrels_b32_e32 v108, v34
	s_add_co_i32 m0, s2, -4
	s_wait_dscnt 0x1
	v_fmac_f32_e32 v112, v109, v114
	v_movrels_b32_e32 v109, v34
	s_add_co_i32 m0, s2, -3
	s_delay_alu instid0(VALU_DEP_2) | instskip(NEXT) | instid1(VALU_DEP_1)
	v_fmac_f32_e32 v112, v113, v115
	v_fmac_f32_e32 v112, v108, v116
	v_movrels_b32_e32 v108, v34
	s_add_co_i32 m0, s2, -2
	s_delay_alu instid0(VALU_DEP_2) | instskip(SKIP_3) | instid1(VALU_DEP_2)
	v_fmac_f32_e32 v112, v109, v117
	v_movrels_b32_e32 v109, v34
	s_add_co_i32 m0, s2, -1
	s_wait_dscnt 0x0
	v_fmac_f32_e32 v112, v108, v118
	v_movrels_b32_e32 v108, v34
	s_mov_b32 m0, s2
	s_add_nc_u64 s[2:3], s[2:3], 8
	v_movrels_b32_e32 v113, v34
	v_dual_fmac_f32 v112, v109, v119 :: v_dual_add_nc_u32 v109, s2, v110
	s_add_co_i32 s8, s2, -7
	s_delay_alu instid0(VALU_DEP_1) | instskip(NEXT) | instid1(VALU_DEP_2)
	v_fmac_f32_e32 v112, v108, v120
	v_cmp_eq_u32_e32 vcc_lo, 7, v109
	s_delay_alu instid0(VALU_DEP_2) | instskip(SKIP_1) | instid1(SALU_CYCLE_1)
	v_dual_mov_b32 v108, s8 :: v_dual_fmac_f32 v112, v113, v121
	s_or_b32 s6, vcc_lo, s6
	s_and_not1_b32 exec_lo, exec_lo, s6
	s_cbranch_execnz .LBB20_185
; %bb.186:
	s_or_b32 exec_lo, exec_lo, s6
.LBB20_187:
	s_delay_alu instid0(SALU_CYCLE_1) | instskip(SKIP_3) | instid1(VALU_DEP_1)
	s_or_b32 exec_lo, exec_lo, s0
	v_and_b32_e32 v55, 7, v0
	s_mov_b32 s2, 0
	s_mov_b32 s0, exec_lo
	v_cmpx_ne_u32_e32 0, v55
	s_cbranch_execz .LBB20_191
; %bb.188:
	v_lshl_add_u32 v56, v108, 2, 0x60
	v_mov_b32_e32 v109, 0
.LBB20_189:                             ; =>This Inner Loop Header: Depth=1
	v_cmp_eq_u32_e32 vcc_lo, 1, v108
	ds_load_b32 v58, v56
	v_dual_add_nc_u32 v56, 4, v56 :: v_dual_add_nc_u32 v55, -1, v55
	v_cndmask_b32_e32 v57, v34, v35, vcc_lo
	v_cmp_eq_u32_e32 vcc_lo, 2, v108
	s_delay_alu instid0(VALU_DEP_2) | instskip(SKIP_1) | instid1(VALU_DEP_2)
	v_cndmask_b32_e32 v57, v57, v36, vcc_lo
	v_cmp_eq_u32_e32 vcc_lo, 3, v108
	v_cndmask_b32_e32 v57, v57, v37, vcc_lo
	v_cmp_eq_u32_e32 vcc_lo, 4, v108
	s_delay_alu instid0(VALU_DEP_2) | instskip(SKIP_1) | instid1(VALU_DEP_2)
	v_cndmask_b32_e32 v57, v57, v38, vcc_lo
	v_cmp_eq_u32_e32 vcc_lo, 5, v108
	v_cndmask_b32_e32 v57, v57, v39, vcc_lo
	v_cmp_eq_u32_e32 vcc_lo, 6, v108
	s_delay_alu instid0(VALU_DEP_2) | instskip(SKIP_1) | instid1(VALU_DEP_2)
	v_cndmask_b32_e32 v57, v57, v40, vcc_lo
	v_cmp_eq_u32_e32 vcc_lo, 7, v108
	v_cndmask_b32_e32 v57, v57, v41, vcc_lo
	v_cmp_eq_u32_e32 vcc_lo, 8, v108
	s_delay_alu instid0(VALU_DEP_2) | instskip(SKIP_1) | instid1(VALU_DEP_2)
	v_cndmask_b32_e32 v57, v57, v42, vcc_lo
	v_cmp_eq_u32_e32 vcc_lo, 9, v108
	v_cndmask_b32_e32 v57, v57, v43, vcc_lo
	v_cmp_eq_u32_e32 vcc_lo, 10, v108
	s_delay_alu instid0(VALU_DEP_2) | instskip(SKIP_1) | instid1(VALU_DEP_2)
	v_cndmask_b32_e32 v57, v57, v44, vcc_lo
	v_cmp_eq_u32_e32 vcc_lo, 11, v108
	v_cndmask_b32_e32 v57, v57, v45, vcc_lo
	v_cmp_eq_u32_e32 vcc_lo, 12, v108
	s_delay_alu instid0(VALU_DEP_2) | instskip(SKIP_1) | instid1(VALU_DEP_2)
	v_cndmask_b32_e32 v57, v57, v46, vcc_lo
	v_cmp_eq_u32_e32 vcc_lo, 13, v108
	v_cndmask_b32_e32 v57, v57, v47, vcc_lo
	v_cmp_eq_u32_e32 vcc_lo, 14, v108
	s_delay_alu instid0(VALU_DEP_2) | instskip(SKIP_1) | instid1(VALU_DEP_2)
	v_cndmask_b32_e32 v57, v57, v48, vcc_lo
	v_cmp_eq_u32_e32 vcc_lo, 15, v108
	v_cndmask_b32_e32 v57, v57, v49, vcc_lo
	v_cmp_eq_u32_e32 vcc_lo, 16, v108
	s_delay_alu instid0(VALU_DEP_2) | instskip(SKIP_1) | instid1(VALU_DEP_2)
	v_cndmask_b32_e32 v57, v57, v50, vcc_lo
	v_cmp_eq_u32_e32 vcc_lo, 17, v108
	v_cndmask_b32_e32 v57, v57, v51, vcc_lo
	v_cmp_eq_u32_e32 vcc_lo, 18, v108
	s_delay_alu instid0(VALU_DEP_2) | instskip(SKIP_1) | instid1(VALU_DEP_2)
	v_cndmask_b32_e32 v57, v57, v52, vcc_lo
	v_cmp_eq_u32_e32 vcc_lo, 19, v108
	v_cndmask_b32_e32 v57, v57, v53, vcc_lo
	v_cmp_eq_u32_e32 vcc_lo, 20, v108
	v_add_nc_u64_e32 v[108:109], 1, v[108:109]
	s_delay_alu instid0(VALU_DEP_3) | instskip(SKIP_2) | instid1(VALU_DEP_2)
	v_cndmask_b32_e32 v57, v57, v54, vcc_lo
	v_cmp_eq_u32_e32 vcc_lo, 0, v55
	s_wait_dscnt 0x0
	v_fmac_f32_e32 v112, v57, v58
	s_or_b32 s2, vcc_lo, s2
	s_delay_alu instid0(SALU_CYCLE_1)
	s_and_not1_b32 exec_lo, exec_lo, s2
	s_cbranch_execnz .LBB20_189
; %bb.190:
	s_or_b32 exec_lo, exec_lo, s2
.LBB20_191:
	s_delay_alu instid0(SALU_CYCLE_1)
	s_or_b32 exec_lo, exec_lo, s0
.LBB20_192:
	s_delay_alu instid0(SALU_CYCLE_1)
	s_or_b32 exec_lo, exec_lo, s5
	v_mov_b32_e32 v41, 0
	ds_load_b32 v41, v41 offset:28
	s_wait_dscnt 0x0
	v_mul_f32_e32 v41, v112, v41
.LBB20_193:
	s_or_b32 exec_lo, exec_lo, s4
	v_cmp_lt_u32_e64 s0, 6, v0
	ds_store_b32 v111, v40
	s_wait_dscnt 0x0
	s_barrier_signal -1
	s_barrier_wait -1
	s_and_saveexec_b32 s4, s0
	s_cbranch_execz .LBB20_209
; %bb.194:
	s_and_not1_b32 vcc_lo, exec_lo, s21
	s_cbranch_vccnz .LBB20_196
; %bb.195:
	v_cmp_eq_u32_e32 vcc_lo, 1, v0
	ds_load_b32 v109, v111
	v_cndmask_b32_e32 v108, v34, v35, vcc_lo
	v_cmp_eq_u32_e32 vcc_lo, 2, v0
	s_delay_alu instid0(VALU_DEP_2) | instskip(SKIP_1) | instid1(VALU_DEP_2)
	v_cndmask_b32_e32 v108, v108, v36, vcc_lo
	v_cmp_eq_u32_e32 vcc_lo, 3, v0
	v_cndmask_b32_e32 v108, v108, v37, vcc_lo
	v_cmp_eq_u32_e32 vcc_lo, 4, v0
	s_delay_alu instid0(VALU_DEP_2) | instskip(SKIP_1) | instid1(VALU_DEP_2)
	v_cndmask_b32_e32 v108, v108, v38, vcc_lo
	v_cmp_eq_u32_e32 vcc_lo, 5, v0
	;; [unrolled: 5-line block ×9, first 2 shown]
	v_cndmask_b32_e32 v108, v108, v53, vcc_lo
	v_cmp_eq_u32_e32 vcc_lo, 20, v0
	s_delay_alu instid0(VALU_DEP_2) | instskip(SKIP_1) | instid1(VALU_DEP_1)
	v_cndmask_b32_e32 v108, v108, v54, vcc_lo
	s_wait_dscnt 0x0
	v_mul_f32_e32 v112, v108, v109
	s_cbranch_execz .LBB20_197
	s_branch .LBB20_198
.LBB20_196:
                                        ; implicit-def: $vgpr112
.LBB20_197:
	ds_load_b32 v112, v111
.LBB20_198:
	s_and_saveexec_b32 s5, s1
	s_cbranch_execz .LBB20_208
; %bb.199:
	v_dual_add_nc_u32 v108, -8, v0 :: v_dual_add_nc_u32 v109, -7, v0
	s_delay_alu instid0(VALU_DEP_1)
	v_cmp_lt_u32_e32 vcc_lo, 6, v108
	v_mov_b32_e32 v108, 7
	s_and_saveexec_b32 s1, vcc_lo
	s_cbranch_execz .LBB20_203
; %bb.200:
	v_and_b32_e32 v108, -8, v109
	s_mov_b32 s6, 0
	s_mov_b64 s[2:3], 14
	s_movk_i32 s7, 0x7c
	s_delay_alu instid0(VALU_DEP_1)
	v_sub_nc_u32_e32 v110, 0, v108
.LBB20_201:                             ; =>This Inner Loop Header: Depth=1
	s_add_co_i32 m0, s2, -7
	v_movrels_b32_e32 v113, v34
	v_mov_b32_e32 v108, s7
	s_add_co_i32 m0, s2, -6
	s_add_co_i32 s7, s7, 32
	v_movrels_b32_e32 v122, v34
	ds_load_2addr_b32 v[114:115], v108 offset1:1
	ds_load_2addr_b32 v[116:117], v108 offset0:2 offset1:3
	s_add_co_i32 m0, s2, -5
	s_wait_dscnt 0x1
	v_fmac_f32_e32 v112, v113, v114
	ds_load_2addr_b32 v[118:119], v108 offset0:4 offset1:5
	ds_load_2addr_b32 v[120:121], v108 offset0:6 offset1:7
	v_movrels_b32_e32 v108, v34
	s_add_co_i32 m0, s2, -4
	v_fmac_f32_e32 v112, v122, v115
	v_movrels_b32_e32 v113, v34
	s_add_co_i32 m0, s2, -3
	s_wait_dscnt 0x2
	s_delay_alu instid0(VALU_DEP_2) | instskip(SKIP_2) | instid1(VALU_DEP_2)
	v_fmac_f32_e32 v112, v108, v116
	v_movrels_b32_e32 v108, v34
	s_add_co_i32 m0, s2, -2
	v_fmac_f32_e32 v112, v113, v117
	v_movrels_b32_e32 v113, v34
	s_add_co_i32 m0, s2, -1
	s_wait_dscnt 0x1
	s_delay_alu instid0(VALU_DEP_2)
	v_fmac_f32_e32 v112, v108, v118
	v_movrels_b32_e32 v108, v34
	s_mov_b32 m0, s2
	s_add_nc_u64 s[2:3], s[2:3], 8
	v_movrels_b32_e32 v114, v34
	v_dual_fmac_f32 v112, v113, v119 :: v_dual_add_nc_u32 v113, s2, v110
	s_add_co_i32 s8, s2, -7
	s_wait_dscnt 0x0
	s_delay_alu instid0(VALU_DEP_1) | instskip(NEXT) | instid1(VALU_DEP_2)
	v_fmac_f32_e32 v112, v108, v120
	v_cmp_eq_u32_e32 vcc_lo, 14, v113
	s_delay_alu instid0(VALU_DEP_2) | instskip(SKIP_1) | instid1(SALU_CYCLE_1)
	v_dual_mov_b32 v108, s8 :: v_dual_fmac_f32 v112, v114, v121
	s_or_b32 s6, vcc_lo, s6
	s_and_not1_b32 exec_lo, exec_lo, s6
	s_cbranch_execnz .LBB20_201
; %bb.202:
	s_or_b32 exec_lo, exec_lo, s6
.LBB20_203:
	s_delay_alu instid0(SALU_CYCLE_1) | instskip(SKIP_3) | instid1(VALU_DEP_1)
	s_or_b32 exec_lo, exec_lo, s1
	v_and_b32_e32 v55, 7, v109
	s_mov_b32 s2, 0
	s_mov_b32 s1, exec_lo
	v_cmpx_ne_u32_e32 0, v55
	s_cbranch_execz .LBB20_207
; %bb.204:
	v_lshl_add_u32 v56, v108, 2, 0x60
	v_mov_b32_e32 v109, 0
.LBB20_205:                             ; =>This Inner Loop Header: Depth=1
	v_cmp_eq_u32_e32 vcc_lo, 1, v108
	ds_load_b32 v58, v56
	v_dual_add_nc_u32 v56, 4, v56 :: v_dual_add_nc_u32 v55, -1, v55
	v_cndmask_b32_e32 v57, v34, v35, vcc_lo
	v_cmp_eq_u32_e32 vcc_lo, 2, v108
	s_delay_alu instid0(VALU_DEP_2) | instskip(SKIP_1) | instid1(VALU_DEP_2)
	v_cndmask_b32_e32 v57, v57, v36, vcc_lo
	v_cmp_eq_u32_e32 vcc_lo, 3, v108
	v_cndmask_b32_e32 v57, v57, v37, vcc_lo
	v_cmp_eq_u32_e32 vcc_lo, 4, v108
	s_delay_alu instid0(VALU_DEP_2) | instskip(SKIP_1) | instid1(VALU_DEP_2)
	v_cndmask_b32_e32 v57, v57, v38, vcc_lo
	v_cmp_eq_u32_e32 vcc_lo, 5, v108
	;; [unrolled: 5-line block ×9, first 2 shown]
	v_cndmask_b32_e32 v57, v57, v53, vcc_lo
	v_cmp_eq_u32_e32 vcc_lo, 20, v108
	v_add_nc_u64_e32 v[108:109], 1, v[108:109]
	s_delay_alu instid0(VALU_DEP_3) | instskip(SKIP_2) | instid1(VALU_DEP_2)
	v_cndmask_b32_e32 v57, v57, v54, vcc_lo
	v_cmp_eq_u32_e32 vcc_lo, 0, v55
	s_wait_dscnt 0x0
	v_fmac_f32_e32 v112, v57, v58
	s_or_b32 s2, vcc_lo, s2
	s_delay_alu instid0(SALU_CYCLE_1)
	s_and_not1_b32 exec_lo, exec_lo, s2
	s_cbranch_execnz .LBB20_205
; %bb.206:
	s_or_b32 exec_lo, exec_lo, s2
.LBB20_207:
	s_delay_alu instid0(SALU_CYCLE_1)
	s_or_b32 exec_lo, exec_lo, s1
.LBB20_208:
	s_delay_alu instid0(SALU_CYCLE_1)
	s_or_b32 exec_lo, exec_lo, s5
	v_mov_b32_e32 v40, 0
	ds_load_b32 v40, v40 offset:24
	s_wait_dscnt 0x0
	v_mul_f32_e32 v40, v112, v40
.LBB20_209:
	s_or_b32 exec_lo, exec_lo, s4
	v_cmp_lt_u32_e64 s1, 5, v0
	ds_store_b32 v111, v39
	s_wait_dscnt 0x0
	s_barrier_signal -1
	s_barrier_wait -1
	s_and_saveexec_b32 s4, s1
	s_cbranch_execz .LBB20_225
; %bb.210:
	s_and_not1_b32 vcc_lo, exec_lo, s21
	s_cbranch_vccnz .LBB20_212
; %bb.211:
	v_cmp_eq_u32_e32 vcc_lo, 1, v0
	ds_load_b32 v109, v111
	v_cndmask_b32_e32 v108, v34, v35, vcc_lo
	v_cmp_eq_u32_e32 vcc_lo, 2, v0
	s_delay_alu instid0(VALU_DEP_2) | instskip(SKIP_1) | instid1(VALU_DEP_2)
	v_cndmask_b32_e32 v108, v108, v36, vcc_lo
	v_cmp_eq_u32_e32 vcc_lo, 3, v0
	v_cndmask_b32_e32 v108, v108, v37, vcc_lo
	v_cmp_eq_u32_e32 vcc_lo, 4, v0
	s_delay_alu instid0(VALU_DEP_2) | instskip(SKIP_1) | instid1(VALU_DEP_2)
	v_cndmask_b32_e32 v108, v108, v38, vcc_lo
	v_cmp_eq_u32_e32 vcc_lo, 5, v0
	;; [unrolled: 5-line block ×9, first 2 shown]
	v_cndmask_b32_e32 v108, v108, v53, vcc_lo
	v_cmp_eq_u32_e32 vcc_lo, 20, v0
	s_delay_alu instid0(VALU_DEP_2) | instskip(SKIP_1) | instid1(VALU_DEP_1)
	v_cndmask_b32_e32 v108, v108, v54, vcc_lo
	s_wait_dscnt 0x0
	v_mul_f32_e32 v112, v108, v109
	s_cbranch_execz .LBB20_213
	s_branch .LBB20_214
.LBB20_212:
                                        ; implicit-def: $vgpr112
.LBB20_213:
	ds_load_b32 v112, v111
.LBB20_214:
	s_and_saveexec_b32 s5, s0
	s_cbranch_execz .LBB20_224
; %bb.215:
	v_dual_add_nc_u32 v110, -7, v0 :: v_dual_add_nc_u32 v109, -6, v0
	v_mov_b32_e32 v108, 6
	s_mov_b32 s0, exec_lo
	s_delay_alu instid0(VALU_DEP_2)
	v_cmpx_lt_u32_e32 6, v110
	s_cbranch_execz .LBB20_219
; %bb.216:
	v_and_b32_e32 v108, -8, v109
	s_mov_b32 s6, 0
	s_mov_b64 s[2:3], 13
	s_movk_i32 s7, 0x78
	s_delay_alu instid0(VALU_DEP_1)
	v_sub_nc_u32_e32 v110, 0, v108
.LBB20_217:                             ; =>This Inner Loop Header: Depth=1
	s_add_co_i32 m0, s2, -7
	v_movrels_b32_e32 v113, v34
	v_mov_b32_e32 v108, s7
	s_add_co_i32 m0, s2, -6
	s_add_co_i32 s7, s7, 32
	v_movrels_b32_e32 v122, v34
	s_add_co_i32 m0, s2, -5
	ds_load_2addr_b64 v[114:117], v108 offset1:1
	ds_load_2addr_b64 v[118:121], v108 offset0:2 offset1:3
	v_movrels_b32_e32 v108, v34
	s_add_co_i32 m0, s2, -4
	s_wait_dscnt 0x1
	v_fmac_f32_e32 v112, v113, v114
	v_movrels_b32_e32 v113, v34
	s_add_co_i32 m0, s2, -3
	s_delay_alu instid0(VALU_DEP_2) | instskip(NEXT) | instid1(VALU_DEP_1)
	v_fmac_f32_e32 v112, v122, v115
	v_fmac_f32_e32 v112, v108, v116
	v_movrels_b32_e32 v108, v34
	s_add_co_i32 m0, s2, -2
	s_delay_alu instid0(VALU_DEP_2) | instskip(SKIP_3) | instid1(VALU_DEP_2)
	v_fmac_f32_e32 v112, v113, v117
	v_movrels_b32_e32 v113, v34
	s_add_co_i32 m0, s2, -1
	s_wait_dscnt 0x0
	v_fmac_f32_e32 v112, v108, v118
	v_movrels_b32_e32 v108, v34
	s_mov_b32 m0, s2
	s_add_nc_u64 s[2:3], s[2:3], 8
	v_movrels_b32_e32 v114, v34
	v_dual_fmac_f32 v112, v113, v119 :: v_dual_add_nc_u32 v113, s2, v110
	s_add_co_i32 s8, s2, -7
	s_delay_alu instid0(VALU_DEP_1) | instskip(NEXT) | instid1(VALU_DEP_2)
	v_fmac_f32_e32 v112, v108, v120
	v_cmp_eq_u32_e32 vcc_lo, 13, v113
	s_delay_alu instid0(VALU_DEP_2) | instskip(SKIP_1) | instid1(SALU_CYCLE_1)
	v_dual_mov_b32 v108, s8 :: v_dual_fmac_f32 v112, v114, v121
	s_or_b32 s6, vcc_lo, s6
	s_and_not1_b32 exec_lo, exec_lo, s6
	s_cbranch_execnz .LBB20_217
; %bb.218:
	s_or_b32 exec_lo, exec_lo, s6
.LBB20_219:
	s_delay_alu instid0(SALU_CYCLE_1) | instskip(SKIP_3) | instid1(VALU_DEP_1)
	s_or_b32 exec_lo, exec_lo, s0
	v_and_b32_e32 v55, 7, v109
	s_mov_b32 s2, 0
	s_mov_b32 s0, exec_lo
	v_cmpx_ne_u32_e32 0, v55
	s_cbranch_execz .LBB20_223
; %bb.220:
	v_lshl_add_u32 v56, v108, 2, 0x60
	v_mov_b32_e32 v109, 0
.LBB20_221:                             ; =>This Inner Loop Header: Depth=1
	v_cmp_eq_u32_e32 vcc_lo, 1, v108
	ds_load_b32 v58, v56
	v_dual_add_nc_u32 v56, 4, v56 :: v_dual_add_nc_u32 v55, -1, v55
	v_cndmask_b32_e32 v57, v34, v35, vcc_lo
	v_cmp_eq_u32_e32 vcc_lo, 2, v108
	s_delay_alu instid0(VALU_DEP_2) | instskip(SKIP_1) | instid1(VALU_DEP_2)
	v_cndmask_b32_e32 v57, v57, v36, vcc_lo
	v_cmp_eq_u32_e32 vcc_lo, 3, v108
	v_cndmask_b32_e32 v57, v57, v37, vcc_lo
	v_cmp_eq_u32_e32 vcc_lo, 4, v108
	s_delay_alu instid0(VALU_DEP_2) | instskip(SKIP_1) | instid1(VALU_DEP_2)
	v_cndmask_b32_e32 v57, v57, v38, vcc_lo
	v_cmp_eq_u32_e32 vcc_lo, 5, v108
	;; [unrolled: 5-line block ×9, first 2 shown]
	v_cndmask_b32_e32 v57, v57, v53, vcc_lo
	v_cmp_eq_u32_e32 vcc_lo, 20, v108
	v_add_nc_u64_e32 v[108:109], 1, v[108:109]
	s_delay_alu instid0(VALU_DEP_3) | instskip(SKIP_2) | instid1(VALU_DEP_2)
	v_cndmask_b32_e32 v57, v57, v54, vcc_lo
	v_cmp_eq_u32_e32 vcc_lo, 0, v55
	s_wait_dscnt 0x0
	v_fmac_f32_e32 v112, v57, v58
	s_or_b32 s2, vcc_lo, s2
	s_delay_alu instid0(SALU_CYCLE_1)
	s_and_not1_b32 exec_lo, exec_lo, s2
	s_cbranch_execnz .LBB20_221
; %bb.222:
	s_or_b32 exec_lo, exec_lo, s2
.LBB20_223:
	s_delay_alu instid0(SALU_CYCLE_1)
	s_or_b32 exec_lo, exec_lo, s0
.LBB20_224:
	s_delay_alu instid0(SALU_CYCLE_1)
	s_or_b32 exec_lo, exec_lo, s5
	v_mov_b32_e32 v39, 0
	ds_load_b32 v39, v39 offset:20
	s_wait_dscnt 0x0
	v_mul_f32_e32 v39, v112, v39
.LBB20_225:
	s_or_b32 exec_lo, exec_lo, s4
	v_cmp_lt_u32_e64 s0, 4, v0
	ds_store_b32 v111, v38
	s_wait_dscnt 0x0
	s_barrier_signal -1
	s_barrier_wait -1
	s_and_saveexec_b32 s4, s0
	s_cbranch_execz .LBB20_241
; %bb.226:
	s_and_not1_b32 vcc_lo, exec_lo, s21
	s_cbranch_vccnz .LBB20_228
; %bb.227:
	v_cmp_eq_u32_e32 vcc_lo, 1, v0
	ds_load_b32 v109, v111
	v_cndmask_b32_e32 v108, v34, v35, vcc_lo
	v_cmp_eq_u32_e32 vcc_lo, 2, v0
	s_delay_alu instid0(VALU_DEP_2) | instskip(SKIP_1) | instid1(VALU_DEP_2)
	v_cndmask_b32_e32 v108, v108, v36, vcc_lo
	v_cmp_eq_u32_e32 vcc_lo, 3, v0
	v_cndmask_b32_e32 v108, v108, v37, vcc_lo
	v_cmp_eq_u32_e32 vcc_lo, 4, v0
	s_delay_alu instid0(VALU_DEP_2) | instskip(SKIP_1) | instid1(VALU_DEP_2)
	v_cndmask_b32_e32 v108, v108, v38, vcc_lo
	v_cmp_eq_u32_e32 vcc_lo, 5, v0
	v_cndmask_b32_e32 v108, v108, v39, vcc_lo
	v_cmp_eq_u32_e32 vcc_lo, 6, v0
	s_delay_alu instid0(VALU_DEP_2) | instskip(SKIP_1) | instid1(VALU_DEP_2)
	v_cndmask_b32_e32 v108, v108, v40, vcc_lo
	v_cmp_eq_u32_e32 vcc_lo, 7, v0
	v_cndmask_b32_e32 v108, v108, v41, vcc_lo
	v_cmp_eq_u32_e32 vcc_lo, 8, v0
	s_delay_alu instid0(VALU_DEP_2) | instskip(SKIP_1) | instid1(VALU_DEP_2)
	v_cndmask_b32_e32 v108, v108, v42, vcc_lo
	v_cmp_eq_u32_e32 vcc_lo, 9, v0
	v_cndmask_b32_e32 v108, v108, v43, vcc_lo
	v_cmp_eq_u32_e32 vcc_lo, 10, v0
	s_delay_alu instid0(VALU_DEP_2) | instskip(SKIP_1) | instid1(VALU_DEP_2)
	v_cndmask_b32_e32 v108, v108, v44, vcc_lo
	v_cmp_eq_u32_e32 vcc_lo, 11, v0
	v_cndmask_b32_e32 v108, v108, v45, vcc_lo
	v_cmp_eq_u32_e32 vcc_lo, 12, v0
	s_delay_alu instid0(VALU_DEP_2) | instskip(SKIP_1) | instid1(VALU_DEP_2)
	v_cndmask_b32_e32 v108, v108, v46, vcc_lo
	v_cmp_eq_u32_e32 vcc_lo, 13, v0
	v_cndmask_b32_e32 v108, v108, v47, vcc_lo
	v_cmp_eq_u32_e32 vcc_lo, 14, v0
	s_delay_alu instid0(VALU_DEP_2) | instskip(SKIP_1) | instid1(VALU_DEP_2)
	v_cndmask_b32_e32 v108, v108, v48, vcc_lo
	v_cmp_eq_u32_e32 vcc_lo, 15, v0
	v_cndmask_b32_e32 v108, v108, v49, vcc_lo
	v_cmp_eq_u32_e32 vcc_lo, 16, v0
	s_delay_alu instid0(VALU_DEP_2) | instskip(SKIP_1) | instid1(VALU_DEP_2)
	v_cndmask_b32_e32 v108, v108, v50, vcc_lo
	v_cmp_eq_u32_e32 vcc_lo, 17, v0
	v_cndmask_b32_e32 v108, v108, v51, vcc_lo
	v_cmp_eq_u32_e32 vcc_lo, 18, v0
	s_delay_alu instid0(VALU_DEP_2) | instskip(SKIP_1) | instid1(VALU_DEP_2)
	v_cndmask_b32_e32 v108, v108, v52, vcc_lo
	v_cmp_eq_u32_e32 vcc_lo, 19, v0
	v_cndmask_b32_e32 v108, v108, v53, vcc_lo
	v_cmp_eq_u32_e32 vcc_lo, 20, v0
	s_delay_alu instid0(VALU_DEP_2) | instskip(SKIP_1) | instid1(VALU_DEP_1)
	v_cndmask_b32_e32 v108, v108, v54, vcc_lo
	s_wait_dscnt 0x0
	v_mul_f32_e32 v112, v108, v109
	s_cbranch_execz .LBB20_229
	s_branch .LBB20_230
.LBB20_228:
                                        ; implicit-def: $vgpr112
.LBB20_229:
	ds_load_b32 v112, v111
.LBB20_230:
	s_and_saveexec_b32 s5, s1
	s_cbranch_execz .LBB20_240
; %bb.231:
	v_dual_add_nc_u32 v108, -6, v0 :: v_dual_add_nc_u32 v109, -5, v0
	s_delay_alu instid0(VALU_DEP_1)
	v_cmp_lt_u32_e32 vcc_lo, 6, v108
	v_mov_b32_e32 v108, 5
	s_and_saveexec_b32 s1, vcc_lo
	s_cbranch_execz .LBB20_235
; %bb.232:
	v_and_b32_e32 v108, -8, v109
	s_mov_b32 s6, 0
	s_mov_b64 s[2:3], 12
	s_movk_i32 s7, 0x74
	s_delay_alu instid0(VALU_DEP_1)
	v_sub_nc_u32_e32 v110, 0, v108
.LBB20_233:                             ; =>This Inner Loop Header: Depth=1
	s_add_co_i32 m0, s2, -7
	v_movrels_b32_e32 v113, v34
	v_mov_b32_e32 v108, s7
	s_add_co_i32 m0, s2, -6
	s_add_co_i32 s7, s7, 32
	v_movrels_b32_e32 v122, v34
	ds_load_2addr_b32 v[114:115], v108 offset1:1
	ds_load_2addr_b32 v[116:117], v108 offset0:2 offset1:3
	s_add_co_i32 m0, s2, -5
	s_wait_dscnt 0x1
	v_fmac_f32_e32 v112, v113, v114
	ds_load_2addr_b32 v[118:119], v108 offset0:4 offset1:5
	ds_load_2addr_b32 v[120:121], v108 offset0:6 offset1:7
	v_movrels_b32_e32 v108, v34
	s_add_co_i32 m0, s2, -4
	v_fmac_f32_e32 v112, v122, v115
	v_movrels_b32_e32 v113, v34
	s_add_co_i32 m0, s2, -3
	s_wait_dscnt 0x2
	s_delay_alu instid0(VALU_DEP_2) | instskip(SKIP_2) | instid1(VALU_DEP_2)
	v_fmac_f32_e32 v112, v108, v116
	v_movrels_b32_e32 v108, v34
	s_add_co_i32 m0, s2, -2
	v_fmac_f32_e32 v112, v113, v117
	v_movrels_b32_e32 v113, v34
	s_add_co_i32 m0, s2, -1
	s_wait_dscnt 0x1
	s_delay_alu instid0(VALU_DEP_2)
	v_fmac_f32_e32 v112, v108, v118
	v_movrels_b32_e32 v108, v34
	s_mov_b32 m0, s2
	s_add_nc_u64 s[2:3], s[2:3], 8
	v_movrels_b32_e32 v114, v34
	v_dual_fmac_f32 v112, v113, v119 :: v_dual_add_nc_u32 v113, s2, v110
	s_add_co_i32 s8, s2, -7
	s_wait_dscnt 0x0
	s_delay_alu instid0(VALU_DEP_1) | instskip(NEXT) | instid1(VALU_DEP_2)
	v_fmac_f32_e32 v112, v108, v120
	v_cmp_eq_u32_e32 vcc_lo, 12, v113
	s_delay_alu instid0(VALU_DEP_2) | instskip(SKIP_1) | instid1(SALU_CYCLE_1)
	v_dual_mov_b32 v108, s8 :: v_dual_fmac_f32 v112, v114, v121
	s_or_b32 s6, vcc_lo, s6
	s_and_not1_b32 exec_lo, exec_lo, s6
	s_cbranch_execnz .LBB20_233
; %bb.234:
	s_or_b32 exec_lo, exec_lo, s6
.LBB20_235:
	s_delay_alu instid0(SALU_CYCLE_1) | instskip(SKIP_3) | instid1(VALU_DEP_1)
	s_or_b32 exec_lo, exec_lo, s1
	v_and_b32_e32 v55, 7, v109
	s_mov_b32 s2, 0
	s_mov_b32 s1, exec_lo
	v_cmpx_ne_u32_e32 0, v55
	s_cbranch_execz .LBB20_239
; %bb.236:
	v_lshl_add_u32 v56, v108, 2, 0x60
	v_mov_b32_e32 v109, 0
.LBB20_237:                             ; =>This Inner Loop Header: Depth=1
	v_cmp_eq_u32_e32 vcc_lo, 1, v108
	ds_load_b32 v58, v56
	v_dual_add_nc_u32 v56, 4, v56 :: v_dual_add_nc_u32 v55, -1, v55
	v_cndmask_b32_e32 v57, v34, v35, vcc_lo
	v_cmp_eq_u32_e32 vcc_lo, 2, v108
	s_delay_alu instid0(VALU_DEP_2) | instskip(SKIP_1) | instid1(VALU_DEP_2)
	v_cndmask_b32_e32 v57, v57, v36, vcc_lo
	v_cmp_eq_u32_e32 vcc_lo, 3, v108
	v_cndmask_b32_e32 v57, v57, v37, vcc_lo
	v_cmp_eq_u32_e32 vcc_lo, 4, v108
	s_delay_alu instid0(VALU_DEP_2) | instskip(SKIP_1) | instid1(VALU_DEP_2)
	v_cndmask_b32_e32 v57, v57, v38, vcc_lo
	v_cmp_eq_u32_e32 vcc_lo, 5, v108
	;; [unrolled: 5-line block ×9, first 2 shown]
	v_cndmask_b32_e32 v57, v57, v53, vcc_lo
	v_cmp_eq_u32_e32 vcc_lo, 20, v108
	v_add_nc_u64_e32 v[108:109], 1, v[108:109]
	s_delay_alu instid0(VALU_DEP_3) | instskip(SKIP_2) | instid1(VALU_DEP_2)
	v_cndmask_b32_e32 v57, v57, v54, vcc_lo
	v_cmp_eq_u32_e32 vcc_lo, 0, v55
	s_wait_dscnt 0x0
	v_fmac_f32_e32 v112, v57, v58
	s_or_b32 s2, vcc_lo, s2
	s_delay_alu instid0(SALU_CYCLE_1)
	s_and_not1_b32 exec_lo, exec_lo, s2
	s_cbranch_execnz .LBB20_237
; %bb.238:
	s_or_b32 exec_lo, exec_lo, s2
.LBB20_239:
	s_delay_alu instid0(SALU_CYCLE_1)
	s_or_b32 exec_lo, exec_lo, s1
.LBB20_240:
	s_delay_alu instid0(SALU_CYCLE_1)
	s_or_b32 exec_lo, exec_lo, s5
	v_mov_b32_e32 v38, 0
	ds_load_b32 v38, v38 offset:16
	s_wait_dscnt 0x0
	v_mul_f32_e32 v38, v112, v38
.LBB20_241:
	s_or_b32 exec_lo, exec_lo, s4
	v_cmp_lt_u32_e64 s1, 3, v0
	ds_store_b32 v111, v37
	s_wait_dscnt 0x0
	s_barrier_signal -1
	s_barrier_wait -1
	s_and_saveexec_b32 s4, s1
	s_cbranch_execz .LBB20_257
; %bb.242:
	s_and_not1_b32 vcc_lo, exec_lo, s21
	s_cbranch_vccnz .LBB20_244
; %bb.243:
	v_cmp_eq_u32_e32 vcc_lo, 1, v0
	ds_load_b32 v109, v111
	v_cndmask_b32_e32 v108, v34, v35, vcc_lo
	v_cmp_eq_u32_e32 vcc_lo, 2, v0
	s_delay_alu instid0(VALU_DEP_2) | instskip(SKIP_1) | instid1(VALU_DEP_2)
	v_cndmask_b32_e32 v108, v108, v36, vcc_lo
	v_cmp_eq_u32_e32 vcc_lo, 3, v0
	v_cndmask_b32_e32 v108, v108, v37, vcc_lo
	v_cmp_eq_u32_e32 vcc_lo, 4, v0
	s_delay_alu instid0(VALU_DEP_2) | instskip(SKIP_1) | instid1(VALU_DEP_2)
	v_cndmask_b32_e32 v108, v108, v38, vcc_lo
	v_cmp_eq_u32_e32 vcc_lo, 5, v0
	;; [unrolled: 5-line block ×9, first 2 shown]
	v_cndmask_b32_e32 v108, v108, v53, vcc_lo
	v_cmp_eq_u32_e32 vcc_lo, 20, v0
	s_delay_alu instid0(VALU_DEP_2) | instskip(SKIP_1) | instid1(VALU_DEP_1)
	v_cndmask_b32_e32 v108, v108, v54, vcc_lo
	s_wait_dscnt 0x0
	v_mul_f32_e32 v112, v108, v109
	s_cbranch_execz .LBB20_245
	s_branch .LBB20_246
.LBB20_244:
                                        ; implicit-def: $vgpr112
.LBB20_245:
	ds_load_b32 v112, v111
.LBB20_246:
	s_and_saveexec_b32 s5, s0
	s_cbranch_execz .LBB20_256
; %bb.247:
	v_dual_add_nc_u32 v108, -5, v0 :: v_dual_add_nc_u32 v109, -4, v0
	s_delay_alu instid0(VALU_DEP_1)
	v_cmp_lt_u32_e32 vcc_lo, 6, v108
	v_mov_b32_e32 v108, 4
	s_and_saveexec_b32 s0, vcc_lo
	s_cbranch_execz .LBB20_251
; %bb.248:
	v_and_b32_e32 v108, -8, v109
	s_mov_b32 s6, 0
	s_mov_b64 s[2:3], 5
	s_movk_i32 s7, 0x70
	s_delay_alu instid0(VALU_DEP_1)
	v_sub_nc_u32_e32 v110, 0, v108
.LBB20_249:                             ; =>This Inner Loop Header: Depth=1
	s_add_co_i32 m0, s2, -1
	v_movrels_b32_e32 v113, v34
	v_mov_b32_e32 v108, s7
	s_mov_b32 m0, s2
	s_add_co_i32 s7, s7, 32
	v_movrels_b32_e32 v122, v34
	s_add_co_i32 m0, s2, 1
	ds_load_b128 v[114:117], v108
	ds_load_b128 v[118:121], v108 offset:16
	v_movrels_b32_e32 v108, v34
	s_add_co_i32 m0, s2, 2
	s_wait_dscnt 0x1
	v_fmac_f32_e32 v112, v113, v114
	v_movrels_b32_e32 v113, v34
	s_add_co_i32 m0, s2, 3
	s_delay_alu instid0(VALU_DEP_2) | instskip(NEXT) | instid1(VALU_DEP_1)
	v_fmac_f32_e32 v112, v122, v115
	v_fmac_f32_e32 v112, v108, v116
	v_movrels_b32_e32 v108, v34
	s_add_co_i32 m0, s2, 4
	s_delay_alu instid0(VALU_DEP_2) | instskip(SKIP_3) | instid1(VALU_DEP_2)
	v_fmac_f32_e32 v112, v113, v117
	v_movrels_b32_e32 v113, v34
	s_add_co_i32 m0, s2, 5
	s_wait_dscnt 0x0
	v_fmac_f32_e32 v112, v108, v118
	v_movrels_b32_e32 v108, v34
	s_add_co_i32 m0, s2, 6
	s_add_nc_u64 s[2:3], s[2:3], 8
	v_movrels_b32_e32 v114, v34
	v_dual_fmac_f32 v112, v113, v119 :: v_dual_add_nc_u32 v113, s2, v110
	s_add_co_i32 s8, s2, -1
	s_delay_alu instid0(VALU_DEP_1) | instskip(NEXT) | instid1(VALU_DEP_2)
	v_fmac_f32_e32 v112, v108, v120
	v_cmp_eq_u32_e32 vcc_lo, 5, v113
	s_delay_alu instid0(VALU_DEP_2) | instskip(SKIP_1) | instid1(SALU_CYCLE_1)
	v_dual_mov_b32 v108, s8 :: v_dual_fmac_f32 v112, v114, v121
	s_or_b32 s6, vcc_lo, s6
	s_and_not1_b32 exec_lo, exec_lo, s6
	s_cbranch_execnz .LBB20_249
; %bb.250:
	s_or_b32 exec_lo, exec_lo, s6
.LBB20_251:
	s_delay_alu instid0(SALU_CYCLE_1) | instskip(SKIP_3) | instid1(VALU_DEP_1)
	s_or_b32 exec_lo, exec_lo, s0
	v_and_b32_e32 v55, 7, v109
	s_mov_b32 s2, 0
	s_mov_b32 s0, exec_lo
	v_cmpx_ne_u32_e32 0, v55
	s_cbranch_execz .LBB20_255
; %bb.252:
	v_lshl_add_u32 v56, v108, 2, 0x60
	v_mov_b32_e32 v109, 0
.LBB20_253:                             ; =>This Inner Loop Header: Depth=1
	v_cmp_eq_u32_e32 vcc_lo, 1, v108
	ds_load_b32 v58, v56
	v_dual_add_nc_u32 v56, 4, v56 :: v_dual_add_nc_u32 v55, -1, v55
	v_cndmask_b32_e32 v57, v34, v35, vcc_lo
	v_cmp_eq_u32_e32 vcc_lo, 2, v108
	s_delay_alu instid0(VALU_DEP_2) | instskip(SKIP_1) | instid1(VALU_DEP_2)
	v_cndmask_b32_e32 v57, v57, v36, vcc_lo
	v_cmp_eq_u32_e32 vcc_lo, 3, v108
	v_cndmask_b32_e32 v57, v57, v37, vcc_lo
	v_cmp_eq_u32_e32 vcc_lo, 4, v108
	s_delay_alu instid0(VALU_DEP_2) | instskip(SKIP_1) | instid1(VALU_DEP_2)
	v_cndmask_b32_e32 v57, v57, v38, vcc_lo
	v_cmp_eq_u32_e32 vcc_lo, 5, v108
	;; [unrolled: 5-line block ×9, first 2 shown]
	v_cndmask_b32_e32 v57, v57, v53, vcc_lo
	v_cmp_eq_u32_e32 vcc_lo, 20, v108
	v_add_nc_u64_e32 v[108:109], 1, v[108:109]
	s_delay_alu instid0(VALU_DEP_3) | instskip(SKIP_2) | instid1(VALU_DEP_2)
	v_cndmask_b32_e32 v57, v57, v54, vcc_lo
	v_cmp_eq_u32_e32 vcc_lo, 0, v55
	s_wait_dscnt 0x0
	v_fmac_f32_e32 v112, v57, v58
	s_or_b32 s2, vcc_lo, s2
	s_delay_alu instid0(SALU_CYCLE_1)
	s_and_not1_b32 exec_lo, exec_lo, s2
	s_cbranch_execnz .LBB20_253
; %bb.254:
	s_or_b32 exec_lo, exec_lo, s2
.LBB20_255:
	s_delay_alu instid0(SALU_CYCLE_1)
	s_or_b32 exec_lo, exec_lo, s0
.LBB20_256:
	s_delay_alu instid0(SALU_CYCLE_1)
	s_or_b32 exec_lo, exec_lo, s5
	v_mov_b32_e32 v37, 0
	ds_load_b32 v37, v37 offset:12
	s_wait_dscnt 0x0
	v_mul_f32_e32 v37, v112, v37
.LBB20_257:
	s_or_b32 exec_lo, exec_lo, s4
	v_cmp_lt_u32_e64 s0, 2, v0
	ds_store_b32 v111, v36
	s_wait_dscnt 0x0
	s_barrier_signal -1
	s_barrier_wait -1
	s_and_saveexec_b32 s4, s0
	s_cbranch_execz .LBB20_273
; %bb.258:
	s_and_not1_b32 vcc_lo, exec_lo, s21
	s_cbranch_vccnz .LBB20_260
; %bb.259:
	v_cmp_eq_u32_e32 vcc_lo, 1, v0
	ds_load_b32 v109, v111
	v_cndmask_b32_e32 v108, v34, v35, vcc_lo
	v_cmp_eq_u32_e32 vcc_lo, 2, v0
	s_delay_alu instid0(VALU_DEP_2) | instskip(SKIP_1) | instid1(VALU_DEP_2)
	v_cndmask_b32_e32 v108, v108, v36, vcc_lo
	v_cmp_eq_u32_e32 vcc_lo, 3, v0
	v_cndmask_b32_e32 v108, v108, v37, vcc_lo
	v_cmp_eq_u32_e32 vcc_lo, 4, v0
	s_delay_alu instid0(VALU_DEP_2) | instskip(SKIP_1) | instid1(VALU_DEP_2)
	v_cndmask_b32_e32 v108, v108, v38, vcc_lo
	v_cmp_eq_u32_e32 vcc_lo, 5, v0
	;; [unrolled: 5-line block ×9, first 2 shown]
	v_cndmask_b32_e32 v108, v108, v53, vcc_lo
	v_cmp_eq_u32_e32 vcc_lo, 20, v0
	s_delay_alu instid0(VALU_DEP_2) | instskip(SKIP_1) | instid1(VALU_DEP_1)
	v_cndmask_b32_e32 v108, v108, v54, vcc_lo
	s_wait_dscnt 0x0
	v_mul_f32_e32 v112, v108, v109
	s_cbranch_execz .LBB20_261
	s_branch .LBB20_262
.LBB20_260:
                                        ; implicit-def: $vgpr112
.LBB20_261:
	ds_load_b32 v112, v111
.LBB20_262:
	s_and_saveexec_b32 s5, s1
	s_cbranch_execz .LBB20_272
; %bb.263:
	v_dual_add_nc_u32 v108, -4, v0 :: v_dual_add_nc_u32 v109, -3, v0
	s_delay_alu instid0(VALU_DEP_1)
	v_cmp_lt_u32_e32 vcc_lo, 6, v108
	v_mov_b32_e32 v108, 3
	s_and_saveexec_b32 s1, vcc_lo
	s_cbranch_execz .LBB20_267
; %bb.264:
	v_and_b32_e32 v108, -8, v109
	s_mov_b32 s6, 0
	s_mov_b64 s[2:3], 10
	s_movk_i32 s7, 0x6c
	s_delay_alu instid0(VALU_DEP_1)
	v_sub_nc_u32_e32 v110, 0, v108
.LBB20_265:                             ; =>This Inner Loop Header: Depth=1
	s_add_co_i32 m0, s2, -7
	v_movrels_b32_e32 v113, v34
	v_mov_b32_e32 v108, s7
	s_add_co_i32 m0, s2, -6
	s_add_co_i32 s7, s7, 32
	v_movrels_b32_e32 v122, v34
	ds_load_2addr_b32 v[114:115], v108 offset1:1
	ds_load_2addr_b32 v[116:117], v108 offset0:2 offset1:3
	s_add_co_i32 m0, s2, -5
	s_wait_dscnt 0x1
	v_fmac_f32_e32 v112, v113, v114
	ds_load_2addr_b32 v[118:119], v108 offset0:4 offset1:5
	ds_load_2addr_b32 v[120:121], v108 offset0:6 offset1:7
	v_movrels_b32_e32 v108, v34
	s_add_co_i32 m0, s2, -4
	v_fmac_f32_e32 v112, v122, v115
	v_movrels_b32_e32 v113, v34
	s_add_co_i32 m0, s2, -3
	s_wait_dscnt 0x2
	s_delay_alu instid0(VALU_DEP_2) | instskip(SKIP_2) | instid1(VALU_DEP_2)
	v_fmac_f32_e32 v112, v108, v116
	v_movrels_b32_e32 v108, v34
	s_add_co_i32 m0, s2, -2
	v_fmac_f32_e32 v112, v113, v117
	v_movrels_b32_e32 v113, v34
	s_add_co_i32 m0, s2, -1
	s_wait_dscnt 0x1
	s_delay_alu instid0(VALU_DEP_2)
	v_fmac_f32_e32 v112, v108, v118
	v_movrels_b32_e32 v108, v34
	s_mov_b32 m0, s2
	s_add_nc_u64 s[2:3], s[2:3], 8
	v_movrels_b32_e32 v114, v34
	v_dual_fmac_f32 v112, v113, v119 :: v_dual_add_nc_u32 v113, s2, v110
	s_add_co_i32 s8, s2, -7
	s_wait_dscnt 0x0
	s_delay_alu instid0(VALU_DEP_1) | instskip(NEXT) | instid1(VALU_DEP_2)
	v_fmac_f32_e32 v112, v108, v120
	v_cmp_eq_u32_e32 vcc_lo, 10, v113
	s_delay_alu instid0(VALU_DEP_2) | instskip(SKIP_1) | instid1(SALU_CYCLE_1)
	v_dual_mov_b32 v108, s8 :: v_dual_fmac_f32 v112, v114, v121
	s_or_b32 s6, vcc_lo, s6
	s_and_not1_b32 exec_lo, exec_lo, s6
	s_cbranch_execnz .LBB20_265
; %bb.266:
	s_or_b32 exec_lo, exec_lo, s6
.LBB20_267:
	s_delay_alu instid0(SALU_CYCLE_1) | instskip(SKIP_3) | instid1(VALU_DEP_1)
	s_or_b32 exec_lo, exec_lo, s1
	v_and_b32_e32 v55, 7, v109
	s_mov_b32 s2, 0
	s_mov_b32 s1, exec_lo
	v_cmpx_ne_u32_e32 0, v55
	s_cbranch_execz .LBB20_271
; %bb.268:
	v_lshl_add_u32 v56, v108, 2, 0x60
	v_mov_b32_e32 v109, 0
.LBB20_269:                             ; =>This Inner Loop Header: Depth=1
	v_cmp_eq_u32_e32 vcc_lo, 1, v108
	ds_load_b32 v58, v56
	v_dual_add_nc_u32 v56, 4, v56 :: v_dual_add_nc_u32 v55, -1, v55
	v_cndmask_b32_e32 v57, v34, v35, vcc_lo
	v_cmp_eq_u32_e32 vcc_lo, 2, v108
	s_delay_alu instid0(VALU_DEP_2) | instskip(SKIP_1) | instid1(VALU_DEP_2)
	v_cndmask_b32_e32 v57, v57, v36, vcc_lo
	v_cmp_eq_u32_e32 vcc_lo, 3, v108
	v_cndmask_b32_e32 v57, v57, v37, vcc_lo
	v_cmp_eq_u32_e32 vcc_lo, 4, v108
	s_delay_alu instid0(VALU_DEP_2) | instskip(SKIP_1) | instid1(VALU_DEP_2)
	v_cndmask_b32_e32 v57, v57, v38, vcc_lo
	v_cmp_eq_u32_e32 vcc_lo, 5, v108
	v_cndmask_b32_e32 v57, v57, v39, vcc_lo
	v_cmp_eq_u32_e32 vcc_lo, 6, v108
	s_delay_alu instid0(VALU_DEP_2) | instskip(SKIP_1) | instid1(VALU_DEP_2)
	v_cndmask_b32_e32 v57, v57, v40, vcc_lo
	v_cmp_eq_u32_e32 vcc_lo, 7, v108
	v_cndmask_b32_e32 v57, v57, v41, vcc_lo
	v_cmp_eq_u32_e32 vcc_lo, 8, v108
	s_delay_alu instid0(VALU_DEP_2) | instskip(SKIP_1) | instid1(VALU_DEP_2)
	v_cndmask_b32_e32 v57, v57, v42, vcc_lo
	v_cmp_eq_u32_e32 vcc_lo, 9, v108
	v_cndmask_b32_e32 v57, v57, v43, vcc_lo
	v_cmp_eq_u32_e32 vcc_lo, 10, v108
	s_delay_alu instid0(VALU_DEP_2) | instskip(SKIP_1) | instid1(VALU_DEP_2)
	v_cndmask_b32_e32 v57, v57, v44, vcc_lo
	v_cmp_eq_u32_e32 vcc_lo, 11, v108
	v_cndmask_b32_e32 v57, v57, v45, vcc_lo
	v_cmp_eq_u32_e32 vcc_lo, 12, v108
	s_delay_alu instid0(VALU_DEP_2) | instskip(SKIP_1) | instid1(VALU_DEP_2)
	v_cndmask_b32_e32 v57, v57, v46, vcc_lo
	v_cmp_eq_u32_e32 vcc_lo, 13, v108
	v_cndmask_b32_e32 v57, v57, v47, vcc_lo
	v_cmp_eq_u32_e32 vcc_lo, 14, v108
	s_delay_alu instid0(VALU_DEP_2) | instskip(SKIP_1) | instid1(VALU_DEP_2)
	v_cndmask_b32_e32 v57, v57, v48, vcc_lo
	v_cmp_eq_u32_e32 vcc_lo, 15, v108
	v_cndmask_b32_e32 v57, v57, v49, vcc_lo
	v_cmp_eq_u32_e32 vcc_lo, 16, v108
	s_delay_alu instid0(VALU_DEP_2) | instskip(SKIP_1) | instid1(VALU_DEP_2)
	v_cndmask_b32_e32 v57, v57, v50, vcc_lo
	v_cmp_eq_u32_e32 vcc_lo, 17, v108
	v_cndmask_b32_e32 v57, v57, v51, vcc_lo
	v_cmp_eq_u32_e32 vcc_lo, 18, v108
	s_delay_alu instid0(VALU_DEP_2) | instskip(SKIP_1) | instid1(VALU_DEP_2)
	v_cndmask_b32_e32 v57, v57, v52, vcc_lo
	v_cmp_eq_u32_e32 vcc_lo, 19, v108
	v_cndmask_b32_e32 v57, v57, v53, vcc_lo
	v_cmp_eq_u32_e32 vcc_lo, 20, v108
	v_add_nc_u64_e32 v[108:109], 1, v[108:109]
	s_delay_alu instid0(VALU_DEP_3) | instskip(SKIP_2) | instid1(VALU_DEP_2)
	v_cndmask_b32_e32 v57, v57, v54, vcc_lo
	v_cmp_eq_u32_e32 vcc_lo, 0, v55
	s_wait_dscnt 0x0
	v_fmac_f32_e32 v112, v57, v58
	s_or_b32 s2, vcc_lo, s2
	s_delay_alu instid0(SALU_CYCLE_1)
	s_and_not1_b32 exec_lo, exec_lo, s2
	s_cbranch_execnz .LBB20_269
; %bb.270:
	s_or_b32 exec_lo, exec_lo, s2
.LBB20_271:
	s_delay_alu instid0(SALU_CYCLE_1)
	s_or_b32 exec_lo, exec_lo, s1
.LBB20_272:
	s_delay_alu instid0(SALU_CYCLE_1)
	s_or_b32 exec_lo, exec_lo, s5
	v_mov_b32_e32 v36, 0
	ds_load_b32 v36, v36 offset:8
	s_wait_dscnt 0x0
	v_mul_f32_e32 v36, v112, v36
.LBB20_273:
	s_or_b32 exec_lo, exec_lo, s4
	v_cmp_lt_u32_e64 s1, 1, v0
	ds_store_b32 v111, v35
	s_wait_dscnt 0x0
	s_barrier_signal -1
	s_barrier_wait -1
	s_and_saveexec_b32 s4, s1
	s_cbranch_execz .LBB20_289
; %bb.274:
	s_and_not1_b32 vcc_lo, exec_lo, s21
	s_cbranch_vccnz .LBB20_276
; %bb.275:
	v_cmp_eq_u32_e32 vcc_lo, 1, v0
	ds_load_b32 v109, v111
	v_cndmask_b32_e32 v108, v34, v35, vcc_lo
	v_cmp_eq_u32_e32 vcc_lo, 2, v0
	s_delay_alu instid0(VALU_DEP_2) | instskip(SKIP_1) | instid1(VALU_DEP_2)
	v_cndmask_b32_e32 v108, v108, v36, vcc_lo
	v_cmp_eq_u32_e32 vcc_lo, 3, v0
	v_cndmask_b32_e32 v108, v108, v37, vcc_lo
	v_cmp_eq_u32_e32 vcc_lo, 4, v0
	s_delay_alu instid0(VALU_DEP_2) | instskip(SKIP_1) | instid1(VALU_DEP_2)
	v_cndmask_b32_e32 v108, v108, v38, vcc_lo
	v_cmp_eq_u32_e32 vcc_lo, 5, v0
	;; [unrolled: 5-line block ×9, first 2 shown]
	v_cndmask_b32_e32 v108, v108, v53, vcc_lo
	v_cmp_eq_u32_e32 vcc_lo, 20, v0
	s_delay_alu instid0(VALU_DEP_2) | instskip(SKIP_1) | instid1(VALU_DEP_1)
	v_cndmask_b32_e32 v108, v108, v54, vcc_lo
	s_wait_dscnt 0x0
	v_mul_f32_e32 v112, v108, v109
	s_cbranch_execz .LBB20_277
	s_branch .LBB20_278
.LBB20_276:
                                        ; implicit-def: $vgpr112
.LBB20_277:
	ds_load_b32 v112, v111
.LBB20_278:
	s_and_saveexec_b32 s5, s0
	s_cbranch_execz .LBB20_288
; %bb.279:
	v_dual_add_nc_u32 v108, -3, v0 :: v_dual_add_nc_u32 v109, -2, v0
	s_delay_alu instid0(VALU_DEP_1)
	v_cmp_lt_u32_e32 vcc_lo, 6, v108
	v_mov_b32_e32 v108, 2
	s_and_saveexec_b32 s0, vcc_lo
	s_cbranch_execz .LBB20_283
; %bb.280:
	v_and_b32_e32 v108, -8, v109
	s_mov_b32 s6, 0
	s_mov_b64 s[2:3], 9
	s_movk_i32 s7, 0x68
	s_delay_alu instid0(VALU_DEP_1)
	v_sub_nc_u32_e32 v110, 0, v108
.LBB20_281:                             ; =>This Inner Loop Header: Depth=1
	s_add_co_i32 m0, s2, -7
	v_movrels_b32_e32 v113, v34
	v_mov_b32_e32 v108, s7
	s_add_co_i32 m0, s2, -6
	s_add_co_i32 s7, s7, 32
	v_movrels_b32_e32 v122, v34
	s_add_co_i32 m0, s2, -5
	ds_load_2addr_b64 v[114:117], v108 offset1:1
	ds_load_2addr_b64 v[118:121], v108 offset0:2 offset1:3
	v_movrels_b32_e32 v108, v34
	s_add_co_i32 m0, s2, -4
	s_wait_dscnt 0x1
	v_fmac_f32_e32 v112, v113, v114
	v_movrels_b32_e32 v113, v34
	s_add_co_i32 m0, s2, -3
	s_delay_alu instid0(VALU_DEP_2) | instskip(NEXT) | instid1(VALU_DEP_1)
	v_fmac_f32_e32 v112, v122, v115
	v_fmac_f32_e32 v112, v108, v116
	v_movrels_b32_e32 v108, v34
	s_add_co_i32 m0, s2, -2
	s_delay_alu instid0(VALU_DEP_2) | instskip(SKIP_3) | instid1(VALU_DEP_2)
	v_fmac_f32_e32 v112, v113, v117
	v_movrels_b32_e32 v113, v34
	s_add_co_i32 m0, s2, -1
	s_wait_dscnt 0x0
	v_fmac_f32_e32 v112, v108, v118
	v_movrels_b32_e32 v108, v34
	s_mov_b32 m0, s2
	s_add_nc_u64 s[2:3], s[2:3], 8
	v_movrels_b32_e32 v114, v34
	v_dual_fmac_f32 v112, v113, v119 :: v_dual_add_nc_u32 v113, s2, v110
	s_add_co_i32 s8, s2, -7
	s_delay_alu instid0(VALU_DEP_1) | instskip(NEXT) | instid1(VALU_DEP_2)
	v_fmac_f32_e32 v112, v108, v120
	v_cmp_eq_u32_e32 vcc_lo, 9, v113
	s_delay_alu instid0(VALU_DEP_2) | instskip(SKIP_1) | instid1(SALU_CYCLE_1)
	v_dual_mov_b32 v108, s8 :: v_dual_fmac_f32 v112, v114, v121
	s_or_b32 s6, vcc_lo, s6
	s_and_not1_b32 exec_lo, exec_lo, s6
	s_cbranch_execnz .LBB20_281
; %bb.282:
	s_or_b32 exec_lo, exec_lo, s6
.LBB20_283:
	s_delay_alu instid0(SALU_CYCLE_1) | instskip(SKIP_3) | instid1(VALU_DEP_1)
	s_or_b32 exec_lo, exec_lo, s0
	v_and_b32_e32 v55, 7, v109
	s_mov_b32 s2, 0
	s_mov_b32 s0, exec_lo
	v_cmpx_ne_u32_e32 0, v55
	s_cbranch_execz .LBB20_287
; %bb.284:
	v_lshl_add_u32 v56, v108, 2, 0x60
	v_mov_b32_e32 v109, 0
.LBB20_285:                             ; =>This Inner Loop Header: Depth=1
	v_cmp_eq_u32_e32 vcc_lo, 1, v108
	ds_load_b32 v58, v56
	v_dual_add_nc_u32 v56, 4, v56 :: v_dual_add_nc_u32 v55, -1, v55
	v_cndmask_b32_e32 v57, v34, v35, vcc_lo
	v_cmp_eq_u32_e32 vcc_lo, 2, v108
	s_delay_alu instid0(VALU_DEP_2) | instskip(SKIP_1) | instid1(VALU_DEP_2)
	v_cndmask_b32_e32 v57, v57, v36, vcc_lo
	v_cmp_eq_u32_e32 vcc_lo, 3, v108
	v_cndmask_b32_e32 v57, v57, v37, vcc_lo
	v_cmp_eq_u32_e32 vcc_lo, 4, v108
	s_delay_alu instid0(VALU_DEP_2) | instskip(SKIP_1) | instid1(VALU_DEP_2)
	v_cndmask_b32_e32 v57, v57, v38, vcc_lo
	v_cmp_eq_u32_e32 vcc_lo, 5, v108
	v_cndmask_b32_e32 v57, v57, v39, vcc_lo
	v_cmp_eq_u32_e32 vcc_lo, 6, v108
	s_delay_alu instid0(VALU_DEP_2) | instskip(SKIP_1) | instid1(VALU_DEP_2)
	v_cndmask_b32_e32 v57, v57, v40, vcc_lo
	v_cmp_eq_u32_e32 vcc_lo, 7, v108
	v_cndmask_b32_e32 v57, v57, v41, vcc_lo
	v_cmp_eq_u32_e32 vcc_lo, 8, v108
	s_delay_alu instid0(VALU_DEP_2) | instskip(SKIP_1) | instid1(VALU_DEP_2)
	v_cndmask_b32_e32 v57, v57, v42, vcc_lo
	v_cmp_eq_u32_e32 vcc_lo, 9, v108
	v_cndmask_b32_e32 v57, v57, v43, vcc_lo
	v_cmp_eq_u32_e32 vcc_lo, 10, v108
	s_delay_alu instid0(VALU_DEP_2) | instskip(SKIP_1) | instid1(VALU_DEP_2)
	v_cndmask_b32_e32 v57, v57, v44, vcc_lo
	v_cmp_eq_u32_e32 vcc_lo, 11, v108
	v_cndmask_b32_e32 v57, v57, v45, vcc_lo
	v_cmp_eq_u32_e32 vcc_lo, 12, v108
	s_delay_alu instid0(VALU_DEP_2) | instskip(SKIP_1) | instid1(VALU_DEP_2)
	v_cndmask_b32_e32 v57, v57, v46, vcc_lo
	v_cmp_eq_u32_e32 vcc_lo, 13, v108
	v_cndmask_b32_e32 v57, v57, v47, vcc_lo
	v_cmp_eq_u32_e32 vcc_lo, 14, v108
	s_delay_alu instid0(VALU_DEP_2) | instskip(SKIP_1) | instid1(VALU_DEP_2)
	v_cndmask_b32_e32 v57, v57, v48, vcc_lo
	v_cmp_eq_u32_e32 vcc_lo, 15, v108
	v_cndmask_b32_e32 v57, v57, v49, vcc_lo
	v_cmp_eq_u32_e32 vcc_lo, 16, v108
	s_delay_alu instid0(VALU_DEP_2) | instskip(SKIP_1) | instid1(VALU_DEP_2)
	v_cndmask_b32_e32 v57, v57, v50, vcc_lo
	v_cmp_eq_u32_e32 vcc_lo, 17, v108
	v_cndmask_b32_e32 v57, v57, v51, vcc_lo
	v_cmp_eq_u32_e32 vcc_lo, 18, v108
	s_delay_alu instid0(VALU_DEP_2) | instskip(SKIP_1) | instid1(VALU_DEP_2)
	v_cndmask_b32_e32 v57, v57, v52, vcc_lo
	v_cmp_eq_u32_e32 vcc_lo, 19, v108
	v_cndmask_b32_e32 v57, v57, v53, vcc_lo
	v_cmp_eq_u32_e32 vcc_lo, 20, v108
	v_add_nc_u64_e32 v[108:109], 1, v[108:109]
	s_delay_alu instid0(VALU_DEP_3) | instskip(SKIP_2) | instid1(VALU_DEP_2)
	v_cndmask_b32_e32 v57, v57, v54, vcc_lo
	v_cmp_eq_u32_e32 vcc_lo, 0, v55
	s_wait_dscnt 0x0
	v_fmac_f32_e32 v112, v57, v58
	s_or_b32 s2, vcc_lo, s2
	s_delay_alu instid0(SALU_CYCLE_1)
	s_and_not1_b32 exec_lo, exec_lo, s2
	s_cbranch_execnz .LBB20_285
; %bb.286:
	s_or_b32 exec_lo, exec_lo, s2
.LBB20_287:
	s_delay_alu instid0(SALU_CYCLE_1)
	s_or_b32 exec_lo, exec_lo, s0
.LBB20_288:
	s_delay_alu instid0(SALU_CYCLE_1)
	s_or_b32 exec_lo, exec_lo, s5
	v_mov_b32_e32 v35, 0
	ds_load_b32 v35, v35 offset:4
	s_wait_dscnt 0x0
	v_mul_f32_e32 v35, v112, v35
.LBB20_289:
	s_or_b32 exec_lo, exec_lo, s4
	s_mov_b32 s2, 0
	s_mov_b32 s3, exec_lo
	ds_store_b32 v111, v34
	s_wait_dscnt 0x0
	s_barrier_signal -1
	s_barrier_wait -1
	v_cmpx_ne_u32_e32 0, v0
	s_cbranch_execz .LBB20_305
; %bb.290:
	s_and_not1_b32 vcc_lo, exec_lo, s21
	s_cbranch_vccnz .LBB20_292
; %bb.291:
	v_cmp_eq_u32_e32 vcc_lo, 1, v0
	ds_load_b32 v109, v111
	v_cndmask_b32_e32 v108, v34, v35, vcc_lo
	v_cmp_eq_u32_e32 vcc_lo, 2, v0
	s_delay_alu instid0(VALU_DEP_2) | instskip(SKIP_1) | instid1(VALU_DEP_2)
	v_cndmask_b32_e32 v108, v108, v36, vcc_lo
	v_cmp_eq_u32_e32 vcc_lo, 3, v0
	v_cndmask_b32_e32 v108, v108, v37, vcc_lo
	v_cmp_eq_u32_e32 vcc_lo, 4, v0
	s_delay_alu instid0(VALU_DEP_2) | instskip(SKIP_1) | instid1(VALU_DEP_2)
	v_cndmask_b32_e32 v108, v108, v38, vcc_lo
	v_cmp_eq_u32_e32 vcc_lo, 5, v0
	;; [unrolled: 5-line block ×9, first 2 shown]
	v_cndmask_b32_e32 v108, v108, v53, vcc_lo
	v_cmp_eq_u32_e32 vcc_lo, 20, v0
	s_delay_alu instid0(VALU_DEP_2) | instskip(SKIP_1) | instid1(VALU_DEP_1)
	v_cndmask_b32_e32 v108, v108, v54, vcc_lo
	s_wait_dscnt 0x0
	v_mul_f32_e32 v112, v108, v109
	s_cbranch_execz .LBB20_293
	s_branch .LBB20_294
.LBB20_292:
                                        ; implicit-def: $vgpr112
.LBB20_293:
	ds_load_b32 v112, v111
.LBB20_294:
	s_and_saveexec_b32 s4, s1
	s_cbranch_execz .LBB20_304
; %bb.295:
	v_dual_add_nc_u32 v108, -2, v0 :: v_dual_add_nc_u32 v109, -1, v0
	s_delay_alu instid0(VALU_DEP_1)
	v_cmp_lt_u32_e32 vcc_lo, 6, v108
	v_mov_b32_e32 v108, 1
	s_and_saveexec_b32 s5, vcc_lo
	s_cbranch_execz .LBB20_299
; %bb.296:
	v_and_b32_e32 v108, -8, v109
	s_mov_b32 s6, 0
	s_mov_b64 s[0:1], 8
	s_movk_i32 s7, 0x64
	s_delay_alu instid0(VALU_DEP_1)
	v_sub_nc_u32_e32 v110, 0, v108
.LBB20_297:                             ; =>This Inner Loop Header: Depth=1
	s_add_co_i32 m0, s0, -7
	v_movrels_b32_e32 v113, v34
	v_mov_b32_e32 v108, s7
	s_add_co_i32 m0, s0, -6
	s_add_co_i32 s7, s7, 32
	v_movrels_b32_e32 v122, v34
	ds_load_2addr_b32 v[114:115], v108 offset1:1
	ds_load_2addr_b32 v[116:117], v108 offset0:2 offset1:3
	s_add_co_i32 m0, s0, -5
	s_wait_dscnt 0x1
	v_fmac_f32_e32 v112, v113, v114
	ds_load_2addr_b32 v[118:119], v108 offset0:4 offset1:5
	ds_load_2addr_b32 v[120:121], v108 offset0:6 offset1:7
	v_movrels_b32_e32 v108, v34
	s_add_co_i32 m0, s0, -4
	v_fmac_f32_e32 v112, v122, v115
	v_movrels_b32_e32 v113, v34
	s_add_co_i32 m0, s0, -3
	s_wait_dscnt 0x2
	s_delay_alu instid0(VALU_DEP_2) | instskip(SKIP_2) | instid1(VALU_DEP_2)
	v_fmac_f32_e32 v112, v108, v116
	v_movrels_b32_e32 v108, v34
	s_add_co_i32 m0, s0, -2
	v_fmac_f32_e32 v112, v113, v117
	v_movrels_b32_e32 v113, v34
	s_add_co_i32 m0, s0, -1
	s_wait_dscnt 0x1
	s_delay_alu instid0(VALU_DEP_2)
	v_fmac_f32_e32 v112, v108, v118
	v_movrels_b32_e32 v108, v34
	s_mov_b32 m0, s0
	s_add_nc_u64 s[0:1], s[0:1], 8
	v_movrels_b32_e32 v114, v34
	v_dual_fmac_f32 v112, v113, v119 :: v_dual_add_nc_u32 v113, s0, v110
	s_add_co_i32 s8, s0, -7
	s_wait_dscnt 0x0
	s_delay_alu instid0(VALU_DEP_1) | instskip(NEXT) | instid1(VALU_DEP_2)
	v_fmac_f32_e32 v112, v108, v120
	v_cmp_eq_u32_e32 vcc_lo, 8, v113
	s_delay_alu instid0(VALU_DEP_2) | instskip(SKIP_1) | instid1(SALU_CYCLE_1)
	v_dual_mov_b32 v108, s8 :: v_dual_fmac_f32 v112, v114, v121
	s_or_b32 s6, vcc_lo, s6
	s_and_not1_b32 exec_lo, exec_lo, s6
	s_cbranch_execnz .LBB20_297
; %bb.298:
	s_or_b32 exec_lo, exec_lo, s6
.LBB20_299:
	s_delay_alu instid0(SALU_CYCLE_1) | instskip(SKIP_3) | instid1(VALU_DEP_1)
	s_or_b32 exec_lo, exec_lo, s5
	v_and_b32_e32 v55, 7, v109
	s_mov_b32 s1, 0
	s_mov_b32 s0, exec_lo
	v_cmpx_ne_u32_e32 0, v55
	s_cbranch_execz .LBB20_303
; %bb.300:
	v_lshl_add_u32 v56, v108, 2, 0x60
	v_mov_b32_e32 v109, 0
.LBB20_301:                             ; =>This Inner Loop Header: Depth=1
	v_cmp_eq_u32_e32 vcc_lo, 1, v108
	ds_load_b32 v58, v56
	v_dual_add_nc_u32 v56, 4, v56 :: v_dual_add_nc_u32 v55, -1, v55
	v_cndmask_b32_e32 v57, v34, v35, vcc_lo
	v_cmp_eq_u32_e32 vcc_lo, 2, v108
	s_delay_alu instid0(VALU_DEP_2) | instskip(SKIP_1) | instid1(VALU_DEP_2)
	v_cndmask_b32_e32 v57, v57, v36, vcc_lo
	v_cmp_eq_u32_e32 vcc_lo, 3, v108
	v_cndmask_b32_e32 v57, v57, v37, vcc_lo
	v_cmp_eq_u32_e32 vcc_lo, 4, v108
	s_delay_alu instid0(VALU_DEP_2) | instskip(SKIP_1) | instid1(VALU_DEP_2)
	v_cndmask_b32_e32 v57, v57, v38, vcc_lo
	v_cmp_eq_u32_e32 vcc_lo, 5, v108
	;; [unrolled: 5-line block ×9, first 2 shown]
	v_cndmask_b32_e32 v57, v57, v53, vcc_lo
	v_cmp_eq_u32_e32 vcc_lo, 20, v108
	v_add_nc_u64_e32 v[108:109], 1, v[108:109]
	s_delay_alu instid0(VALU_DEP_3) | instskip(SKIP_2) | instid1(VALU_DEP_2)
	v_cndmask_b32_e32 v57, v57, v54, vcc_lo
	v_cmp_eq_u32_e32 vcc_lo, 0, v55
	s_wait_dscnt 0x0
	v_fmac_f32_e32 v112, v57, v58
	s_or_b32 s1, vcc_lo, s1
	s_delay_alu instid0(SALU_CYCLE_1)
	s_and_not1_b32 exec_lo, exec_lo, s1
	s_cbranch_execnz .LBB20_301
; %bb.302:
	s_or_b32 exec_lo, exec_lo, s1
.LBB20_303:
	s_delay_alu instid0(SALU_CYCLE_1)
	s_or_b32 exec_lo, exec_lo, s0
.LBB20_304:
	s_delay_alu instid0(SALU_CYCLE_1)
	s_or_b32 exec_lo, exec_lo, s4
	v_mov_b32_e32 v34, 0
	ds_load_b32 v34, v34
	s_wait_dscnt 0x0
	v_mul_f32_e32 v34, v112, v34
.LBB20_305:
	s_or_b32 exec_lo, exec_lo, s3
	s_delay_alu instid0(SALU_CYCLE_1)
	s_and_b32 vcc_lo, exec_lo, s2
	s_cbranch_vccz .LBB20_509
.LBB20_306:
	v_cmp_eq_u32_e64 s0, 0, v0
	s_wait_loadcnt 0x14
	ds_store_b32 v111, v3
	s_wait_loadcnt_dscnt 0x0
	s_barrier_signal -1
	s_barrier_wait -1
	s_and_saveexec_b32 s1, s0
	s_cbranch_execz .LBB20_312
; %bb.307:
	s_and_b32 vcc_lo, exec_lo, s21
	s_cbranch_vccz .LBB20_309
; %bb.308:
	v_cmp_eq_u32_e32 vcc_lo, 1, v0
	ds_load_b32 v23, v111
	v_cndmask_b32_e32 v3, v2, v3, vcc_lo
	v_cmp_eq_u32_e32 vcc_lo, 2, v0
	s_delay_alu instid0(VALU_DEP_2) | instskip(SKIP_1) | instid1(VALU_DEP_2)
	v_cndmask_b32_e32 v3, v3, v4, vcc_lo
	v_cmp_eq_u32_e32 vcc_lo, 3, v0
	v_cndmask_b32_e32 v3, v3, v5, vcc_lo
	v_cmp_eq_u32_e32 vcc_lo, 4, v0
	s_delay_alu instid0(VALU_DEP_2) | instskip(SKIP_1) | instid1(VALU_DEP_2)
	v_cndmask_b32_e32 v3, v3, v6, vcc_lo
	v_cmp_eq_u32_e32 vcc_lo, 5, v0
	v_cndmask_b32_e32 v3, v3, v7, vcc_lo
	v_cmp_eq_u32_e32 vcc_lo, 6, v0
	s_delay_alu instid0(VALU_DEP_2) | instskip(SKIP_1) | instid1(VALU_DEP_2)
	v_cndmask_b32_e32 v3, v3, v8, vcc_lo
	v_cmp_eq_u32_e32 vcc_lo, 7, v0
	v_cndmask_b32_e32 v3, v3, v9, vcc_lo
	v_cmp_eq_u32_e32 vcc_lo, 8, v0
	s_delay_alu instid0(VALU_DEP_2) | instskip(SKIP_1) | instid1(VALU_DEP_2)
	v_cndmask_b32_e32 v3, v3, v10, vcc_lo
	v_cmp_eq_u32_e32 vcc_lo, 9, v0
	v_cndmask_b32_e32 v3, v3, v11, vcc_lo
	v_cmp_eq_u32_e32 vcc_lo, 10, v0
	s_delay_alu instid0(VALU_DEP_2) | instskip(SKIP_1) | instid1(VALU_DEP_2)
	v_cndmask_b32_e32 v3, v3, v12, vcc_lo
	v_cmp_eq_u32_e32 vcc_lo, 11, v0
	v_cndmask_b32_e32 v3, v3, v13, vcc_lo
	v_cmp_eq_u32_e32 vcc_lo, 12, v0
	s_delay_alu instid0(VALU_DEP_2) | instskip(SKIP_1) | instid1(VALU_DEP_2)
	v_cndmask_b32_e32 v3, v3, v14, vcc_lo
	v_cmp_eq_u32_e32 vcc_lo, 13, v0
	v_cndmask_b32_e32 v3, v3, v15, vcc_lo
	v_cmp_eq_u32_e32 vcc_lo, 14, v0
	s_delay_alu instid0(VALU_DEP_2) | instskip(SKIP_1) | instid1(VALU_DEP_2)
	v_cndmask_b32_e32 v3, v3, v16, vcc_lo
	v_cmp_eq_u32_e32 vcc_lo, 15, v0
	v_cndmask_b32_e32 v3, v3, v17, vcc_lo
	v_cmp_eq_u32_e32 vcc_lo, 16, v0
	s_delay_alu instid0(VALU_DEP_2) | instskip(SKIP_1) | instid1(VALU_DEP_2)
	v_cndmask_b32_e32 v3, v3, v18, vcc_lo
	v_cmp_eq_u32_e32 vcc_lo, 17, v0
	v_cndmask_b32_e32 v3, v3, v19, vcc_lo
	v_cmp_eq_u32_e32 vcc_lo, 18, v0
	s_delay_alu instid0(VALU_DEP_2) | instskip(SKIP_1) | instid1(VALU_DEP_2)
	v_cndmask_b32_e32 v3, v3, v20, vcc_lo
	v_cmp_eq_u32_e32 vcc_lo, 19, v0
	v_cndmask_b32_e32 v3, v3, v21, vcc_lo
	v_cmp_eq_u32_e32 vcc_lo, 20, v0
	s_delay_alu instid0(VALU_DEP_2) | instskip(SKIP_1) | instid1(VALU_DEP_1)
	v_cndmask_b32_e32 v3, v3, v22, vcc_lo
	s_wait_dscnt 0x0
	v_mul_f32_e32 v3, v3, v23
	s_cbranch_execz .LBB20_310
	s_branch .LBB20_311
.LBB20_309:
                                        ; implicit-def: $vgpr3
.LBB20_310:
	ds_load_b32 v3, v111
.LBB20_311:
	v_mov_b32_e32 v23, 0
	ds_load_b32 v23, v23 offset:4
	s_wait_dscnt 0x0
	v_mul_f32_e32 v3, v3, v23
.LBB20_312:
	s_or_b32 exec_lo, exec_lo, s1
	v_cndmask_b32_e64 v34, 0, 1, s21
	s_mov_b32 s1, exec_lo
	ds_store_b32 v111, v4
	s_wait_dscnt 0x0
	s_barrier_signal -1
	s_barrier_wait -1
	v_cmpx_gt_u32_e32 2, v0
	s_cbranch_execz .LBB20_318
; %bb.313:
	s_and_not1_b32 vcc_lo, exec_lo, s21
	s_cbranch_vccnz .LBB20_315
; %bb.314:
	v_cmp_eq_u32_e32 vcc_lo, 1, v0
	v_cndmask_b32_e32 v23, v2, v3, vcc_lo
	v_cmp_eq_u32_e32 vcc_lo, 2, v0
	s_delay_alu instid0(VALU_DEP_2) | instskip(SKIP_4) | instid1(VALU_DEP_2)
	v_cndmask_b32_e32 v4, v23, v4, vcc_lo
	v_cmp_eq_u32_e32 vcc_lo, 3, v0
	ds_load_b32 v23, v111
	v_cndmask_b32_e32 v4, v4, v5, vcc_lo
	v_cmp_eq_u32_e32 vcc_lo, 4, v0
	v_cndmask_b32_e32 v4, v4, v6, vcc_lo
	v_cmp_eq_u32_e32 vcc_lo, 5, v0
	s_delay_alu instid0(VALU_DEP_2) | instskip(SKIP_1) | instid1(VALU_DEP_2)
	v_cndmask_b32_e32 v4, v4, v7, vcc_lo
	v_cmp_eq_u32_e32 vcc_lo, 6, v0
	v_cndmask_b32_e32 v4, v4, v8, vcc_lo
	v_cmp_eq_u32_e32 vcc_lo, 7, v0
	s_delay_alu instid0(VALU_DEP_2) | instskip(SKIP_1) | instid1(VALU_DEP_2)
	;; [unrolled: 5-line block ×8, first 2 shown]
	v_cndmask_b32_e32 v4, v4, v21, vcc_lo
	v_cmp_eq_u32_e32 vcc_lo, 20, v0
	v_cndmask_b32_e32 v4, v4, v22, vcc_lo
	s_wait_dscnt 0x0
	s_delay_alu instid0(VALU_DEP_1)
	v_mul_f32_e32 v4, v4, v23
	s_cbranch_execz .LBB20_316
	s_branch .LBB20_317
.LBB20_315:
                                        ; implicit-def: $vgpr4
.LBB20_316:
	ds_load_b32 v4, v111
.LBB20_317:
	v_mov_b32_e32 v23, 0
	ds_load_2addr_b32 v[24:25], v23 offset0:2 offset1:25
	s_wait_dscnt 0x0
	v_fma_f32 v23, v3, v25, v4
	s_delay_alu instid0(VALU_DEP_1) | instskip(NEXT) | instid1(VALU_DEP_1)
	v_cndmask_b32_e64 v4, v4, v23, s0
	v_mul_f32_e32 v4, v4, v24
.LBB20_318:
	s_or_b32 exec_lo, exec_lo, s1
	v_add_nc_u32_e32 v35, 1, v0
	v_cmp_gt_u32_e64 s1, 3, v0
	ds_store_b32 v111, v5
	s_wait_dscnt 0x0
	s_barrier_signal -1
	s_barrier_wait -1
	s_and_saveexec_b32 s2, s1
	s_cbranch_execz .LBB20_326
; %bb.319:
	v_cmp_ne_u32_e32 vcc_lo, 1, v34
	s_cbranch_vccnz .LBB20_321
; %bb.320:
	v_cmp_eq_u32_e32 vcc_lo, 1, v0
	ds_load_b32 v24, v111
	v_cndmask_b32_e32 v23, v2, v3, vcc_lo
	v_cmp_eq_u32_e32 vcc_lo, 2, v0
	s_delay_alu instid0(VALU_DEP_2) | instskip(SKIP_1) | instid1(VALU_DEP_2)
	v_cndmask_b32_e32 v23, v23, v4, vcc_lo
	v_cmp_eq_u32_e32 vcc_lo, 3, v0
	v_cndmask_b32_e32 v23, v23, v5, vcc_lo
	v_cmp_eq_u32_e32 vcc_lo, 4, v0
	s_delay_alu instid0(VALU_DEP_2) | instskip(SKIP_1) | instid1(VALU_DEP_2)
	v_cndmask_b32_e32 v23, v23, v6, vcc_lo
	v_cmp_eq_u32_e32 vcc_lo, 5, v0
	;; [unrolled: 5-line block ×9, first 2 shown]
	v_cndmask_b32_e32 v23, v23, v21, vcc_lo
	v_cmp_eq_u32_e32 vcc_lo, 20, v0
	s_delay_alu instid0(VALU_DEP_2) | instskip(SKIP_1) | instid1(VALU_DEP_1)
	v_cndmask_b32_e32 v23, v23, v22, vcc_lo
	s_wait_dscnt 0x0
	v_mul_f32_e32 v23, v23, v24
	s_cbranch_execz .LBB20_322
	s_branch .LBB20_323
.LBB20_321:
                                        ; implicit-def: $vgpr23
.LBB20_322:
	ds_load_b32 v23, v111
.LBB20_323:
	s_mov_b32 s3, exec_lo
	v_cmpx_ne_u32_e32 2, v0
	s_cbranch_execz .LBB20_325
; %bb.324:
	v_cmp_eq_u32_e32 vcc_lo, 1, v35
	v_dual_mov_b32 v25, 0 :: v_dual_cndmask_b32 v24, v2, v3
	v_cmp_eq_u32_e32 vcc_lo, 2, v35
	ds_load_b32 v25, v25 offset:104
	v_cndmask_b32_e32 v24, v24, v4, vcc_lo
	v_cmp_eq_u32_e32 vcc_lo, 3, v35
	s_delay_alu instid0(VALU_DEP_2) | instskip(SKIP_4) | instid1(VALU_DEP_2)
	v_cndmask_b32_e32 v5, v24, v5, vcc_lo
	v_cmp_eq_u32_e32 vcc_lo, 4, v35
	ds_load_b32 v24, v111 offset:4
	v_cndmask_b32_e32 v5, v5, v6, vcc_lo
	v_cmp_eq_u32_e32 vcc_lo, 5, v35
	v_cndmask_b32_e32 v5, v5, v7, vcc_lo
	v_cmp_eq_u32_e32 vcc_lo, 6, v35
	s_delay_alu instid0(VALU_DEP_2) | instskip(SKIP_1) | instid1(VALU_DEP_2)
	v_cndmask_b32_e32 v5, v5, v8, vcc_lo
	v_cmp_eq_u32_e32 vcc_lo, 7, v35
	v_cndmask_b32_e32 v5, v5, v9, vcc_lo
	v_cmp_eq_u32_e32 vcc_lo, 8, v35
	s_delay_alu instid0(VALU_DEP_2) | instskip(SKIP_1) | instid1(VALU_DEP_2)
	v_cndmask_b32_e32 v5, v5, v10, vcc_lo
	v_cmp_eq_u32_e32 vcc_lo, 9, v35
	v_cndmask_b32_e32 v5, v5, v11, vcc_lo
	v_cmp_eq_u32_e32 vcc_lo, 10, v35
	s_delay_alu instid0(VALU_DEP_2) | instskip(SKIP_1) | instid1(VALU_DEP_2)
	v_cndmask_b32_e32 v5, v5, v12, vcc_lo
	v_cmp_eq_u32_e32 vcc_lo, 11, v35
	v_cndmask_b32_e32 v5, v5, v13, vcc_lo
	v_cmp_eq_u32_e32 vcc_lo, 12, v35
	s_delay_alu instid0(VALU_DEP_2) | instskip(SKIP_1) | instid1(VALU_DEP_2)
	v_cndmask_b32_e32 v5, v5, v14, vcc_lo
	v_cmp_eq_u32_e32 vcc_lo, 13, v35
	v_cndmask_b32_e32 v5, v5, v15, vcc_lo
	v_cmp_eq_u32_e32 vcc_lo, 14, v35
	s_delay_alu instid0(VALU_DEP_2) | instskip(SKIP_1) | instid1(VALU_DEP_2)
	v_cndmask_b32_e32 v5, v5, v16, vcc_lo
	v_cmp_eq_u32_e32 vcc_lo, 15, v35
	v_cndmask_b32_e32 v5, v5, v17, vcc_lo
	v_cmp_eq_u32_e32 vcc_lo, 16, v35
	s_delay_alu instid0(VALU_DEP_2) | instskip(SKIP_1) | instid1(VALU_DEP_2)
	v_cndmask_b32_e32 v5, v5, v18, vcc_lo
	v_cmp_eq_u32_e32 vcc_lo, 17, v35
	v_cndmask_b32_e32 v5, v5, v19, vcc_lo
	v_cmp_eq_u32_e32 vcc_lo, 18, v35
	s_delay_alu instid0(VALU_DEP_2) | instskip(SKIP_1) | instid1(VALU_DEP_2)
	v_cndmask_b32_e32 v5, v5, v20, vcc_lo
	v_cmp_eq_u32_e32 vcc_lo, 19, v35
	v_cndmask_b32_e32 v5, v5, v21, vcc_lo
	v_cmp_eq_u32_e32 vcc_lo, 20, v35
	s_delay_alu instid0(VALU_DEP_2) | instskip(SKIP_1) | instid1(VALU_DEP_1)
	v_cndmask_b32_e32 v5, v5, v22, vcc_lo
	s_wait_dscnt 0x0
	v_fmac_f32_e32 v23, v5, v24
	s_delay_alu instid0(VALU_DEP_1) | instskip(NEXT) | instid1(VALU_DEP_1)
	v_fma_f32 v5, v4, v25, v23
	v_cndmask_b32_e64 v23, v23, v5, s0
.LBB20_325:
	s_or_b32 exec_lo, exec_lo, s3
	v_mov_b32_e32 v5, 0
	ds_load_b32 v5, v5 offset:12
	s_wait_dscnt 0x0
	v_mul_f32_e32 v5, v23, v5
.LBB20_326:
	s_or_b32 exec_lo, exec_lo, s2
	s_delay_alu instid0(SALU_CYCLE_1)
	s_mov_b32 s2, exec_lo
	ds_store_b32 v111, v6
	s_wait_dscnt 0x0
	s_barrier_signal -1
	s_barrier_wait -1
	v_cmpx_gt_u32_e32 4, v0
	s_cbranch_execz .LBB20_336
; %bb.327:
	v_cmp_ne_u32_e32 vcc_lo, 1, v34
	s_cbranch_vccnz .LBB20_329
; %bb.328:
	v_cmp_eq_u32_e32 vcc_lo, 1, v0
	ds_load_b32 v24, v111
	v_cndmask_b32_e32 v23, v2, v3, vcc_lo
	v_cmp_eq_u32_e32 vcc_lo, 2, v0
	s_delay_alu instid0(VALU_DEP_2) | instskip(SKIP_1) | instid1(VALU_DEP_2)
	v_cndmask_b32_e32 v23, v23, v4, vcc_lo
	v_cmp_eq_u32_e32 vcc_lo, 3, v0
	v_cndmask_b32_e32 v23, v23, v5, vcc_lo
	v_cmp_eq_u32_e32 vcc_lo, 4, v0
	s_delay_alu instid0(VALU_DEP_2) | instskip(SKIP_1) | instid1(VALU_DEP_2)
	v_cndmask_b32_e32 v23, v23, v6, vcc_lo
	v_cmp_eq_u32_e32 vcc_lo, 5, v0
	;; [unrolled: 5-line block ×9, first 2 shown]
	v_cndmask_b32_e32 v23, v23, v21, vcc_lo
	v_cmp_eq_u32_e32 vcc_lo, 20, v0
	s_delay_alu instid0(VALU_DEP_2) | instskip(SKIP_1) | instid1(VALU_DEP_1)
	v_cndmask_b32_e32 v23, v23, v22, vcc_lo
	s_wait_dscnt 0x0
	v_mul_f32_e32 v23, v23, v24
	s_cbranch_execz .LBB20_330
	s_branch .LBB20_331
.LBB20_329:
                                        ; implicit-def: $vgpr23
.LBB20_330:
	ds_load_b32 v23, v111
.LBB20_331:
	s_mov_b32 s3, exec_lo
	v_cmpx_ne_u32_e32 3, v0
	s_cbranch_execz .LBB20_335
; %bb.332:
	v_mov_b64_e32 v[24:25], v[0:1]
	v_lshl_add_u32 v26, v0, 2, 0x64
	s_mov_b32 s4, 0
.LBB20_333:                             ; =>This Inner Loop Header: Depth=1
	s_delay_alu instid0(VALU_DEP_2)
	v_add_nc_u64_e32 v[24:25], 1, v[24:25]
	ds_load_b32 v28, v26
	v_add_nc_u32_e32 v26, 4, v26
	v_cmp_eq_u32_e32 vcc_lo, 1, v24
	v_cndmask_b32_e32 v27, v2, v3, vcc_lo
	v_cmp_eq_u32_e32 vcc_lo, 2, v24
	s_delay_alu instid0(VALU_DEP_2) | instskip(SKIP_1) | instid1(VALU_DEP_2)
	v_cndmask_b32_e32 v27, v27, v4, vcc_lo
	v_cmp_eq_u32_e32 vcc_lo, 3, v24
	v_cndmask_b32_e32 v27, v27, v5, vcc_lo
	v_cmp_eq_u32_e32 vcc_lo, 4, v24
	s_delay_alu instid0(VALU_DEP_2) | instskip(SKIP_1) | instid1(VALU_DEP_2)
	v_cndmask_b32_e32 v27, v27, v6, vcc_lo
	v_cmp_eq_u32_e32 vcc_lo, 5, v24
	v_cndmask_b32_e32 v27, v27, v7, vcc_lo
	v_cmp_eq_u32_e32 vcc_lo, 6, v24
	s_delay_alu instid0(VALU_DEP_2) | instskip(SKIP_1) | instid1(VALU_DEP_2)
	v_cndmask_b32_e32 v27, v27, v8, vcc_lo
	v_cmp_eq_u32_e32 vcc_lo, 7, v24
	v_cndmask_b32_e32 v27, v27, v9, vcc_lo
	v_cmp_eq_u32_e32 vcc_lo, 8, v24
	s_delay_alu instid0(VALU_DEP_2) | instskip(SKIP_1) | instid1(VALU_DEP_2)
	v_cndmask_b32_e32 v27, v27, v10, vcc_lo
	v_cmp_eq_u32_e32 vcc_lo, 9, v24
	v_cndmask_b32_e32 v27, v27, v11, vcc_lo
	v_cmp_eq_u32_e32 vcc_lo, 10, v24
	s_delay_alu instid0(VALU_DEP_2) | instskip(SKIP_1) | instid1(VALU_DEP_2)
	v_cndmask_b32_e32 v27, v27, v12, vcc_lo
	v_cmp_eq_u32_e32 vcc_lo, 11, v24
	v_cndmask_b32_e32 v27, v27, v13, vcc_lo
	v_cmp_eq_u32_e32 vcc_lo, 12, v24
	s_delay_alu instid0(VALU_DEP_2) | instskip(SKIP_1) | instid1(VALU_DEP_2)
	v_cndmask_b32_e32 v27, v27, v14, vcc_lo
	v_cmp_eq_u32_e32 vcc_lo, 13, v24
	v_cndmask_b32_e32 v27, v27, v15, vcc_lo
	v_cmp_eq_u32_e32 vcc_lo, 14, v24
	s_delay_alu instid0(VALU_DEP_2) | instskip(SKIP_1) | instid1(VALU_DEP_2)
	v_cndmask_b32_e32 v27, v27, v16, vcc_lo
	v_cmp_eq_u32_e32 vcc_lo, 15, v24
	v_cndmask_b32_e32 v27, v27, v17, vcc_lo
	v_cmp_eq_u32_e32 vcc_lo, 16, v24
	s_delay_alu instid0(VALU_DEP_2) | instskip(SKIP_1) | instid1(VALU_DEP_2)
	v_cndmask_b32_e32 v27, v27, v18, vcc_lo
	v_cmp_eq_u32_e32 vcc_lo, 17, v24
	v_cndmask_b32_e32 v27, v27, v19, vcc_lo
	v_cmp_eq_u32_e32 vcc_lo, 18, v24
	s_delay_alu instid0(VALU_DEP_2) | instskip(SKIP_1) | instid1(VALU_DEP_2)
	v_cndmask_b32_e32 v27, v27, v20, vcc_lo
	v_cmp_eq_u32_e32 vcc_lo, 19, v24
	v_cndmask_b32_e32 v27, v27, v21, vcc_lo
	v_cmp_eq_u32_e32 vcc_lo, 20, v24
	s_delay_alu instid0(VALU_DEP_2) | instskip(SKIP_2) | instid1(VALU_DEP_2)
	v_cndmask_b32_e32 v27, v27, v22, vcc_lo
	v_cmp_lt_u32_e32 vcc_lo, 2, v24
	s_wait_dscnt 0x0
	v_fmac_f32_e32 v23, v27, v28
	s_or_b32 s4, vcc_lo, s4
	s_delay_alu instid0(SALU_CYCLE_1)
	s_and_not1_b32 exec_lo, exec_lo, s4
	s_cbranch_execnz .LBB20_333
; %bb.334:
	s_or_b32 exec_lo, exec_lo, s4
.LBB20_335:
	s_delay_alu instid0(SALU_CYCLE_1)
	s_or_b32 exec_lo, exec_lo, s3
	v_mov_b32_e32 v6, 0
	ds_load_b32 v6, v6 offset:16
	s_wait_dscnt 0x0
	v_mul_f32_e32 v6, v23, v6
.LBB20_336:
	s_or_b32 exec_lo, exec_lo, s2
	v_cmp_gt_u32_e64 s2, 5, v0
	ds_store_b32 v111, v7
	s_wait_dscnt 0x0
	s_barrier_signal -1
	s_barrier_wait -1
	s_and_saveexec_b32 s3, s2
	s_cbranch_execz .LBB20_346
; %bb.337:
	v_cmp_ne_u32_e32 vcc_lo, 1, v34
	s_cbranch_vccnz .LBB20_339
; %bb.338:
	v_cmp_eq_u32_e32 vcc_lo, 1, v0
	ds_load_b32 v24, v111
	v_cndmask_b32_e32 v23, v2, v3, vcc_lo
	v_cmp_eq_u32_e32 vcc_lo, 2, v0
	s_delay_alu instid0(VALU_DEP_2) | instskip(SKIP_1) | instid1(VALU_DEP_2)
	v_cndmask_b32_e32 v23, v23, v4, vcc_lo
	v_cmp_eq_u32_e32 vcc_lo, 3, v0
	v_cndmask_b32_e32 v23, v23, v5, vcc_lo
	v_cmp_eq_u32_e32 vcc_lo, 4, v0
	s_delay_alu instid0(VALU_DEP_2) | instskip(SKIP_1) | instid1(VALU_DEP_2)
	v_cndmask_b32_e32 v23, v23, v6, vcc_lo
	v_cmp_eq_u32_e32 vcc_lo, 5, v0
	v_cndmask_b32_e32 v23, v23, v7, vcc_lo
	v_cmp_eq_u32_e32 vcc_lo, 6, v0
	s_delay_alu instid0(VALU_DEP_2) | instskip(SKIP_1) | instid1(VALU_DEP_2)
	v_cndmask_b32_e32 v23, v23, v8, vcc_lo
	v_cmp_eq_u32_e32 vcc_lo, 7, v0
	v_cndmask_b32_e32 v23, v23, v9, vcc_lo
	v_cmp_eq_u32_e32 vcc_lo, 8, v0
	s_delay_alu instid0(VALU_DEP_2) | instskip(SKIP_1) | instid1(VALU_DEP_2)
	v_cndmask_b32_e32 v23, v23, v10, vcc_lo
	v_cmp_eq_u32_e32 vcc_lo, 9, v0
	v_cndmask_b32_e32 v23, v23, v11, vcc_lo
	v_cmp_eq_u32_e32 vcc_lo, 10, v0
	s_delay_alu instid0(VALU_DEP_2) | instskip(SKIP_1) | instid1(VALU_DEP_2)
	v_cndmask_b32_e32 v23, v23, v12, vcc_lo
	v_cmp_eq_u32_e32 vcc_lo, 11, v0
	v_cndmask_b32_e32 v23, v23, v13, vcc_lo
	v_cmp_eq_u32_e32 vcc_lo, 12, v0
	s_delay_alu instid0(VALU_DEP_2) | instskip(SKIP_1) | instid1(VALU_DEP_2)
	v_cndmask_b32_e32 v23, v23, v14, vcc_lo
	v_cmp_eq_u32_e32 vcc_lo, 13, v0
	v_cndmask_b32_e32 v23, v23, v15, vcc_lo
	v_cmp_eq_u32_e32 vcc_lo, 14, v0
	s_delay_alu instid0(VALU_DEP_2) | instskip(SKIP_1) | instid1(VALU_DEP_2)
	v_cndmask_b32_e32 v23, v23, v16, vcc_lo
	v_cmp_eq_u32_e32 vcc_lo, 15, v0
	v_cndmask_b32_e32 v23, v23, v17, vcc_lo
	v_cmp_eq_u32_e32 vcc_lo, 16, v0
	s_delay_alu instid0(VALU_DEP_2) | instskip(SKIP_1) | instid1(VALU_DEP_2)
	v_cndmask_b32_e32 v23, v23, v18, vcc_lo
	v_cmp_eq_u32_e32 vcc_lo, 17, v0
	v_cndmask_b32_e32 v23, v23, v19, vcc_lo
	v_cmp_eq_u32_e32 vcc_lo, 18, v0
	s_delay_alu instid0(VALU_DEP_2) | instskip(SKIP_1) | instid1(VALU_DEP_2)
	v_cndmask_b32_e32 v23, v23, v20, vcc_lo
	v_cmp_eq_u32_e32 vcc_lo, 19, v0
	v_cndmask_b32_e32 v23, v23, v21, vcc_lo
	v_cmp_eq_u32_e32 vcc_lo, 20, v0
	s_delay_alu instid0(VALU_DEP_2) | instskip(SKIP_1) | instid1(VALU_DEP_1)
	v_cndmask_b32_e32 v23, v23, v22, vcc_lo
	s_wait_dscnt 0x0
	v_mul_f32_e32 v23, v23, v24
	s_cbranch_execz .LBB20_340
	s_branch .LBB20_341
.LBB20_339:
                                        ; implicit-def: $vgpr23
.LBB20_340:
	ds_load_b32 v23, v111
.LBB20_341:
	s_mov_b32 s4, exec_lo
	v_cmpx_ne_u32_e32 4, v0
	s_cbranch_execz .LBB20_345
; %bb.342:
	v_mov_b64_e32 v[24:25], v[0:1]
	v_lshl_add_u32 v26, v0, 2, 0x64
	s_mov_b32 s5, 0
.LBB20_343:                             ; =>This Inner Loop Header: Depth=1
	s_delay_alu instid0(VALU_DEP_2)
	v_add_nc_u64_e32 v[24:25], 1, v[24:25]
	ds_load_b32 v28, v26
	v_add_nc_u32_e32 v26, 4, v26
	v_cmp_eq_u32_e32 vcc_lo, 1, v24
	v_cndmask_b32_e32 v27, v2, v3, vcc_lo
	v_cmp_eq_u32_e32 vcc_lo, 2, v24
	s_delay_alu instid0(VALU_DEP_2) | instskip(SKIP_1) | instid1(VALU_DEP_2)
	v_cndmask_b32_e32 v27, v27, v4, vcc_lo
	v_cmp_eq_u32_e32 vcc_lo, 3, v24
	v_cndmask_b32_e32 v27, v27, v5, vcc_lo
	v_cmp_eq_u32_e32 vcc_lo, 4, v24
	s_delay_alu instid0(VALU_DEP_2) | instskip(SKIP_1) | instid1(VALU_DEP_2)
	v_cndmask_b32_e32 v27, v27, v6, vcc_lo
	;; [unrolled: 5-line block ×9, first 2 shown]
	v_cmp_eq_u32_e32 vcc_lo, 19, v24
	v_cndmask_b32_e32 v27, v27, v21, vcc_lo
	v_cmp_eq_u32_e32 vcc_lo, 20, v24
	s_delay_alu instid0(VALU_DEP_2) | instskip(SKIP_2) | instid1(VALU_DEP_2)
	v_cndmask_b32_e32 v27, v27, v22, vcc_lo
	v_cmp_lt_u32_e32 vcc_lo, 3, v24
	s_wait_dscnt 0x0
	v_fmac_f32_e32 v23, v27, v28
	s_or_b32 s5, vcc_lo, s5
	s_delay_alu instid0(SALU_CYCLE_1)
	s_and_not1_b32 exec_lo, exec_lo, s5
	s_cbranch_execnz .LBB20_343
; %bb.344:
	s_or_b32 exec_lo, exec_lo, s5
.LBB20_345:
	s_delay_alu instid0(SALU_CYCLE_1)
	s_or_b32 exec_lo, exec_lo, s4
	v_mov_b32_e32 v7, 0
	ds_load_b32 v7, v7 offset:20
	s_wait_dscnt 0x0
	v_mul_f32_e32 v7, v23, v7
.LBB20_346:
	s_or_b32 exec_lo, exec_lo, s3
	s_delay_alu instid0(SALU_CYCLE_1)
	s_mov_b32 s3, exec_lo
	ds_store_b32 v111, v8
	s_wait_dscnt 0x0
	s_barrier_signal -1
	s_barrier_wait -1
	v_cmpx_gt_u32_e32 6, v0
	s_cbranch_execz .LBB20_356
; %bb.347:
	v_cmp_ne_u32_e32 vcc_lo, 1, v34
	s_cbranch_vccnz .LBB20_349
; %bb.348:
	v_cmp_eq_u32_e32 vcc_lo, 1, v0
	ds_load_b32 v24, v111
	v_cndmask_b32_e32 v23, v2, v3, vcc_lo
	v_cmp_eq_u32_e32 vcc_lo, 2, v0
	s_delay_alu instid0(VALU_DEP_2) | instskip(SKIP_1) | instid1(VALU_DEP_2)
	v_cndmask_b32_e32 v23, v23, v4, vcc_lo
	v_cmp_eq_u32_e32 vcc_lo, 3, v0
	v_cndmask_b32_e32 v23, v23, v5, vcc_lo
	v_cmp_eq_u32_e32 vcc_lo, 4, v0
	s_delay_alu instid0(VALU_DEP_2) | instskip(SKIP_1) | instid1(VALU_DEP_2)
	v_cndmask_b32_e32 v23, v23, v6, vcc_lo
	v_cmp_eq_u32_e32 vcc_lo, 5, v0
	v_cndmask_b32_e32 v23, v23, v7, vcc_lo
	v_cmp_eq_u32_e32 vcc_lo, 6, v0
	s_delay_alu instid0(VALU_DEP_2) | instskip(SKIP_1) | instid1(VALU_DEP_2)
	v_cndmask_b32_e32 v23, v23, v8, vcc_lo
	v_cmp_eq_u32_e32 vcc_lo, 7, v0
	v_cndmask_b32_e32 v23, v23, v9, vcc_lo
	v_cmp_eq_u32_e32 vcc_lo, 8, v0
	s_delay_alu instid0(VALU_DEP_2) | instskip(SKIP_1) | instid1(VALU_DEP_2)
	v_cndmask_b32_e32 v23, v23, v10, vcc_lo
	v_cmp_eq_u32_e32 vcc_lo, 9, v0
	v_cndmask_b32_e32 v23, v23, v11, vcc_lo
	v_cmp_eq_u32_e32 vcc_lo, 10, v0
	s_delay_alu instid0(VALU_DEP_2) | instskip(SKIP_1) | instid1(VALU_DEP_2)
	v_cndmask_b32_e32 v23, v23, v12, vcc_lo
	v_cmp_eq_u32_e32 vcc_lo, 11, v0
	v_cndmask_b32_e32 v23, v23, v13, vcc_lo
	v_cmp_eq_u32_e32 vcc_lo, 12, v0
	s_delay_alu instid0(VALU_DEP_2) | instskip(SKIP_1) | instid1(VALU_DEP_2)
	v_cndmask_b32_e32 v23, v23, v14, vcc_lo
	v_cmp_eq_u32_e32 vcc_lo, 13, v0
	v_cndmask_b32_e32 v23, v23, v15, vcc_lo
	v_cmp_eq_u32_e32 vcc_lo, 14, v0
	s_delay_alu instid0(VALU_DEP_2) | instskip(SKIP_1) | instid1(VALU_DEP_2)
	v_cndmask_b32_e32 v23, v23, v16, vcc_lo
	v_cmp_eq_u32_e32 vcc_lo, 15, v0
	v_cndmask_b32_e32 v23, v23, v17, vcc_lo
	v_cmp_eq_u32_e32 vcc_lo, 16, v0
	s_delay_alu instid0(VALU_DEP_2) | instskip(SKIP_1) | instid1(VALU_DEP_2)
	v_cndmask_b32_e32 v23, v23, v18, vcc_lo
	v_cmp_eq_u32_e32 vcc_lo, 17, v0
	v_cndmask_b32_e32 v23, v23, v19, vcc_lo
	v_cmp_eq_u32_e32 vcc_lo, 18, v0
	s_delay_alu instid0(VALU_DEP_2) | instskip(SKIP_1) | instid1(VALU_DEP_2)
	v_cndmask_b32_e32 v23, v23, v20, vcc_lo
	v_cmp_eq_u32_e32 vcc_lo, 19, v0
	v_cndmask_b32_e32 v23, v23, v21, vcc_lo
	v_cmp_eq_u32_e32 vcc_lo, 20, v0
	s_delay_alu instid0(VALU_DEP_2) | instskip(SKIP_1) | instid1(VALU_DEP_1)
	v_cndmask_b32_e32 v23, v23, v22, vcc_lo
	s_wait_dscnt 0x0
	v_mul_f32_e32 v23, v23, v24
	s_cbranch_execz .LBB20_350
	s_branch .LBB20_351
.LBB20_349:
                                        ; implicit-def: $vgpr23
.LBB20_350:
	ds_load_b32 v23, v111
.LBB20_351:
	s_mov_b32 s4, exec_lo
	v_cmpx_ne_u32_e32 5, v0
	s_cbranch_execz .LBB20_355
; %bb.352:
	v_mov_b64_e32 v[24:25], v[0:1]
	v_lshl_add_u32 v26, v0, 2, 0x64
	s_mov_b32 s5, 0
.LBB20_353:                             ; =>This Inner Loop Header: Depth=1
	s_delay_alu instid0(VALU_DEP_2)
	v_add_nc_u64_e32 v[24:25], 1, v[24:25]
	ds_load_b32 v28, v26
	v_add_nc_u32_e32 v26, 4, v26
	v_cmp_eq_u32_e32 vcc_lo, 1, v24
	v_cndmask_b32_e32 v27, v2, v3, vcc_lo
	v_cmp_eq_u32_e32 vcc_lo, 2, v24
	s_delay_alu instid0(VALU_DEP_2) | instskip(SKIP_1) | instid1(VALU_DEP_2)
	v_cndmask_b32_e32 v27, v27, v4, vcc_lo
	v_cmp_eq_u32_e32 vcc_lo, 3, v24
	v_cndmask_b32_e32 v27, v27, v5, vcc_lo
	v_cmp_eq_u32_e32 vcc_lo, 4, v24
	s_delay_alu instid0(VALU_DEP_2) | instskip(SKIP_1) | instid1(VALU_DEP_2)
	v_cndmask_b32_e32 v27, v27, v6, vcc_lo
	;; [unrolled: 5-line block ×9, first 2 shown]
	v_cmp_eq_u32_e32 vcc_lo, 19, v24
	v_cndmask_b32_e32 v27, v27, v21, vcc_lo
	v_cmp_eq_u32_e32 vcc_lo, 20, v24
	s_delay_alu instid0(VALU_DEP_2) | instskip(SKIP_2) | instid1(VALU_DEP_2)
	v_cndmask_b32_e32 v27, v27, v22, vcc_lo
	v_cmp_lt_u32_e32 vcc_lo, 4, v24
	s_wait_dscnt 0x0
	v_fmac_f32_e32 v23, v27, v28
	s_or_b32 s5, vcc_lo, s5
	s_delay_alu instid0(SALU_CYCLE_1)
	s_and_not1_b32 exec_lo, exec_lo, s5
	s_cbranch_execnz .LBB20_353
; %bb.354:
	s_or_b32 exec_lo, exec_lo, s5
.LBB20_355:
	s_delay_alu instid0(SALU_CYCLE_1)
	s_or_b32 exec_lo, exec_lo, s4
	v_mov_b32_e32 v8, 0
	ds_load_b32 v8, v8 offset:24
	s_wait_dscnt 0x0
	v_mul_f32_e32 v8, v23, v8
.LBB20_356:
	s_or_b32 exec_lo, exec_lo, s3
	v_cmp_gt_u32_e64 s3, 7, v0
	ds_store_b32 v111, v9
	s_wait_dscnt 0x0
	s_barrier_signal -1
	s_barrier_wait -1
	s_and_saveexec_b32 s4, s3
	s_cbranch_execz .LBB20_366
; %bb.357:
	v_cmp_ne_u32_e32 vcc_lo, 1, v34
	s_cbranch_vccnz .LBB20_359
; %bb.358:
	v_cmp_eq_u32_e32 vcc_lo, 1, v0
	ds_load_b32 v24, v111
	v_cndmask_b32_e32 v23, v2, v3, vcc_lo
	v_cmp_eq_u32_e32 vcc_lo, 2, v0
	s_delay_alu instid0(VALU_DEP_2) | instskip(SKIP_1) | instid1(VALU_DEP_2)
	v_cndmask_b32_e32 v23, v23, v4, vcc_lo
	v_cmp_eq_u32_e32 vcc_lo, 3, v0
	v_cndmask_b32_e32 v23, v23, v5, vcc_lo
	v_cmp_eq_u32_e32 vcc_lo, 4, v0
	s_delay_alu instid0(VALU_DEP_2) | instskip(SKIP_1) | instid1(VALU_DEP_2)
	v_cndmask_b32_e32 v23, v23, v6, vcc_lo
	v_cmp_eq_u32_e32 vcc_lo, 5, v0
	;; [unrolled: 5-line block ×9, first 2 shown]
	v_cndmask_b32_e32 v23, v23, v21, vcc_lo
	v_cmp_eq_u32_e32 vcc_lo, 20, v0
	s_delay_alu instid0(VALU_DEP_2) | instskip(SKIP_1) | instid1(VALU_DEP_1)
	v_cndmask_b32_e32 v23, v23, v22, vcc_lo
	s_wait_dscnt 0x0
	v_mul_f32_e32 v23, v23, v24
	s_cbranch_execz .LBB20_360
	s_branch .LBB20_361
.LBB20_359:
                                        ; implicit-def: $vgpr23
.LBB20_360:
	ds_load_b32 v23, v111
.LBB20_361:
	s_mov_b32 s5, exec_lo
	v_cmpx_ne_u32_e32 6, v0
	s_cbranch_execz .LBB20_365
; %bb.362:
	v_mov_b64_e32 v[24:25], v[0:1]
	v_lshl_add_u32 v26, v0, 2, 0x64
	s_mov_b32 s6, 0
.LBB20_363:                             ; =>This Inner Loop Header: Depth=1
	s_delay_alu instid0(VALU_DEP_2)
	v_add_nc_u64_e32 v[24:25], 1, v[24:25]
	ds_load_b32 v28, v26
	v_add_nc_u32_e32 v26, 4, v26
	v_cmp_eq_u32_e32 vcc_lo, 1, v24
	v_cndmask_b32_e32 v27, v2, v3, vcc_lo
	v_cmp_eq_u32_e32 vcc_lo, 2, v24
	s_delay_alu instid0(VALU_DEP_2) | instskip(SKIP_1) | instid1(VALU_DEP_2)
	v_cndmask_b32_e32 v27, v27, v4, vcc_lo
	v_cmp_eq_u32_e32 vcc_lo, 3, v24
	v_cndmask_b32_e32 v27, v27, v5, vcc_lo
	v_cmp_eq_u32_e32 vcc_lo, 4, v24
	s_delay_alu instid0(VALU_DEP_2) | instskip(SKIP_1) | instid1(VALU_DEP_2)
	v_cndmask_b32_e32 v27, v27, v6, vcc_lo
	;; [unrolled: 5-line block ×9, first 2 shown]
	v_cmp_eq_u32_e32 vcc_lo, 19, v24
	v_cndmask_b32_e32 v27, v27, v21, vcc_lo
	v_cmp_eq_u32_e32 vcc_lo, 20, v24
	s_delay_alu instid0(VALU_DEP_2) | instskip(SKIP_2) | instid1(VALU_DEP_2)
	v_cndmask_b32_e32 v27, v27, v22, vcc_lo
	v_cmp_lt_u32_e32 vcc_lo, 5, v24
	s_wait_dscnt 0x0
	v_fmac_f32_e32 v23, v27, v28
	s_or_b32 s6, vcc_lo, s6
	s_delay_alu instid0(SALU_CYCLE_1)
	s_and_not1_b32 exec_lo, exec_lo, s6
	s_cbranch_execnz .LBB20_363
; %bb.364:
	s_or_b32 exec_lo, exec_lo, s6
.LBB20_365:
	s_delay_alu instid0(SALU_CYCLE_1)
	s_or_b32 exec_lo, exec_lo, s5
	v_mov_b32_e32 v9, 0
	ds_load_b32 v9, v9 offset:28
	s_wait_dscnt 0x0
	v_mul_f32_e32 v9, v23, v9
.LBB20_366:
	s_or_b32 exec_lo, exec_lo, s4
	s_delay_alu instid0(SALU_CYCLE_1)
	s_mov_b32 s4, exec_lo
	ds_store_b32 v111, v10
	s_wait_dscnt 0x0
	s_barrier_signal -1
	s_barrier_wait -1
	v_cmpx_gt_u32_e32 8, v0
	s_cbranch_execz .LBB20_376
; %bb.367:
	v_cmp_ne_u32_e32 vcc_lo, 1, v34
	s_cbranch_vccnz .LBB20_369
; %bb.368:
	v_cmp_eq_u32_e32 vcc_lo, 1, v0
	ds_load_b32 v24, v111
	v_cndmask_b32_e32 v23, v2, v3, vcc_lo
	v_cmp_eq_u32_e32 vcc_lo, 2, v0
	s_delay_alu instid0(VALU_DEP_2) | instskip(SKIP_1) | instid1(VALU_DEP_2)
	v_cndmask_b32_e32 v23, v23, v4, vcc_lo
	v_cmp_eq_u32_e32 vcc_lo, 3, v0
	v_cndmask_b32_e32 v23, v23, v5, vcc_lo
	v_cmp_eq_u32_e32 vcc_lo, 4, v0
	s_delay_alu instid0(VALU_DEP_2) | instskip(SKIP_1) | instid1(VALU_DEP_2)
	v_cndmask_b32_e32 v23, v23, v6, vcc_lo
	v_cmp_eq_u32_e32 vcc_lo, 5, v0
	;; [unrolled: 5-line block ×9, first 2 shown]
	v_cndmask_b32_e32 v23, v23, v21, vcc_lo
	v_cmp_eq_u32_e32 vcc_lo, 20, v0
	s_delay_alu instid0(VALU_DEP_2) | instskip(SKIP_1) | instid1(VALU_DEP_1)
	v_cndmask_b32_e32 v23, v23, v22, vcc_lo
	s_wait_dscnt 0x0
	v_mul_f32_e32 v23, v23, v24
	s_cbranch_execz .LBB20_370
	s_branch .LBB20_371
.LBB20_369:
                                        ; implicit-def: $vgpr23
.LBB20_370:
	ds_load_b32 v23, v111
.LBB20_371:
	s_mov_b32 s5, exec_lo
	v_cmpx_ne_u32_e32 7, v0
	s_cbranch_execz .LBB20_375
; %bb.372:
	v_mov_b64_e32 v[24:25], v[0:1]
	v_lshl_add_u32 v26, v0, 2, 0x64
	s_mov_b32 s6, 0
.LBB20_373:                             ; =>This Inner Loop Header: Depth=1
	s_delay_alu instid0(VALU_DEP_2)
	v_add_nc_u64_e32 v[24:25], 1, v[24:25]
	ds_load_b32 v28, v26
	v_add_nc_u32_e32 v26, 4, v26
	v_cmp_eq_u32_e32 vcc_lo, 1, v24
	v_cndmask_b32_e32 v27, v2, v3, vcc_lo
	v_cmp_eq_u32_e32 vcc_lo, 2, v24
	s_delay_alu instid0(VALU_DEP_2) | instskip(SKIP_1) | instid1(VALU_DEP_2)
	v_cndmask_b32_e32 v27, v27, v4, vcc_lo
	v_cmp_eq_u32_e32 vcc_lo, 3, v24
	v_cndmask_b32_e32 v27, v27, v5, vcc_lo
	v_cmp_eq_u32_e32 vcc_lo, 4, v24
	s_delay_alu instid0(VALU_DEP_2) | instskip(SKIP_1) | instid1(VALU_DEP_2)
	v_cndmask_b32_e32 v27, v27, v6, vcc_lo
	;; [unrolled: 5-line block ×9, first 2 shown]
	v_cmp_eq_u32_e32 vcc_lo, 19, v24
	v_cndmask_b32_e32 v27, v27, v21, vcc_lo
	v_cmp_eq_u32_e32 vcc_lo, 20, v24
	s_delay_alu instid0(VALU_DEP_2) | instskip(SKIP_2) | instid1(VALU_DEP_2)
	v_cndmask_b32_e32 v27, v27, v22, vcc_lo
	v_cmp_lt_u32_e32 vcc_lo, 6, v24
	s_wait_dscnt 0x0
	v_fmac_f32_e32 v23, v27, v28
	s_or_b32 s6, vcc_lo, s6
	s_delay_alu instid0(SALU_CYCLE_1)
	s_and_not1_b32 exec_lo, exec_lo, s6
	s_cbranch_execnz .LBB20_373
; %bb.374:
	s_or_b32 exec_lo, exec_lo, s6
.LBB20_375:
	s_delay_alu instid0(SALU_CYCLE_1)
	s_or_b32 exec_lo, exec_lo, s5
	v_mov_b32_e32 v10, 0
	ds_load_b32 v10, v10 offset:32
	s_wait_dscnt 0x0
	v_mul_f32_e32 v10, v23, v10
.LBB20_376:
	s_or_b32 exec_lo, exec_lo, s4
	s_delay_alu instid0(SALU_CYCLE_1)
	s_mov_b32 s4, exec_lo
	ds_store_b32 v111, v11
	s_wait_dscnt 0x0
	s_barrier_signal -1
	s_barrier_wait -1
	v_cmpx_gt_u32_e32 9, v0
	s_cbranch_execz .LBB20_398
; %bb.377:
	v_cmp_ne_u32_e32 vcc_lo, 1, v34
	s_cbranch_vccnz .LBB20_379
; %bb.378:
	v_cmp_eq_u32_e32 vcc_lo, 1, v0
	ds_load_b32 v24, v111
	v_cndmask_b32_e32 v23, v2, v3, vcc_lo
	v_cmp_eq_u32_e32 vcc_lo, 2, v0
	s_delay_alu instid0(VALU_DEP_2) | instskip(SKIP_1) | instid1(VALU_DEP_2)
	v_cndmask_b32_e32 v23, v23, v4, vcc_lo
	v_cmp_eq_u32_e32 vcc_lo, 3, v0
	v_cndmask_b32_e32 v23, v23, v5, vcc_lo
	v_cmp_eq_u32_e32 vcc_lo, 4, v0
	s_delay_alu instid0(VALU_DEP_2) | instskip(SKIP_1) | instid1(VALU_DEP_2)
	v_cndmask_b32_e32 v23, v23, v6, vcc_lo
	v_cmp_eq_u32_e32 vcc_lo, 5, v0
	;; [unrolled: 5-line block ×9, first 2 shown]
	v_cndmask_b32_e32 v23, v23, v21, vcc_lo
	v_cmp_eq_u32_e32 vcc_lo, 20, v0
	s_delay_alu instid0(VALU_DEP_2) | instskip(SKIP_1) | instid1(VALU_DEP_1)
	v_cndmask_b32_e32 v23, v23, v22, vcc_lo
	s_wait_dscnt 0x0
	v_mul_f32_e32 v23, v23, v24
	s_cbranch_execz .LBB20_380
	s_branch .LBB20_381
.LBB20_379:
                                        ; implicit-def: $vgpr23
.LBB20_380:
	ds_load_b32 v23, v111
.LBB20_381:
	s_mov_b32 s5, exec_lo
	v_cmpx_ne_u32_e32 8, v0
	s_cbranch_execz .LBB20_397
; %bb.382:
	v_cmp_eq_u32_e32 vcc_lo, 1, v35
	ds_load_b32 v25, v111 offset:4
	v_cndmask_b32_e32 v24, v2, v3, vcc_lo
	v_cmp_eq_u32_e32 vcc_lo, 2, v35
	s_delay_alu instid0(VALU_DEP_2) | instskip(SKIP_1) | instid1(VALU_DEP_2)
	v_cndmask_b32_e32 v24, v24, v4, vcc_lo
	v_cmp_eq_u32_e32 vcc_lo, 3, v35
	v_cndmask_b32_e32 v24, v24, v5, vcc_lo
	v_cmp_eq_u32_e32 vcc_lo, 4, v35
	s_delay_alu instid0(VALU_DEP_2) | instskip(SKIP_1) | instid1(VALU_DEP_2)
	v_cndmask_b32_e32 v24, v24, v6, vcc_lo
	v_cmp_eq_u32_e32 vcc_lo, 5, v35
	;; [unrolled: 5-line block ×9, first 2 shown]
	v_cndmask_b32_e32 v24, v24, v21, vcc_lo
	v_cmp_eq_u32_e32 vcc_lo, 20, v35
	s_delay_alu instid0(VALU_DEP_2) | instskip(SKIP_1) | instid1(VALU_DEP_1)
	v_cndmask_b32_e32 v24, v24, v22, vcc_lo
	s_wait_dscnt 0x0
	v_fmac_f32_e32 v23, v24, v25
	s_and_saveexec_b32 s6, s3
	s_cbranch_execz .LBB20_396
; %bb.383:
	v_add_nc_u32_e32 v24, 2, v0
	ds_load_b32 v26, v111 offset:8
	s_mov_b32 s3, exec_lo
	v_cmp_eq_u32_e32 vcc_lo, 1, v24
	v_cndmask_b32_e32 v25, v2, v3, vcc_lo
	v_cmp_eq_u32_e32 vcc_lo, 2, v24
	s_delay_alu instid0(VALU_DEP_2) | instskip(SKIP_1) | instid1(VALU_DEP_2)
	v_cndmask_b32_e32 v25, v25, v4, vcc_lo
	v_cmp_eq_u32_e32 vcc_lo, 3, v24
	v_cndmask_b32_e32 v25, v25, v5, vcc_lo
	v_cmp_eq_u32_e32 vcc_lo, 4, v24
	s_delay_alu instid0(VALU_DEP_2) | instskip(SKIP_1) | instid1(VALU_DEP_2)
	v_cndmask_b32_e32 v25, v25, v6, vcc_lo
	;; [unrolled: 5-line block ×9, first 2 shown]
	v_cmp_eq_u32_e32 vcc_lo, 19, v24
	v_cndmask_b32_e32 v25, v25, v21, vcc_lo
	v_cmp_eq_u32_e32 vcc_lo, 20, v24
	s_delay_alu instid0(VALU_DEP_2) | instskip(SKIP_1) | instid1(VALU_DEP_1)
	v_cndmask_b32_e32 v24, v25, v22, vcc_lo
	s_wait_dscnt 0x0
	v_fmac_f32_e32 v23, v24, v26
	v_cmpx_ne_u32_e32 6, v0
	s_cbranch_execz .LBB20_395
; %bb.384:
	v_add_nc_u32_e32 v24, 3, v0
	ds_load_b32 v26, v111 offset:12
	v_cmp_eq_u32_e32 vcc_lo, 1, v24
	v_cndmask_b32_e32 v25, v2, v3, vcc_lo
	v_cmp_eq_u32_e32 vcc_lo, 2, v24
	s_delay_alu instid0(VALU_DEP_2) | instskip(SKIP_1) | instid1(VALU_DEP_2)
	v_cndmask_b32_e32 v25, v25, v4, vcc_lo
	v_cmp_eq_u32_e32 vcc_lo, 3, v24
	v_cndmask_b32_e32 v25, v25, v5, vcc_lo
	v_cmp_eq_u32_e32 vcc_lo, 4, v24
	s_delay_alu instid0(VALU_DEP_2) | instskip(SKIP_1) | instid1(VALU_DEP_2)
	v_cndmask_b32_e32 v25, v25, v6, vcc_lo
	;; [unrolled: 5-line block ×9, first 2 shown]
	v_cmp_eq_u32_e32 vcc_lo, 19, v24
	v_cndmask_b32_e32 v25, v25, v21, vcc_lo
	v_cmp_eq_u32_e32 vcc_lo, 20, v24
	s_delay_alu instid0(VALU_DEP_2) | instskip(SKIP_1) | instid1(VALU_DEP_1)
	v_cndmask_b32_e32 v24, v25, v22, vcc_lo
	s_wait_dscnt 0x0
	v_fmac_f32_e32 v23, v24, v26
	s_and_saveexec_b32 s7, s2
	s_cbranch_execz .LBB20_394
; %bb.385:
	v_add_nc_u32_e32 v24, 4, v0
	ds_load_b32 v26, v111 offset:16
	s_mov_b32 s2, exec_lo
	v_cmp_eq_u32_e32 vcc_lo, 1, v24
	v_cndmask_b32_e32 v25, v2, v3, vcc_lo
	v_cmp_eq_u32_e32 vcc_lo, 2, v24
	s_delay_alu instid0(VALU_DEP_2) | instskip(SKIP_1) | instid1(VALU_DEP_2)
	v_cndmask_b32_e32 v25, v25, v4, vcc_lo
	v_cmp_eq_u32_e32 vcc_lo, 3, v24
	v_cndmask_b32_e32 v25, v25, v5, vcc_lo
	v_cmp_eq_u32_e32 vcc_lo, 4, v24
	s_delay_alu instid0(VALU_DEP_2) | instskip(SKIP_1) | instid1(VALU_DEP_2)
	v_cndmask_b32_e32 v25, v25, v6, vcc_lo
	;; [unrolled: 5-line block ×9, first 2 shown]
	v_cmp_eq_u32_e32 vcc_lo, 19, v24
	v_cndmask_b32_e32 v25, v25, v21, vcc_lo
	v_cmp_eq_u32_e32 vcc_lo, 20, v24
	s_delay_alu instid0(VALU_DEP_2) | instskip(SKIP_1) | instid1(VALU_DEP_1)
	v_cndmask_b32_e32 v24, v25, v22, vcc_lo
	s_wait_dscnt 0x0
	v_fmac_f32_e32 v23, v24, v26
	v_cmpx_ne_u32_e32 4, v0
	s_cbranch_execz .LBB20_393
; %bb.386:
	v_add_nc_u32_e32 v24, 5, v0
	ds_load_b32 v26, v111 offset:20
	v_cmp_eq_u32_e32 vcc_lo, 1, v24
	v_cndmask_b32_e32 v25, v2, v3, vcc_lo
	v_cmp_eq_u32_e32 vcc_lo, 2, v24
	s_delay_alu instid0(VALU_DEP_2) | instskip(SKIP_1) | instid1(VALU_DEP_2)
	v_cndmask_b32_e32 v25, v25, v4, vcc_lo
	v_cmp_eq_u32_e32 vcc_lo, 3, v24
	v_cndmask_b32_e32 v25, v25, v5, vcc_lo
	v_cmp_eq_u32_e32 vcc_lo, 4, v24
	s_delay_alu instid0(VALU_DEP_2) | instskip(SKIP_1) | instid1(VALU_DEP_2)
	v_cndmask_b32_e32 v25, v25, v6, vcc_lo
	;; [unrolled: 5-line block ×9, first 2 shown]
	v_cmp_eq_u32_e32 vcc_lo, 19, v24
	v_cndmask_b32_e32 v25, v25, v21, vcc_lo
	v_cmp_eq_u32_e32 vcc_lo, 20, v24
	s_delay_alu instid0(VALU_DEP_2) | instskip(SKIP_1) | instid1(VALU_DEP_1)
	v_cndmask_b32_e32 v24, v25, v22, vcc_lo
	s_wait_dscnt 0x0
	v_fmac_f32_e32 v23, v24, v26
	s_and_saveexec_b32 s8, s1
	s_cbranch_execz .LBB20_392
; %bb.387:
	v_add_nc_u32_e32 v24, 6, v0
	ds_load_b32 v26, v111 offset:24
	s_mov_b32 s1, exec_lo
	v_cmp_eq_u32_e32 vcc_lo, 1, v24
	v_cndmask_b32_e32 v25, v2, v3, vcc_lo
	v_cmp_eq_u32_e32 vcc_lo, 2, v24
	s_delay_alu instid0(VALU_DEP_2) | instskip(SKIP_1) | instid1(VALU_DEP_2)
	v_cndmask_b32_e32 v25, v25, v4, vcc_lo
	v_cmp_eq_u32_e32 vcc_lo, 3, v24
	v_cndmask_b32_e32 v25, v25, v5, vcc_lo
	v_cmp_eq_u32_e32 vcc_lo, 4, v24
	s_delay_alu instid0(VALU_DEP_2) | instskip(SKIP_1) | instid1(VALU_DEP_2)
	v_cndmask_b32_e32 v25, v25, v6, vcc_lo
	;; [unrolled: 5-line block ×9, first 2 shown]
	v_cmp_eq_u32_e32 vcc_lo, 19, v24
	v_cndmask_b32_e32 v25, v25, v21, vcc_lo
	v_cmp_eq_u32_e32 vcc_lo, 20, v24
	s_delay_alu instid0(VALU_DEP_2) | instskip(SKIP_1) | instid1(VALU_DEP_1)
	v_cndmask_b32_e32 v24, v25, v22, vcc_lo
	s_wait_dscnt 0x0
	v_fmac_f32_e32 v23, v24, v26
	v_cmpx_ne_u32_e32 2, v0
	s_cbranch_execz .LBB20_391
; %bb.388:
	v_add_nc_u32_e32 v24, 7, v0
	s_delay_alu instid0(VALU_DEP_1) | instskip(SKIP_2) | instid1(VALU_DEP_2)
	v_cmp_eq_u32_e32 vcc_lo, 1, v24
	v_cndmask_b32_e32 v25, v2, v3, vcc_lo
	v_cmp_eq_u32_e32 vcc_lo, 2, v24
	v_cndmask_b32_e32 v25, v25, v4, vcc_lo
	v_cmp_eq_u32_e32 vcc_lo, 3, v24
	s_delay_alu instid0(VALU_DEP_2) | instskip(SKIP_1) | instid1(VALU_DEP_2)
	v_cndmask_b32_e32 v25, v25, v5, vcc_lo
	v_cmp_eq_u32_e32 vcc_lo, 4, v24
	v_cndmask_b32_e32 v25, v25, v6, vcc_lo
	v_cmp_eq_u32_e32 vcc_lo, 5, v24
	s_delay_alu instid0(VALU_DEP_2) | instskip(SKIP_1) | instid1(VALU_DEP_2)
	;; [unrolled: 5-line block ×3, first 2 shown]
	v_cndmask_b32_e32 v25, v25, v9, vcc_lo
	v_cmp_eq_u32_e32 vcc_lo, 8, v24
	v_cndmask_b32_e32 v25, v25, v10, vcc_lo
	v_cmp_eq_u32_e32 vcc_lo, 9, v24
	s_delay_alu instid0(VALU_DEP_2) | instskip(SKIP_4) | instid1(VALU_DEP_2)
	v_cndmask_b32_e32 v11, v25, v11, vcc_lo
	v_cmp_eq_u32_e32 vcc_lo, 10, v24
	ds_load_b32 v25, v111 offset:28
	v_cndmask_b32_e32 v11, v11, v12, vcc_lo
	v_cmp_eq_u32_e32 vcc_lo, 11, v24
	v_cndmask_b32_e32 v11, v11, v13, vcc_lo
	v_cmp_eq_u32_e32 vcc_lo, 12, v24
	s_delay_alu instid0(VALU_DEP_2) | instskip(SKIP_1) | instid1(VALU_DEP_2)
	v_cndmask_b32_e32 v11, v11, v14, vcc_lo
	v_cmp_eq_u32_e32 vcc_lo, 13, v24
	v_cndmask_b32_e32 v11, v11, v15, vcc_lo
	v_cmp_eq_u32_e32 vcc_lo, 14, v24
	s_delay_alu instid0(VALU_DEP_2) | instskip(SKIP_1) | instid1(VALU_DEP_2)
	;; [unrolled: 5-line block ×4, first 2 shown]
	v_cndmask_b32_e32 v11, v11, v20, vcc_lo
	v_cmp_eq_u32_e32 vcc_lo, 19, v24
	v_cndmask_b32_e32 v11, v11, v21, vcc_lo
	v_cmp_eq_u32_e32 vcc_lo, 20, v24
	s_delay_alu instid0(VALU_DEP_2) | instskip(SKIP_1) | instid1(VALU_DEP_1)
	v_cndmask_b32_e32 v11, v11, v22, vcc_lo
	s_wait_dscnt 0x0
	v_fmac_f32_e32 v23, v11, v25
	s_and_saveexec_b32 s9, s0
	s_cbranch_execz .LBB20_390
; %bb.389:
	ds_load_b32 v11, v111 offset:32
	s_wait_dscnt 0x0
	v_fmac_f32_e32 v23, v10, v11
.LBB20_390:
	s_or_b32 exec_lo, exec_lo, s9
.LBB20_391:
	s_delay_alu instid0(SALU_CYCLE_1)
	s_or_b32 exec_lo, exec_lo, s1
.LBB20_392:
	s_delay_alu instid0(SALU_CYCLE_1)
	s_or_b32 exec_lo, exec_lo, s8
.LBB20_393:
	s_delay_alu instid0(SALU_CYCLE_1)
	s_or_b32 exec_lo, exec_lo, s2
.LBB20_394:
	s_delay_alu instid0(SALU_CYCLE_1)
	s_or_b32 exec_lo, exec_lo, s7
.LBB20_395:
	s_delay_alu instid0(SALU_CYCLE_1)
	s_or_b32 exec_lo, exec_lo, s3
.LBB20_396:
	s_delay_alu instid0(SALU_CYCLE_1)
	s_or_b32 exec_lo, exec_lo, s6
.LBB20_397:
	s_delay_alu instid0(SALU_CYCLE_1)
	s_or_b32 exec_lo, exec_lo, s5
	v_mov_b32_e32 v11, 0
	ds_load_b32 v11, v11 offset:36
	s_wait_dscnt 0x0
	v_mul_f32_e32 v11, v23, v11
.LBB20_398:
	s_or_b32 exec_lo, exec_lo, s4
	s_delay_alu instid0(SALU_CYCLE_1)
	s_mov_b32 s0, exec_lo
	ds_store_b32 v111, v12
	s_wait_dscnt 0x0
	s_barrier_signal -1
	s_barrier_wait -1
	v_cmpx_gt_u32_e32 10, v0
	s_cbranch_execz .LBB20_408
; %bb.399:
	v_cmp_ne_u32_e32 vcc_lo, 1, v34
	s_cbranch_vccnz .LBB20_401
; %bb.400:
	v_cmp_eq_u32_e32 vcc_lo, 1, v0
	ds_load_b32 v24, v111
	v_cndmask_b32_e32 v23, v2, v3, vcc_lo
	v_cmp_eq_u32_e32 vcc_lo, 2, v0
	s_delay_alu instid0(VALU_DEP_2) | instskip(SKIP_1) | instid1(VALU_DEP_2)
	v_cndmask_b32_e32 v23, v23, v4, vcc_lo
	v_cmp_eq_u32_e32 vcc_lo, 3, v0
	v_cndmask_b32_e32 v23, v23, v5, vcc_lo
	v_cmp_eq_u32_e32 vcc_lo, 4, v0
	s_delay_alu instid0(VALU_DEP_2) | instskip(SKIP_1) | instid1(VALU_DEP_2)
	v_cndmask_b32_e32 v23, v23, v6, vcc_lo
	v_cmp_eq_u32_e32 vcc_lo, 5, v0
	;; [unrolled: 5-line block ×9, first 2 shown]
	v_cndmask_b32_e32 v23, v23, v21, vcc_lo
	v_cmp_eq_u32_e32 vcc_lo, 20, v0
	s_delay_alu instid0(VALU_DEP_2) | instskip(SKIP_1) | instid1(VALU_DEP_1)
	v_cndmask_b32_e32 v23, v23, v22, vcc_lo
	s_wait_dscnt 0x0
	v_mul_f32_e32 v23, v23, v24
	s_cbranch_execz .LBB20_402
	s_branch .LBB20_403
.LBB20_401:
                                        ; implicit-def: $vgpr23
.LBB20_402:
	ds_load_b32 v23, v111
.LBB20_403:
	s_mov_b32 s1, exec_lo
	v_cmpx_ne_u32_e32 9, v0
	s_cbranch_execz .LBB20_407
; %bb.404:
	v_mov_b64_e32 v[24:25], v[0:1]
	v_lshl_add_u32 v26, v0, 2, 0x64
	s_mov_b32 s2, 0
.LBB20_405:                             ; =>This Inner Loop Header: Depth=1
	s_delay_alu instid0(VALU_DEP_2)
	v_add_nc_u64_e32 v[24:25], 1, v[24:25]
	ds_load_b32 v28, v26
	v_add_nc_u32_e32 v26, 4, v26
	v_cmp_eq_u32_e32 vcc_lo, 1, v24
	v_cndmask_b32_e32 v27, v2, v3, vcc_lo
	v_cmp_eq_u32_e32 vcc_lo, 2, v24
	s_delay_alu instid0(VALU_DEP_2) | instskip(SKIP_1) | instid1(VALU_DEP_2)
	v_cndmask_b32_e32 v27, v27, v4, vcc_lo
	v_cmp_eq_u32_e32 vcc_lo, 3, v24
	v_cndmask_b32_e32 v27, v27, v5, vcc_lo
	v_cmp_eq_u32_e32 vcc_lo, 4, v24
	s_delay_alu instid0(VALU_DEP_2) | instskip(SKIP_1) | instid1(VALU_DEP_2)
	v_cndmask_b32_e32 v27, v27, v6, vcc_lo
	;; [unrolled: 5-line block ×9, first 2 shown]
	v_cmp_eq_u32_e32 vcc_lo, 19, v24
	v_cndmask_b32_e32 v27, v27, v21, vcc_lo
	v_cmp_eq_u32_e32 vcc_lo, 20, v24
	s_delay_alu instid0(VALU_DEP_2) | instskip(SKIP_2) | instid1(VALU_DEP_2)
	v_cndmask_b32_e32 v27, v27, v22, vcc_lo
	v_cmp_lt_u32_e32 vcc_lo, 8, v24
	s_wait_dscnt 0x0
	v_fmac_f32_e32 v23, v27, v28
	s_or_b32 s2, vcc_lo, s2
	s_delay_alu instid0(SALU_CYCLE_1)
	s_and_not1_b32 exec_lo, exec_lo, s2
	s_cbranch_execnz .LBB20_405
; %bb.406:
	s_or_b32 exec_lo, exec_lo, s2
.LBB20_407:
	s_delay_alu instid0(SALU_CYCLE_1)
	s_or_b32 exec_lo, exec_lo, s1
	v_mov_b32_e32 v12, 0
	ds_load_b32 v12, v12 offset:40
	s_wait_dscnt 0x0
	v_mul_f32_e32 v12, v23, v12
.LBB20_408:
	s_or_b32 exec_lo, exec_lo, s0
	s_delay_alu instid0(SALU_CYCLE_1)
	s_mov_b32 s0, exec_lo
	ds_store_b32 v111, v13
	s_wait_dscnt 0x0
	s_barrier_signal -1
	s_barrier_wait -1
	v_cmpx_gt_u32_e32 11, v0
	s_cbranch_execz .LBB20_418
; %bb.409:
	v_cmp_ne_u32_e32 vcc_lo, 1, v34
	s_cbranch_vccnz .LBB20_411
; %bb.410:
	v_cmp_eq_u32_e32 vcc_lo, 1, v0
	ds_load_b32 v24, v111
	v_cndmask_b32_e32 v23, v2, v3, vcc_lo
	v_cmp_eq_u32_e32 vcc_lo, 2, v0
	s_delay_alu instid0(VALU_DEP_2) | instskip(SKIP_1) | instid1(VALU_DEP_2)
	v_cndmask_b32_e32 v23, v23, v4, vcc_lo
	v_cmp_eq_u32_e32 vcc_lo, 3, v0
	v_cndmask_b32_e32 v23, v23, v5, vcc_lo
	v_cmp_eq_u32_e32 vcc_lo, 4, v0
	s_delay_alu instid0(VALU_DEP_2) | instskip(SKIP_1) | instid1(VALU_DEP_2)
	v_cndmask_b32_e32 v23, v23, v6, vcc_lo
	v_cmp_eq_u32_e32 vcc_lo, 5, v0
	;; [unrolled: 5-line block ×9, first 2 shown]
	v_cndmask_b32_e32 v23, v23, v21, vcc_lo
	v_cmp_eq_u32_e32 vcc_lo, 20, v0
	s_delay_alu instid0(VALU_DEP_2) | instskip(SKIP_1) | instid1(VALU_DEP_1)
	v_cndmask_b32_e32 v23, v23, v22, vcc_lo
	s_wait_dscnt 0x0
	v_mul_f32_e32 v23, v23, v24
	s_cbranch_execz .LBB20_412
	s_branch .LBB20_413
.LBB20_411:
                                        ; implicit-def: $vgpr23
.LBB20_412:
	ds_load_b32 v23, v111
.LBB20_413:
	s_mov_b32 s1, exec_lo
	v_cmpx_ne_u32_e32 10, v0
	s_cbranch_execz .LBB20_417
; %bb.414:
	v_mov_b64_e32 v[24:25], v[0:1]
	v_lshl_add_u32 v26, v0, 2, 0x64
	s_mov_b32 s2, 0
.LBB20_415:                             ; =>This Inner Loop Header: Depth=1
	s_delay_alu instid0(VALU_DEP_2)
	v_add_nc_u64_e32 v[24:25], 1, v[24:25]
	ds_load_b32 v28, v26
	v_add_nc_u32_e32 v26, 4, v26
	v_cmp_eq_u32_e32 vcc_lo, 1, v24
	v_cndmask_b32_e32 v27, v2, v3, vcc_lo
	v_cmp_eq_u32_e32 vcc_lo, 2, v24
	s_delay_alu instid0(VALU_DEP_2) | instskip(SKIP_1) | instid1(VALU_DEP_2)
	v_cndmask_b32_e32 v27, v27, v4, vcc_lo
	v_cmp_eq_u32_e32 vcc_lo, 3, v24
	v_cndmask_b32_e32 v27, v27, v5, vcc_lo
	v_cmp_eq_u32_e32 vcc_lo, 4, v24
	s_delay_alu instid0(VALU_DEP_2) | instskip(SKIP_1) | instid1(VALU_DEP_2)
	v_cndmask_b32_e32 v27, v27, v6, vcc_lo
	;; [unrolled: 5-line block ×9, first 2 shown]
	v_cmp_eq_u32_e32 vcc_lo, 19, v24
	v_cndmask_b32_e32 v27, v27, v21, vcc_lo
	v_cmp_eq_u32_e32 vcc_lo, 20, v24
	s_delay_alu instid0(VALU_DEP_2) | instskip(SKIP_2) | instid1(VALU_DEP_2)
	v_cndmask_b32_e32 v27, v27, v22, vcc_lo
	v_cmp_lt_u32_e32 vcc_lo, 9, v24
	s_wait_dscnt 0x0
	v_fmac_f32_e32 v23, v27, v28
	s_or_b32 s2, vcc_lo, s2
	s_delay_alu instid0(SALU_CYCLE_1)
	s_and_not1_b32 exec_lo, exec_lo, s2
	s_cbranch_execnz .LBB20_415
; %bb.416:
	s_or_b32 exec_lo, exec_lo, s2
.LBB20_417:
	s_delay_alu instid0(SALU_CYCLE_1)
	s_or_b32 exec_lo, exec_lo, s1
	v_mov_b32_e32 v13, 0
	ds_load_b32 v13, v13 offset:44
	s_wait_dscnt 0x0
	v_mul_f32_e32 v13, v23, v13
.LBB20_418:
	s_or_b32 exec_lo, exec_lo, s0
	s_delay_alu instid0(SALU_CYCLE_1)
	s_mov_b32 s0, exec_lo
	ds_store_b32 v111, v14
	s_wait_dscnt 0x0
	s_barrier_signal -1
	s_barrier_wait -1
	v_cmpx_gt_u32_e32 12, v0
	s_cbranch_execz .LBB20_428
; %bb.419:
	v_cmp_ne_u32_e32 vcc_lo, 1, v34
	s_cbranch_vccnz .LBB20_421
; %bb.420:
	v_cmp_eq_u32_e32 vcc_lo, 1, v0
	ds_load_b32 v24, v111
	v_cndmask_b32_e32 v23, v2, v3, vcc_lo
	v_cmp_eq_u32_e32 vcc_lo, 2, v0
	s_delay_alu instid0(VALU_DEP_2) | instskip(SKIP_1) | instid1(VALU_DEP_2)
	v_cndmask_b32_e32 v23, v23, v4, vcc_lo
	v_cmp_eq_u32_e32 vcc_lo, 3, v0
	v_cndmask_b32_e32 v23, v23, v5, vcc_lo
	v_cmp_eq_u32_e32 vcc_lo, 4, v0
	s_delay_alu instid0(VALU_DEP_2) | instskip(SKIP_1) | instid1(VALU_DEP_2)
	v_cndmask_b32_e32 v23, v23, v6, vcc_lo
	v_cmp_eq_u32_e32 vcc_lo, 5, v0
	;; [unrolled: 5-line block ×9, first 2 shown]
	v_cndmask_b32_e32 v23, v23, v21, vcc_lo
	v_cmp_eq_u32_e32 vcc_lo, 20, v0
	s_delay_alu instid0(VALU_DEP_2) | instskip(SKIP_1) | instid1(VALU_DEP_1)
	v_cndmask_b32_e32 v23, v23, v22, vcc_lo
	s_wait_dscnt 0x0
	v_mul_f32_e32 v23, v23, v24
	s_cbranch_execz .LBB20_422
	s_branch .LBB20_423
.LBB20_421:
                                        ; implicit-def: $vgpr23
.LBB20_422:
	ds_load_b32 v23, v111
.LBB20_423:
	s_mov_b32 s1, exec_lo
	v_cmpx_ne_u32_e32 11, v0
	s_cbranch_execz .LBB20_427
; %bb.424:
	v_mov_b64_e32 v[24:25], v[0:1]
	v_lshl_add_u32 v26, v0, 2, 0x64
	s_mov_b32 s2, 0
.LBB20_425:                             ; =>This Inner Loop Header: Depth=1
	s_delay_alu instid0(VALU_DEP_2)
	v_add_nc_u64_e32 v[24:25], 1, v[24:25]
	ds_load_b32 v28, v26
	v_add_nc_u32_e32 v26, 4, v26
	v_cmp_eq_u32_e32 vcc_lo, 1, v24
	v_cndmask_b32_e32 v27, v2, v3, vcc_lo
	v_cmp_eq_u32_e32 vcc_lo, 2, v24
	s_delay_alu instid0(VALU_DEP_2) | instskip(SKIP_1) | instid1(VALU_DEP_2)
	v_cndmask_b32_e32 v27, v27, v4, vcc_lo
	v_cmp_eq_u32_e32 vcc_lo, 3, v24
	v_cndmask_b32_e32 v27, v27, v5, vcc_lo
	v_cmp_eq_u32_e32 vcc_lo, 4, v24
	s_delay_alu instid0(VALU_DEP_2) | instskip(SKIP_1) | instid1(VALU_DEP_2)
	v_cndmask_b32_e32 v27, v27, v6, vcc_lo
	;; [unrolled: 5-line block ×9, first 2 shown]
	v_cmp_eq_u32_e32 vcc_lo, 19, v24
	v_cndmask_b32_e32 v27, v27, v21, vcc_lo
	v_cmp_eq_u32_e32 vcc_lo, 20, v24
	s_delay_alu instid0(VALU_DEP_2) | instskip(SKIP_2) | instid1(VALU_DEP_2)
	v_cndmask_b32_e32 v27, v27, v22, vcc_lo
	v_cmp_lt_u32_e32 vcc_lo, 10, v24
	s_wait_dscnt 0x0
	v_fmac_f32_e32 v23, v27, v28
	s_or_b32 s2, vcc_lo, s2
	s_delay_alu instid0(SALU_CYCLE_1)
	s_and_not1_b32 exec_lo, exec_lo, s2
	s_cbranch_execnz .LBB20_425
; %bb.426:
	s_or_b32 exec_lo, exec_lo, s2
.LBB20_427:
	s_delay_alu instid0(SALU_CYCLE_1)
	s_or_b32 exec_lo, exec_lo, s1
	v_mov_b32_e32 v14, 0
	ds_load_b32 v14, v14 offset:48
	s_wait_dscnt 0x0
	v_mul_f32_e32 v14, v23, v14
.LBB20_428:
	s_or_b32 exec_lo, exec_lo, s0
	s_delay_alu instid0(SALU_CYCLE_1)
	s_mov_b32 s0, exec_lo
	ds_store_b32 v111, v15
	s_wait_dscnt 0x0
	s_barrier_signal -1
	s_barrier_wait -1
	v_cmpx_gt_u32_e32 13, v0
	s_cbranch_execz .LBB20_438
; %bb.429:
	v_cmp_ne_u32_e32 vcc_lo, 1, v34
	s_cbranch_vccnz .LBB20_431
; %bb.430:
	v_cmp_eq_u32_e32 vcc_lo, 1, v0
	ds_load_b32 v24, v111
	v_cndmask_b32_e32 v23, v2, v3, vcc_lo
	v_cmp_eq_u32_e32 vcc_lo, 2, v0
	s_delay_alu instid0(VALU_DEP_2) | instskip(SKIP_1) | instid1(VALU_DEP_2)
	v_cndmask_b32_e32 v23, v23, v4, vcc_lo
	v_cmp_eq_u32_e32 vcc_lo, 3, v0
	v_cndmask_b32_e32 v23, v23, v5, vcc_lo
	v_cmp_eq_u32_e32 vcc_lo, 4, v0
	s_delay_alu instid0(VALU_DEP_2) | instskip(SKIP_1) | instid1(VALU_DEP_2)
	v_cndmask_b32_e32 v23, v23, v6, vcc_lo
	v_cmp_eq_u32_e32 vcc_lo, 5, v0
	;; [unrolled: 5-line block ×9, first 2 shown]
	v_cndmask_b32_e32 v23, v23, v21, vcc_lo
	v_cmp_eq_u32_e32 vcc_lo, 20, v0
	s_delay_alu instid0(VALU_DEP_2) | instskip(SKIP_1) | instid1(VALU_DEP_1)
	v_cndmask_b32_e32 v23, v23, v22, vcc_lo
	s_wait_dscnt 0x0
	v_mul_f32_e32 v23, v23, v24
	s_cbranch_execz .LBB20_432
	s_branch .LBB20_433
.LBB20_431:
                                        ; implicit-def: $vgpr23
.LBB20_432:
	ds_load_b32 v23, v111
.LBB20_433:
	s_mov_b32 s1, exec_lo
	v_cmpx_ne_u32_e32 12, v0
	s_cbranch_execz .LBB20_437
; %bb.434:
	v_mov_b64_e32 v[24:25], v[0:1]
	v_lshl_add_u32 v26, v0, 2, 0x64
	s_mov_b32 s2, 0
.LBB20_435:                             ; =>This Inner Loop Header: Depth=1
	s_delay_alu instid0(VALU_DEP_2)
	v_add_nc_u64_e32 v[24:25], 1, v[24:25]
	ds_load_b32 v28, v26
	v_add_nc_u32_e32 v26, 4, v26
	v_cmp_eq_u32_e32 vcc_lo, 1, v24
	v_cndmask_b32_e32 v27, v2, v3, vcc_lo
	v_cmp_eq_u32_e32 vcc_lo, 2, v24
	s_delay_alu instid0(VALU_DEP_2) | instskip(SKIP_1) | instid1(VALU_DEP_2)
	v_cndmask_b32_e32 v27, v27, v4, vcc_lo
	v_cmp_eq_u32_e32 vcc_lo, 3, v24
	v_cndmask_b32_e32 v27, v27, v5, vcc_lo
	v_cmp_eq_u32_e32 vcc_lo, 4, v24
	s_delay_alu instid0(VALU_DEP_2) | instskip(SKIP_1) | instid1(VALU_DEP_2)
	v_cndmask_b32_e32 v27, v27, v6, vcc_lo
	;; [unrolled: 5-line block ×9, first 2 shown]
	v_cmp_eq_u32_e32 vcc_lo, 19, v24
	v_cndmask_b32_e32 v27, v27, v21, vcc_lo
	v_cmp_eq_u32_e32 vcc_lo, 20, v24
	s_delay_alu instid0(VALU_DEP_2) | instskip(SKIP_2) | instid1(VALU_DEP_2)
	v_cndmask_b32_e32 v27, v27, v22, vcc_lo
	v_cmp_lt_u32_e32 vcc_lo, 11, v24
	s_wait_dscnt 0x0
	v_fmac_f32_e32 v23, v27, v28
	s_or_b32 s2, vcc_lo, s2
	s_delay_alu instid0(SALU_CYCLE_1)
	s_and_not1_b32 exec_lo, exec_lo, s2
	s_cbranch_execnz .LBB20_435
; %bb.436:
	s_or_b32 exec_lo, exec_lo, s2
.LBB20_437:
	s_delay_alu instid0(SALU_CYCLE_1)
	s_or_b32 exec_lo, exec_lo, s1
	v_mov_b32_e32 v15, 0
	ds_load_b32 v15, v15 offset:52
	s_wait_dscnt 0x0
	v_mul_f32_e32 v15, v23, v15
.LBB20_438:
	s_or_b32 exec_lo, exec_lo, s0
	s_delay_alu instid0(SALU_CYCLE_1)
	s_mov_b32 s0, exec_lo
	ds_store_b32 v111, v16
	s_wait_dscnt 0x0
	s_barrier_signal -1
	s_barrier_wait -1
	v_cmpx_gt_u32_e32 14, v0
	s_cbranch_execz .LBB20_448
; %bb.439:
	v_cmp_ne_u32_e32 vcc_lo, 1, v34
	s_cbranch_vccnz .LBB20_441
; %bb.440:
	v_cmp_eq_u32_e32 vcc_lo, 1, v0
	ds_load_b32 v24, v111
	v_cndmask_b32_e32 v23, v2, v3, vcc_lo
	v_cmp_eq_u32_e32 vcc_lo, 2, v0
	s_delay_alu instid0(VALU_DEP_2) | instskip(SKIP_1) | instid1(VALU_DEP_2)
	v_cndmask_b32_e32 v23, v23, v4, vcc_lo
	v_cmp_eq_u32_e32 vcc_lo, 3, v0
	v_cndmask_b32_e32 v23, v23, v5, vcc_lo
	v_cmp_eq_u32_e32 vcc_lo, 4, v0
	s_delay_alu instid0(VALU_DEP_2) | instskip(SKIP_1) | instid1(VALU_DEP_2)
	v_cndmask_b32_e32 v23, v23, v6, vcc_lo
	v_cmp_eq_u32_e32 vcc_lo, 5, v0
	;; [unrolled: 5-line block ×9, first 2 shown]
	v_cndmask_b32_e32 v23, v23, v21, vcc_lo
	v_cmp_eq_u32_e32 vcc_lo, 20, v0
	s_delay_alu instid0(VALU_DEP_2) | instskip(SKIP_1) | instid1(VALU_DEP_1)
	v_cndmask_b32_e32 v23, v23, v22, vcc_lo
	s_wait_dscnt 0x0
	v_mul_f32_e32 v23, v23, v24
	s_cbranch_execz .LBB20_442
	s_branch .LBB20_443
.LBB20_441:
                                        ; implicit-def: $vgpr23
.LBB20_442:
	ds_load_b32 v23, v111
.LBB20_443:
	s_mov_b32 s1, exec_lo
	v_cmpx_ne_u32_e32 13, v0
	s_cbranch_execz .LBB20_447
; %bb.444:
	v_mov_b64_e32 v[24:25], v[0:1]
	v_lshl_add_u32 v26, v0, 2, 0x64
	s_mov_b32 s2, 0
.LBB20_445:                             ; =>This Inner Loop Header: Depth=1
	s_delay_alu instid0(VALU_DEP_2)
	v_add_nc_u64_e32 v[24:25], 1, v[24:25]
	ds_load_b32 v28, v26
	v_add_nc_u32_e32 v26, 4, v26
	v_cmp_eq_u32_e32 vcc_lo, 1, v24
	v_cndmask_b32_e32 v27, v2, v3, vcc_lo
	v_cmp_eq_u32_e32 vcc_lo, 2, v24
	s_delay_alu instid0(VALU_DEP_2) | instskip(SKIP_1) | instid1(VALU_DEP_2)
	v_cndmask_b32_e32 v27, v27, v4, vcc_lo
	v_cmp_eq_u32_e32 vcc_lo, 3, v24
	v_cndmask_b32_e32 v27, v27, v5, vcc_lo
	v_cmp_eq_u32_e32 vcc_lo, 4, v24
	s_delay_alu instid0(VALU_DEP_2) | instskip(SKIP_1) | instid1(VALU_DEP_2)
	v_cndmask_b32_e32 v27, v27, v6, vcc_lo
	;; [unrolled: 5-line block ×9, first 2 shown]
	v_cmp_eq_u32_e32 vcc_lo, 19, v24
	v_cndmask_b32_e32 v27, v27, v21, vcc_lo
	v_cmp_eq_u32_e32 vcc_lo, 20, v24
	s_delay_alu instid0(VALU_DEP_2) | instskip(SKIP_2) | instid1(VALU_DEP_2)
	v_cndmask_b32_e32 v27, v27, v22, vcc_lo
	v_cmp_lt_u32_e32 vcc_lo, 12, v24
	s_wait_dscnt 0x0
	v_fmac_f32_e32 v23, v27, v28
	s_or_b32 s2, vcc_lo, s2
	s_delay_alu instid0(SALU_CYCLE_1)
	s_and_not1_b32 exec_lo, exec_lo, s2
	s_cbranch_execnz .LBB20_445
; %bb.446:
	s_or_b32 exec_lo, exec_lo, s2
.LBB20_447:
	s_delay_alu instid0(SALU_CYCLE_1)
	s_or_b32 exec_lo, exec_lo, s1
	v_mov_b32_e32 v16, 0
	ds_load_b32 v16, v16 offset:56
	s_wait_dscnt 0x0
	v_mul_f32_e32 v16, v23, v16
.LBB20_448:
	s_or_b32 exec_lo, exec_lo, s0
	s_delay_alu instid0(SALU_CYCLE_1)
	s_mov_b32 s0, exec_lo
	ds_store_b32 v111, v17
	s_wait_dscnt 0x0
	s_barrier_signal -1
	s_barrier_wait -1
	v_cmpx_gt_u32_e32 15, v0
	s_cbranch_execz .LBB20_458
; %bb.449:
	v_cmp_ne_u32_e32 vcc_lo, 1, v34
	s_cbranch_vccnz .LBB20_451
; %bb.450:
	v_cmp_eq_u32_e32 vcc_lo, 1, v0
	ds_load_b32 v24, v111
	v_cndmask_b32_e32 v23, v2, v3, vcc_lo
	v_cmp_eq_u32_e32 vcc_lo, 2, v0
	s_delay_alu instid0(VALU_DEP_2) | instskip(SKIP_1) | instid1(VALU_DEP_2)
	v_cndmask_b32_e32 v23, v23, v4, vcc_lo
	v_cmp_eq_u32_e32 vcc_lo, 3, v0
	v_cndmask_b32_e32 v23, v23, v5, vcc_lo
	v_cmp_eq_u32_e32 vcc_lo, 4, v0
	s_delay_alu instid0(VALU_DEP_2) | instskip(SKIP_1) | instid1(VALU_DEP_2)
	v_cndmask_b32_e32 v23, v23, v6, vcc_lo
	v_cmp_eq_u32_e32 vcc_lo, 5, v0
	;; [unrolled: 5-line block ×9, first 2 shown]
	v_cndmask_b32_e32 v23, v23, v21, vcc_lo
	v_cmp_eq_u32_e32 vcc_lo, 20, v0
	s_delay_alu instid0(VALU_DEP_2) | instskip(SKIP_1) | instid1(VALU_DEP_1)
	v_cndmask_b32_e32 v23, v23, v22, vcc_lo
	s_wait_dscnt 0x0
	v_mul_f32_e32 v23, v23, v24
	s_cbranch_execz .LBB20_452
	s_branch .LBB20_453
.LBB20_451:
                                        ; implicit-def: $vgpr23
.LBB20_452:
	ds_load_b32 v23, v111
.LBB20_453:
	s_mov_b32 s1, exec_lo
	v_cmpx_ne_u32_e32 14, v0
	s_cbranch_execz .LBB20_457
; %bb.454:
	v_mov_b64_e32 v[24:25], v[0:1]
	v_lshl_add_u32 v26, v0, 2, 0x64
	s_mov_b32 s2, 0
.LBB20_455:                             ; =>This Inner Loop Header: Depth=1
	s_delay_alu instid0(VALU_DEP_2)
	v_add_nc_u64_e32 v[24:25], 1, v[24:25]
	ds_load_b32 v28, v26
	v_add_nc_u32_e32 v26, 4, v26
	v_cmp_eq_u32_e32 vcc_lo, 1, v24
	v_cndmask_b32_e32 v27, v2, v3, vcc_lo
	v_cmp_eq_u32_e32 vcc_lo, 2, v24
	s_delay_alu instid0(VALU_DEP_2) | instskip(SKIP_1) | instid1(VALU_DEP_2)
	v_cndmask_b32_e32 v27, v27, v4, vcc_lo
	v_cmp_eq_u32_e32 vcc_lo, 3, v24
	v_cndmask_b32_e32 v27, v27, v5, vcc_lo
	v_cmp_eq_u32_e32 vcc_lo, 4, v24
	s_delay_alu instid0(VALU_DEP_2) | instskip(SKIP_1) | instid1(VALU_DEP_2)
	v_cndmask_b32_e32 v27, v27, v6, vcc_lo
	;; [unrolled: 5-line block ×9, first 2 shown]
	v_cmp_eq_u32_e32 vcc_lo, 19, v24
	v_cndmask_b32_e32 v27, v27, v21, vcc_lo
	v_cmp_eq_u32_e32 vcc_lo, 20, v24
	s_delay_alu instid0(VALU_DEP_2) | instskip(SKIP_2) | instid1(VALU_DEP_2)
	v_cndmask_b32_e32 v27, v27, v22, vcc_lo
	v_cmp_lt_u32_e32 vcc_lo, 13, v24
	s_wait_dscnt 0x0
	v_fmac_f32_e32 v23, v27, v28
	s_or_b32 s2, vcc_lo, s2
	s_delay_alu instid0(SALU_CYCLE_1)
	s_and_not1_b32 exec_lo, exec_lo, s2
	s_cbranch_execnz .LBB20_455
; %bb.456:
	s_or_b32 exec_lo, exec_lo, s2
.LBB20_457:
	s_delay_alu instid0(SALU_CYCLE_1)
	s_or_b32 exec_lo, exec_lo, s1
	v_mov_b32_e32 v17, 0
	ds_load_b32 v17, v17 offset:60
	s_wait_dscnt 0x0
	v_mul_f32_e32 v17, v23, v17
.LBB20_458:
	s_or_b32 exec_lo, exec_lo, s0
	s_delay_alu instid0(SALU_CYCLE_1)
	s_mov_b32 s0, exec_lo
	ds_store_b32 v111, v18
	s_wait_dscnt 0x0
	s_barrier_signal -1
	s_barrier_wait -1
	v_cmpx_gt_u32_e32 16, v0
	s_cbranch_execz .LBB20_468
; %bb.459:
	v_cmp_ne_u32_e32 vcc_lo, 1, v34
	s_cbranch_vccnz .LBB20_461
; %bb.460:
	v_cmp_eq_u32_e32 vcc_lo, 1, v0
	ds_load_b32 v24, v111
	v_cndmask_b32_e32 v23, v2, v3, vcc_lo
	v_cmp_eq_u32_e32 vcc_lo, 2, v0
	s_delay_alu instid0(VALU_DEP_2) | instskip(SKIP_1) | instid1(VALU_DEP_2)
	v_cndmask_b32_e32 v23, v23, v4, vcc_lo
	v_cmp_eq_u32_e32 vcc_lo, 3, v0
	v_cndmask_b32_e32 v23, v23, v5, vcc_lo
	v_cmp_eq_u32_e32 vcc_lo, 4, v0
	s_delay_alu instid0(VALU_DEP_2) | instskip(SKIP_1) | instid1(VALU_DEP_2)
	v_cndmask_b32_e32 v23, v23, v6, vcc_lo
	v_cmp_eq_u32_e32 vcc_lo, 5, v0
	;; [unrolled: 5-line block ×9, first 2 shown]
	v_cndmask_b32_e32 v23, v23, v21, vcc_lo
	v_cmp_eq_u32_e32 vcc_lo, 20, v0
	s_delay_alu instid0(VALU_DEP_2) | instskip(SKIP_1) | instid1(VALU_DEP_1)
	v_cndmask_b32_e32 v23, v23, v22, vcc_lo
	s_wait_dscnt 0x0
	v_mul_f32_e32 v23, v23, v24
	s_cbranch_execz .LBB20_462
	s_branch .LBB20_463
.LBB20_461:
                                        ; implicit-def: $vgpr23
.LBB20_462:
	ds_load_b32 v23, v111
.LBB20_463:
	s_mov_b32 s1, exec_lo
	v_cmpx_ne_u32_e32 15, v0
	s_cbranch_execz .LBB20_467
; %bb.464:
	v_mov_b64_e32 v[24:25], v[0:1]
	v_lshl_add_u32 v26, v0, 2, 0x64
	s_mov_b32 s2, 0
.LBB20_465:                             ; =>This Inner Loop Header: Depth=1
	s_delay_alu instid0(VALU_DEP_2)
	v_add_nc_u64_e32 v[24:25], 1, v[24:25]
	ds_load_b32 v28, v26
	v_add_nc_u32_e32 v26, 4, v26
	v_cmp_eq_u32_e32 vcc_lo, 1, v24
	v_cndmask_b32_e32 v27, v2, v3, vcc_lo
	v_cmp_eq_u32_e32 vcc_lo, 2, v24
	s_delay_alu instid0(VALU_DEP_2) | instskip(SKIP_1) | instid1(VALU_DEP_2)
	v_cndmask_b32_e32 v27, v27, v4, vcc_lo
	v_cmp_eq_u32_e32 vcc_lo, 3, v24
	v_cndmask_b32_e32 v27, v27, v5, vcc_lo
	v_cmp_eq_u32_e32 vcc_lo, 4, v24
	s_delay_alu instid0(VALU_DEP_2) | instskip(SKIP_1) | instid1(VALU_DEP_2)
	v_cndmask_b32_e32 v27, v27, v6, vcc_lo
	;; [unrolled: 5-line block ×9, first 2 shown]
	v_cmp_eq_u32_e32 vcc_lo, 19, v24
	v_cndmask_b32_e32 v27, v27, v21, vcc_lo
	v_cmp_eq_u32_e32 vcc_lo, 20, v24
	s_delay_alu instid0(VALU_DEP_2) | instskip(SKIP_2) | instid1(VALU_DEP_2)
	v_cndmask_b32_e32 v27, v27, v22, vcc_lo
	v_cmp_lt_u32_e32 vcc_lo, 14, v24
	s_wait_dscnt 0x0
	v_fmac_f32_e32 v23, v27, v28
	s_or_b32 s2, vcc_lo, s2
	s_delay_alu instid0(SALU_CYCLE_1)
	s_and_not1_b32 exec_lo, exec_lo, s2
	s_cbranch_execnz .LBB20_465
; %bb.466:
	s_or_b32 exec_lo, exec_lo, s2
.LBB20_467:
	s_delay_alu instid0(SALU_CYCLE_1)
	s_or_b32 exec_lo, exec_lo, s1
	v_mov_b32_e32 v18, 0
	ds_load_b32 v18, v18 offset:64
	s_wait_dscnt 0x0
	v_mul_f32_e32 v18, v23, v18
.LBB20_468:
	s_or_b32 exec_lo, exec_lo, s0
	s_delay_alu instid0(SALU_CYCLE_1)
	s_mov_b32 s0, exec_lo
	ds_store_b32 v111, v19
	s_wait_dscnt 0x0
	s_barrier_signal -1
	s_barrier_wait -1
	v_cmpx_gt_u32_e32 17, v0
	s_cbranch_execz .LBB20_478
; %bb.469:
	v_cmp_ne_u32_e32 vcc_lo, 1, v34
	s_cbranch_vccnz .LBB20_471
; %bb.470:
	v_cmp_eq_u32_e32 vcc_lo, 1, v0
	ds_load_b32 v24, v111
	v_cndmask_b32_e32 v23, v2, v3, vcc_lo
	v_cmp_eq_u32_e32 vcc_lo, 2, v0
	s_delay_alu instid0(VALU_DEP_2) | instskip(SKIP_1) | instid1(VALU_DEP_2)
	v_cndmask_b32_e32 v23, v23, v4, vcc_lo
	v_cmp_eq_u32_e32 vcc_lo, 3, v0
	v_cndmask_b32_e32 v23, v23, v5, vcc_lo
	v_cmp_eq_u32_e32 vcc_lo, 4, v0
	s_delay_alu instid0(VALU_DEP_2) | instskip(SKIP_1) | instid1(VALU_DEP_2)
	v_cndmask_b32_e32 v23, v23, v6, vcc_lo
	v_cmp_eq_u32_e32 vcc_lo, 5, v0
	;; [unrolled: 5-line block ×9, first 2 shown]
	v_cndmask_b32_e32 v23, v23, v21, vcc_lo
	v_cmp_eq_u32_e32 vcc_lo, 20, v0
	s_delay_alu instid0(VALU_DEP_2) | instskip(SKIP_1) | instid1(VALU_DEP_1)
	v_cndmask_b32_e32 v23, v23, v22, vcc_lo
	s_wait_dscnt 0x0
	v_mul_f32_e32 v23, v23, v24
	s_cbranch_execz .LBB20_472
	s_branch .LBB20_473
.LBB20_471:
                                        ; implicit-def: $vgpr23
.LBB20_472:
	ds_load_b32 v23, v111
.LBB20_473:
	s_mov_b32 s1, exec_lo
	v_cmpx_ne_u32_e32 16, v0
	s_cbranch_execz .LBB20_477
; %bb.474:
	v_mov_b64_e32 v[24:25], v[0:1]
	v_lshl_add_u32 v26, v0, 2, 0x64
	s_mov_b32 s2, 0
.LBB20_475:                             ; =>This Inner Loop Header: Depth=1
	s_delay_alu instid0(VALU_DEP_2)
	v_add_nc_u64_e32 v[24:25], 1, v[24:25]
	ds_load_b32 v28, v26
	v_add_nc_u32_e32 v26, 4, v26
	v_cmp_eq_u32_e32 vcc_lo, 1, v24
	v_cndmask_b32_e32 v27, v2, v3, vcc_lo
	v_cmp_eq_u32_e32 vcc_lo, 2, v24
	s_delay_alu instid0(VALU_DEP_2) | instskip(SKIP_1) | instid1(VALU_DEP_2)
	v_cndmask_b32_e32 v27, v27, v4, vcc_lo
	v_cmp_eq_u32_e32 vcc_lo, 3, v24
	v_cndmask_b32_e32 v27, v27, v5, vcc_lo
	v_cmp_eq_u32_e32 vcc_lo, 4, v24
	s_delay_alu instid0(VALU_DEP_2) | instskip(SKIP_1) | instid1(VALU_DEP_2)
	v_cndmask_b32_e32 v27, v27, v6, vcc_lo
	;; [unrolled: 5-line block ×9, first 2 shown]
	v_cmp_eq_u32_e32 vcc_lo, 19, v24
	v_cndmask_b32_e32 v27, v27, v21, vcc_lo
	v_cmp_eq_u32_e32 vcc_lo, 20, v24
	s_delay_alu instid0(VALU_DEP_2) | instskip(SKIP_2) | instid1(VALU_DEP_2)
	v_cndmask_b32_e32 v27, v27, v22, vcc_lo
	v_cmp_lt_u32_e32 vcc_lo, 15, v24
	s_wait_dscnt 0x0
	v_fmac_f32_e32 v23, v27, v28
	s_or_b32 s2, vcc_lo, s2
	s_delay_alu instid0(SALU_CYCLE_1)
	s_and_not1_b32 exec_lo, exec_lo, s2
	s_cbranch_execnz .LBB20_475
; %bb.476:
	s_or_b32 exec_lo, exec_lo, s2
.LBB20_477:
	s_delay_alu instid0(SALU_CYCLE_1)
	s_or_b32 exec_lo, exec_lo, s1
	v_mov_b32_e32 v19, 0
	ds_load_b32 v19, v19 offset:68
	s_wait_dscnt 0x0
	v_mul_f32_e32 v19, v23, v19
.LBB20_478:
	s_or_b32 exec_lo, exec_lo, s0
	s_delay_alu instid0(SALU_CYCLE_1)
	s_mov_b32 s0, exec_lo
	ds_store_b32 v111, v20
	s_wait_dscnt 0x0
	s_barrier_signal -1
	s_barrier_wait -1
	v_cmpx_gt_u32_e32 18, v0
	s_cbranch_execz .LBB20_488
; %bb.479:
	v_cmp_ne_u32_e32 vcc_lo, 1, v34
	s_cbranch_vccnz .LBB20_481
; %bb.480:
	v_cmp_eq_u32_e32 vcc_lo, 1, v0
	ds_load_b32 v24, v111
	v_cndmask_b32_e32 v23, v2, v3, vcc_lo
	v_cmp_eq_u32_e32 vcc_lo, 2, v0
	s_delay_alu instid0(VALU_DEP_2) | instskip(SKIP_1) | instid1(VALU_DEP_2)
	v_cndmask_b32_e32 v23, v23, v4, vcc_lo
	v_cmp_eq_u32_e32 vcc_lo, 3, v0
	v_cndmask_b32_e32 v23, v23, v5, vcc_lo
	v_cmp_eq_u32_e32 vcc_lo, 4, v0
	s_delay_alu instid0(VALU_DEP_2) | instskip(SKIP_1) | instid1(VALU_DEP_2)
	v_cndmask_b32_e32 v23, v23, v6, vcc_lo
	v_cmp_eq_u32_e32 vcc_lo, 5, v0
	;; [unrolled: 5-line block ×9, first 2 shown]
	v_cndmask_b32_e32 v23, v23, v21, vcc_lo
	v_cmp_eq_u32_e32 vcc_lo, 20, v0
	s_delay_alu instid0(VALU_DEP_2) | instskip(SKIP_1) | instid1(VALU_DEP_1)
	v_cndmask_b32_e32 v23, v23, v22, vcc_lo
	s_wait_dscnt 0x0
	v_mul_f32_e32 v23, v23, v24
	s_cbranch_execz .LBB20_482
	s_branch .LBB20_483
.LBB20_481:
                                        ; implicit-def: $vgpr23
.LBB20_482:
	ds_load_b32 v23, v111
.LBB20_483:
	s_mov_b32 s1, exec_lo
	v_cmpx_ne_u32_e32 17, v0
	s_cbranch_execz .LBB20_487
; %bb.484:
	v_mov_b64_e32 v[24:25], v[0:1]
	v_lshl_add_u32 v26, v0, 2, 0x64
	s_mov_b32 s2, 0
.LBB20_485:                             ; =>This Inner Loop Header: Depth=1
	s_delay_alu instid0(VALU_DEP_2)
	v_add_nc_u64_e32 v[24:25], 1, v[24:25]
	ds_load_b32 v28, v26
	v_add_nc_u32_e32 v26, 4, v26
	v_cmp_eq_u32_e32 vcc_lo, 1, v24
	v_cndmask_b32_e32 v27, v2, v3, vcc_lo
	v_cmp_eq_u32_e32 vcc_lo, 2, v24
	s_delay_alu instid0(VALU_DEP_2) | instskip(SKIP_1) | instid1(VALU_DEP_2)
	v_cndmask_b32_e32 v27, v27, v4, vcc_lo
	v_cmp_eq_u32_e32 vcc_lo, 3, v24
	v_cndmask_b32_e32 v27, v27, v5, vcc_lo
	v_cmp_eq_u32_e32 vcc_lo, 4, v24
	s_delay_alu instid0(VALU_DEP_2) | instskip(SKIP_1) | instid1(VALU_DEP_2)
	v_cndmask_b32_e32 v27, v27, v6, vcc_lo
	;; [unrolled: 5-line block ×9, first 2 shown]
	v_cmp_eq_u32_e32 vcc_lo, 19, v24
	v_cndmask_b32_e32 v27, v27, v21, vcc_lo
	v_cmp_eq_u32_e32 vcc_lo, 20, v24
	s_delay_alu instid0(VALU_DEP_2) | instskip(SKIP_2) | instid1(VALU_DEP_2)
	v_cndmask_b32_e32 v27, v27, v22, vcc_lo
	v_cmp_lt_u32_e32 vcc_lo, 16, v24
	s_wait_dscnt 0x0
	v_fmac_f32_e32 v23, v27, v28
	s_or_b32 s2, vcc_lo, s2
	s_delay_alu instid0(SALU_CYCLE_1)
	s_and_not1_b32 exec_lo, exec_lo, s2
	s_cbranch_execnz .LBB20_485
; %bb.486:
	s_or_b32 exec_lo, exec_lo, s2
.LBB20_487:
	s_delay_alu instid0(SALU_CYCLE_1)
	s_or_b32 exec_lo, exec_lo, s1
	v_mov_b32_e32 v20, 0
	ds_load_b32 v20, v20 offset:72
	s_wait_dscnt 0x0
	v_mul_f32_e32 v20, v23, v20
.LBB20_488:
	s_or_b32 exec_lo, exec_lo, s0
	v_cmp_gt_u32_e64 s0, 19, v0
	ds_store_b32 v111, v21
	s_wait_dscnt 0x0
	s_barrier_signal -1
	s_barrier_wait -1
	s_and_saveexec_b32 s1, s0
	s_cbranch_execz .LBB20_498
; %bb.489:
	v_cmp_ne_u32_e32 vcc_lo, 1, v34
	s_cbranch_vccnz .LBB20_491
; %bb.490:
	v_cmp_eq_u32_e32 vcc_lo, 1, v0
	ds_load_b32 v24, v111
	v_cndmask_b32_e32 v23, v2, v3, vcc_lo
	v_cmp_eq_u32_e32 vcc_lo, 2, v0
	s_delay_alu instid0(VALU_DEP_2) | instskip(SKIP_1) | instid1(VALU_DEP_2)
	v_cndmask_b32_e32 v23, v23, v4, vcc_lo
	v_cmp_eq_u32_e32 vcc_lo, 3, v0
	v_cndmask_b32_e32 v23, v23, v5, vcc_lo
	v_cmp_eq_u32_e32 vcc_lo, 4, v0
	s_delay_alu instid0(VALU_DEP_2) | instskip(SKIP_1) | instid1(VALU_DEP_2)
	v_cndmask_b32_e32 v23, v23, v6, vcc_lo
	v_cmp_eq_u32_e32 vcc_lo, 5, v0
	v_cndmask_b32_e32 v23, v23, v7, vcc_lo
	v_cmp_eq_u32_e32 vcc_lo, 6, v0
	s_delay_alu instid0(VALU_DEP_2) | instskip(SKIP_1) | instid1(VALU_DEP_2)
	v_cndmask_b32_e32 v23, v23, v8, vcc_lo
	v_cmp_eq_u32_e32 vcc_lo, 7, v0
	v_cndmask_b32_e32 v23, v23, v9, vcc_lo
	v_cmp_eq_u32_e32 vcc_lo, 8, v0
	s_delay_alu instid0(VALU_DEP_2) | instskip(SKIP_1) | instid1(VALU_DEP_2)
	v_cndmask_b32_e32 v23, v23, v10, vcc_lo
	v_cmp_eq_u32_e32 vcc_lo, 9, v0
	v_cndmask_b32_e32 v23, v23, v11, vcc_lo
	v_cmp_eq_u32_e32 vcc_lo, 10, v0
	s_delay_alu instid0(VALU_DEP_2) | instskip(SKIP_1) | instid1(VALU_DEP_2)
	v_cndmask_b32_e32 v23, v23, v12, vcc_lo
	v_cmp_eq_u32_e32 vcc_lo, 11, v0
	v_cndmask_b32_e32 v23, v23, v13, vcc_lo
	v_cmp_eq_u32_e32 vcc_lo, 12, v0
	s_delay_alu instid0(VALU_DEP_2) | instskip(SKIP_1) | instid1(VALU_DEP_2)
	v_cndmask_b32_e32 v23, v23, v14, vcc_lo
	v_cmp_eq_u32_e32 vcc_lo, 13, v0
	v_cndmask_b32_e32 v23, v23, v15, vcc_lo
	v_cmp_eq_u32_e32 vcc_lo, 14, v0
	s_delay_alu instid0(VALU_DEP_2) | instskip(SKIP_1) | instid1(VALU_DEP_2)
	v_cndmask_b32_e32 v23, v23, v16, vcc_lo
	v_cmp_eq_u32_e32 vcc_lo, 15, v0
	v_cndmask_b32_e32 v23, v23, v17, vcc_lo
	v_cmp_eq_u32_e32 vcc_lo, 16, v0
	s_delay_alu instid0(VALU_DEP_2) | instskip(SKIP_1) | instid1(VALU_DEP_2)
	v_cndmask_b32_e32 v23, v23, v18, vcc_lo
	v_cmp_eq_u32_e32 vcc_lo, 17, v0
	v_cndmask_b32_e32 v23, v23, v19, vcc_lo
	v_cmp_eq_u32_e32 vcc_lo, 18, v0
	s_delay_alu instid0(VALU_DEP_2) | instskip(SKIP_1) | instid1(VALU_DEP_2)
	v_cndmask_b32_e32 v23, v23, v20, vcc_lo
	v_cmp_eq_u32_e32 vcc_lo, 19, v0
	v_cndmask_b32_e32 v23, v23, v21, vcc_lo
	v_cmp_eq_u32_e32 vcc_lo, 20, v0
	s_delay_alu instid0(VALU_DEP_2) | instskip(SKIP_1) | instid1(VALU_DEP_1)
	v_cndmask_b32_e32 v23, v23, v22, vcc_lo
	s_wait_dscnt 0x0
	v_mul_f32_e32 v23, v23, v24
	s_cbranch_execz .LBB20_492
	s_branch .LBB20_493
.LBB20_491:
                                        ; implicit-def: $vgpr23
.LBB20_492:
	ds_load_b32 v23, v111
.LBB20_493:
	s_mov_b32 s2, exec_lo
	v_cmpx_ne_u32_e32 18, v0
	s_cbranch_execz .LBB20_497
; %bb.494:
	v_mov_b64_e32 v[24:25], v[0:1]
	v_lshl_add_u32 v26, v0, 2, 0x64
	s_mov_b32 s3, 0
.LBB20_495:                             ; =>This Inner Loop Header: Depth=1
	s_delay_alu instid0(VALU_DEP_2)
	v_add_nc_u64_e32 v[24:25], 1, v[24:25]
	ds_load_b32 v28, v26
	v_add_nc_u32_e32 v26, 4, v26
	v_cmp_eq_u32_e32 vcc_lo, 1, v24
	v_cndmask_b32_e32 v27, v2, v3, vcc_lo
	v_cmp_eq_u32_e32 vcc_lo, 2, v24
	s_delay_alu instid0(VALU_DEP_2) | instskip(SKIP_1) | instid1(VALU_DEP_2)
	v_cndmask_b32_e32 v27, v27, v4, vcc_lo
	v_cmp_eq_u32_e32 vcc_lo, 3, v24
	v_cndmask_b32_e32 v27, v27, v5, vcc_lo
	v_cmp_eq_u32_e32 vcc_lo, 4, v24
	s_delay_alu instid0(VALU_DEP_2) | instskip(SKIP_1) | instid1(VALU_DEP_2)
	v_cndmask_b32_e32 v27, v27, v6, vcc_lo
	;; [unrolled: 5-line block ×9, first 2 shown]
	v_cmp_eq_u32_e32 vcc_lo, 19, v24
	v_cndmask_b32_e32 v27, v27, v21, vcc_lo
	v_cmp_eq_u32_e32 vcc_lo, 20, v24
	s_delay_alu instid0(VALU_DEP_2) | instskip(SKIP_2) | instid1(VALU_DEP_2)
	v_cndmask_b32_e32 v27, v27, v22, vcc_lo
	v_cmp_lt_u32_e32 vcc_lo, 17, v24
	s_wait_dscnt 0x0
	v_fmac_f32_e32 v23, v27, v28
	s_or_b32 s3, vcc_lo, s3
	s_delay_alu instid0(SALU_CYCLE_1)
	s_and_not1_b32 exec_lo, exec_lo, s3
	s_cbranch_execnz .LBB20_495
; %bb.496:
	s_or_b32 exec_lo, exec_lo, s3
.LBB20_497:
	s_delay_alu instid0(SALU_CYCLE_1)
	s_or_b32 exec_lo, exec_lo, s2
	v_mov_b32_e32 v21, 0
	ds_load_b32 v21, v21 offset:76
	s_wait_dscnt 0x0
	v_mul_f32_e32 v21, v23, v21
.LBB20_498:
	s_or_b32 exec_lo, exec_lo, s1
	s_delay_alu instid0(SALU_CYCLE_1)
	s_mov_b32 s1, exec_lo
	ds_store_b32 v111, v22
	s_wait_dscnt 0x0
	s_barrier_signal -1
	s_barrier_wait -1
	v_cmpx_ne_u32_e32 20, v0
	s_cbranch_execz .LBB20_508
; %bb.499:
	v_cmp_ne_u32_e32 vcc_lo, 1, v34
	s_cbranch_vccnz .LBB20_501
; %bb.500:
	v_cmp_eq_u32_e32 vcc_lo, 1, v0
	ds_load_b32 v24, v111
	v_cndmask_b32_e32 v23, v2, v3, vcc_lo
	v_cmp_eq_u32_e32 vcc_lo, 2, v0
	s_delay_alu instid0(VALU_DEP_2) | instskip(SKIP_1) | instid1(VALU_DEP_2)
	v_cndmask_b32_e32 v23, v23, v4, vcc_lo
	v_cmp_eq_u32_e32 vcc_lo, 3, v0
	v_cndmask_b32_e32 v23, v23, v5, vcc_lo
	v_cmp_eq_u32_e32 vcc_lo, 4, v0
	s_delay_alu instid0(VALU_DEP_2) | instskip(SKIP_1) | instid1(VALU_DEP_2)
	v_cndmask_b32_e32 v23, v23, v6, vcc_lo
	v_cmp_eq_u32_e32 vcc_lo, 5, v0
	;; [unrolled: 5-line block ×9, first 2 shown]
	v_cndmask_b32_e32 v23, v23, v21, vcc_lo
	v_cmp_eq_u32_e32 vcc_lo, 20, v0
	s_delay_alu instid0(VALU_DEP_2) | instskip(SKIP_1) | instid1(VALU_DEP_1)
	v_cndmask_b32_e32 v23, v23, v22, vcc_lo
	s_wait_dscnt 0x0
	v_mul_f32_e32 v23, v23, v24
	s_cbranch_execz .LBB20_502
	s_branch .LBB20_503
.LBB20_501:
                                        ; implicit-def: $vgpr23
.LBB20_502:
	ds_load_b32 v23, v111
.LBB20_503:
	s_and_saveexec_b32 s2, s0
	s_cbranch_execz .LBB20_507
; %bb.504:
	v_lshl_add_u32 v24, v0, 2, 0x64
	s_mov_b32 s0, 0
.LBB20_505:                             ; =>This Inner Loop Header: Depth=1
	v_add_nc_u64_e32 v[0:1], 1, v[0:1]
	ds_load_b32 v26, v24
	v_add_nc_u32_e32 v24, 4, v24
	v_cmp_eq_u32_e32 vcc_lo, 1, v0
	v_cndmask_b32_e32 v25, v2, v3, vcc_lo
	v_cmp_eq_u32_e32 vcc_lo, 2, v0
	s_delay_alu instid0(VALU_DEP_2) | instskip(SKIP_1) | instid1(VALU_DEP_2)
	v_cndmask_b32_e32 v25, v25, v4, vcc_lo
	v_cmp_eq_u32_e32 vcc_lo, 3, v0
	v_cndmask_b32_e32 v25, v25, v5, vcc_lo
	v_cmp_eq_u32_e32 vcc_lo, 4, v0
	s_delay_alu instid0(VALU_DEP_2) | instskip(SKIP_1) | instid1(VALU_DEP_2)
	v_cndmask_b32_e32 v25, v25, v6, vcc_lo
	v_cmp_eq_u32_e32 vcc_lo, 5, v0
	v_cndmask_b32_e32 v25, v25, v7, vcc_lo
	v_cmp_eq_u32_e32 vcc_lo, 6, v0
	s_delay_alu instid0(VALU_DEP_2) | instskip(SKIP_1) | instid1(VALU_DEP_2)
	v_cndmask_b32_e32 v25, v25, v8, vcc_lo
	v_cmp_eq_u32_e32 vcc_lo, 7, v0
	v_cndmask_b32_e32 v25, v25, v9, vcc_lo
	v_cmp_eq_u32_e32 vcc_lo, 8, v0
	s_delay_alu instid0(VALU_DEP_2) | instskip(SKIP_1) | instid1(VALU_DEP_2)
	v_cndmask_b32_e32 v25, v25, v10, vcc_lo
	v_cmp_eq_u32_e32 vcc_lo, 9, v0
	v_cndmask_b32_e32 v25, v25, v11, vcc_lo
	v_cmp_eq_u32_e32 vcc_lo, 10, v0
	s_delay_alu instid0(VALU_DEP_2) | instskip(SKIP_1) | instid1(VALU_DEP_2)
	v_cndmask_b32_e32 v25, v25, v12, vcc_lo
	v_cmp_eq_u32_e32 vcc_lo, 11, v0
	v_cndmask_b32_e32 v25, v25, v13, vcc_lo
	v_cmp_eq_u32_e32 vcc_lo, 12, v0
	s_delay_alu instid0(VALU_DEP_2) | instskip(SKIP_1) | instid1(VALU_DEP_2)
	v_cndmask_b32_e32 v25, v25, v14, vcc_lo
	v_cmp_eq_u32_e32 vcc_lo, 13, v0
	v_cndmask_b32_e32 v25, v25, v15, vcc_lo
	v_cmp_eq_u32_e32 vcc_lo, 14, v0
	s_delay_alu instid0(VALU_DEP_2) | instskip(SKIP_1) | instid1(VALU_DEP_2)
	v_cndmask_b32_e32 v25, v25, v16, vcc_lo
	v_cmp_eq_u32_e32 vcc_lo, 15, v0
	v_cndmask_b32_e32 v25, v25, v17, vcc_lo
	v_cmp_eq_u32_e32 vcc_lo, 16, v0
	s_delay_alu instid0(VALU_DEP_2) | instskip(SKIP_1) | instid1(VALU_DEP_2)
	v_cndmask_b32_e32 v25, v25, v18, vcc_lo
	v_cmp_eq_u32_e32 vcc_lo, 17, v0
	v_cndmask_b32_e32 v25, v25, v19, vcc_lo
	v_cmp_eq_u32_e32 vcc_lo, 18, v0
	s_delay_alu instid0(VALU_DEP_2) | instskip(SKIP_1) | instid1(VALU_DEP_2)
	v_cndmask_b32_e32 v25, v25, v20, vcc_lo
	v_cmp_eq_u32_e32 vcc_lo, 19, v0
	v_cndmask_b32_e32 v25, v25, v21, vcc_lo
	v_cmp_eq_u32_e32 vcc_lo, 20, v0
	s_delay_alu instid0(VALU_DEP_2) | instskip(SKIP_2) | instid1(VALU_DEP_2)
	v_cndmask_b32_e32 v25, v25, v22, vcc_lo
	v_cmp_lt_u32_e32 vcc_lo, 18, v0
	s_wait_dscnt 0x0
	v_fmac_f32_e32 v23, v25, v26
	s_or_b32 s0, vcc_lo, s0
	s_delay_alu instid0(SALU_CYCLE_1)
	s_and_not1_b32 exec_lo, exec_lo, s0
	s_cbranch_execnz .LBB20_505
; %bb.506:
	s_or_b32 exec_lo, exec_lo, s0
.LBB20_507:
	s_delay_alu instid0(SALU_CYCLE_1)
	s_or_b32 exec_lo, exec_lo, s2
	v_mov_b32_e32 v0, 0
	ds_load_b32 v0, v0 offset:80
	s_wait_dscnt 0x0
	v_mul_f32_e32 v22, v23, v0
.LBB20_508:
	s_or_b32 exec_lo, exec_lo, s1
	v_mov_b64_e32 v[64:65], v[32:33]
	s_delay_alu instid0(VALU_DEP_2)
	v_mov_b64_e32 v[54:55], v[22:23]
	v_mov_b64_e32 v[52:53], v[20:21]
	;; [unrolled: 1-line block ×15, first 2 shown]
.LBB20_509:
	s_wait_xcnt 0x4
	v_lshl_add_u64 v[0:1], v[66:67], 2, s[22:23]
	s_wait_loadcnt 0x4
	v_lshl_add_u64 v[2:3], v[68:69], 2, s[22:23]
	v_lshl_add_u64 v[4:5], v[70:71], 2, s[22:23]
	;; [unrolled: 1-line block ×8, first 2 shown]
	s_wait_loadcnt 0x3
	v_lshl_add_u64 v[18:19], v[84:85], 2, s[22:23]
	s_wait_loadcnt 0x1
	v_lshl_add_u64 v[20:21], v[86:87], 2, s[22:23]
	;; [unrolled: 2-line block ×3, first 2 shown]
	v_lshl_add_u64 v[24:25], v[92:93], 2, s[22:23]
	v_lshl_add_u64 v[26:27], v[96:97], 2, s[22:23]
	v_lshl_add_u64 v[28:29], v[98:99], 2, s[22:23]
	v_lshl_add_u64 v[30:31], v[100:101], 2, s[22:23]
	v_lshl_add_u64 v[32:33], v[102:103], 2, s[22:23]
	v_lshl_add_u64 v[56:57], v[104:105], 2, s[22:23]
	v_lshl_add_u64 v[58:59], v[106:107], 2, s[22:23]
	s_clause 0x14
	global_store_b32 v[90:91], v34, off
	global_store_b32 v[94:95], v35, off
	;; [unrolled: 1-line block ×21, first 2 shown]
.LBB20_510:
	s_sendmsg sendmsg(MSG_DEALLOC_VGPRS)
	s_endpgm
	.section	.rodata,"a",@progbits
	.p2align	6, 0x0
	.amdhsa_kernel _ZN9rocsolver6v33100L18trti2_kernel_smallILi21EfPfEEv13rocblas_fill_17rocblas_diagonal_T1_iil
		.amdhsa_group_segment_fixed_size 180
		.amdhsa_private_segment_fixed_size 0
		.amdhsa_kernarg_size 32
		.amdhsa_user_sgpr_count 2
		.amdhsa_user_sgpr_dispatch_ptr 0
		.amdhsa_user_sgpr_queue_ptr 0
		.amdhsa_user_sgpr_kernarg_segment_ptr 1
		.amdhsa_user_sgpr_dispatch_id 0
		.amdhsa_user_sgpr_kernarg_preload_length 0
		.amdhsa_user_sgpr_kernarg_preload_offset 0
		.amdhsa_user_sgpr_private_segment_size 0
		.amdhsa_wavefront_size32 1
		.amdhsa_uses_dynamic_stack 0
		.amdhsa_enable_private_segment 0
		.amdhsa_system_sgpr_workgroup_id_x 1
		.amdhsa_system_sgpr_workgroup_id_y 0
		.amdhsa_system_sgpr_workgroup_id_z 0
		.amdhsa_system_sgpr_workgroup_info 0
		.amdhsa_system_vgpr_workitem_id 0
		.amdhsa_next_free_vgpr 123
		.amdhsa_next_free_sgpr 32
		.amdhsa_named_barrier_count 0
		.amdhsa_reserve_vcc 1
		.amdhsa_float_round_mode_32 0
		.amdhsa_float_round_mode_16_64 0
		.amdhsa_float_denorm_mode_32 3
		.amdhsa_float_denorm_mode_16_64 3
		.amdhsa_fp16_overflow 0
		.amdhsa_memory_ordered 1
		.amdhsa_forward_progress 1
		.amdhsa_inst_pref_size 243
		.amdhsa_round_robin_scheduling 0
		.amdhsa_exception_fp_ieee_invalid_op 0
		.amdhsa_exception_fp_denorm_src 0
		.amdhsa_exception_fp_ieee_div_zero 0
		.amdhsa_exception_fp_ieee_overflow 0
		.amdhsa_exception_fp_ieee_underflow 0
		.amdhsa_exception_fp_ieee_inexact 0
		.amdhsa_exception_int_div_zero 0
	.end_amdhsa_kernel
	.section	.text._ZN9rocsolver6v33100L18trti2_kernel_smallILi21EfPfEEv13rocblas_fill_17rocblas_diagonal_T1_iil,"axG",@progbits,_ZN9rocsolver6v33100L18trti2_kernel_smallILi21EfPfEEv13rocblas_fill_17rocblas_diagonal_T1_iil,comdat
.Lfunc_end20:
	.size	_ZN9rocsolver6v33100L18trti2_kernel_smallILi21EfPfEEv13rocblas_fill_17rocblas_diagonal_T1_iil, .Lfunc_end20-_ZN9rocsolver6v33100L18trti2_kernel_smallILi21EfPfEEv13rocblas_fill_17rocblas_diagonal_T1_iil
                                        ; -- End function
	.set _ZN9rocsolver6v33100L18trti2_kernel_smallILi21EfPfEEv13rocblas_fill_17rocblas_diagonal_T1_iil.num_vgpr, 123
	.set _ZN9rocsolver6v33100L18trti2_kernel_smallILi21EfPfEEv13rocblas_fill_17rocblas_diagonal_T1_iil.num_agpr, 0
	.set _ZN9rocsolver6v33100L18trti2_kernel_smallILi21EfPfEEv13rocblas_fill_17rocblas_diagonal_T1_iil.numbered_sgpr, 32
	.set _ZN9rocsolver6v33100L18trti2_kernel_smallILi21EfPfEEv13rocblas_fill_17rocblas_diagonal_T1_iil.num_named_barrier, 0
	.set _ZN9rocsolver6v33100L18trti2_kernel_smallILi21EfPfEEv13rocblas_fill_17rocblas_diagonal_T1_iil.private_seg_size, 0
	.set _ZN9rocsolver6v33100L18trti2_kernel_smallILi21EfPfEEv13rocblas_fill_17rocblas_diagonal_T1_iil.uses_vcc, 1
	.set _ZN9rocsolver6v33100L18trti2_kernel_smallILi21EfPfEEv13rocblas_fill_17rocblas_diagonal_T1_iil.uses_flat_scratch, 0
	.set _ZN9rocsolver6v33100L18trti2_kernel_smallILi21EfPfEEv13rocblas_fill_17rocblas_diagonal_T1_iil.has_dyn_sized_stack, 0
	.set _ZN9rocsolver6v33100L18trti2_kernel_smallILi21EfPfEEv13rocblas_fill_17rocblas_diagonal_T1_iil.has_recursion, 0
	.set _ZN9rocsolver6v33100L18trti2_kernel_smallILi21EfPfEEv13rocblas_fill_17rocblas_diagonal_T1_iil.has_indirect_call, 0
	.section	.AMDGPU.csdata,"",@progbits
; Kernel info:
; codeLenInByte = 30980
; TotalNumSgprs: 34
; NumVgprs: 123
; ScratchSize: 0
; MemoryBound: 0
; FloatMode: 240
; IeeeMode: 1
; LDSByteSize: 180 bytes/workgroup (compile time only)
; SGPRBlocks: 0
; VGPRBlocks: 7
; NumSGPRsForWavesPerEU: 34
; NumVGPRsForWavesPerEU: 123
; NamedBarCnt: 0
; Occupancy: 8
; WaveLimiterHint : 0
; COMPUTE_PGM_RSRC2:SCRATCH_EN: 0
; COMPUTE_PGM_RSRC2:USER_SGPR: 2
; COMPUTE_PGM_RSRC2:TRAP_HANDLER: 0
; COMPUTE_PGM_RSRC2:TGID_X_EN: 1
; COMPUTE_PGM_RSRC2:TGID_Y_EN: 0
; COMPUTE_PGM_RSRC2:TGID_Z_EN: 0
; COMPUTE_PGM_RSRC2:TIDIG_COMP_CNT: 0
	.section	.text._ZN9rocsolver6v33100L18trti2_kernel_smallILi22EfPfEEv13rocblas_fill_17rocblas_diagonal_T1_iil,"axG",@progbits,_ZN9rocsolver6v33100L18trti2_kernel_smallILi22EfPfEEv13rocblas_fill_17rocblas_diagonal_T1_iil,comdat
	.globl	_ZN9rocsolver6v33100L18trti2_kernel_smallILi22EfPfEEv13rocblas_fill_17rocblas_diagonal_T1_iil ; -- Begin function _ZN9rocsolver6v33100L18trti2_kernel_smallILi22EfPfEEv13rocblas_fill_17rocblas_diagonal_T1_iil
	.p2align	8
	.type	_ZN9rocsolver6v33100L18trti2_kernel_smallILi22EfPfEEv13rocblas_fill_17rocblas_diagonal_T1_iil,@function
_ZN9rocsolver6v33100L18trti2_kernel_smallILi22EfPfEEv13rocblas_fill_17rocblas_diagonal_T1_iil: ; @_ZN9rocsolver6v33100L18trti2_kernel_smallILi22EfPfEEv13rocblas_fill_17rocblas_diagonal_T1_iil
; %bb.0:
	s_mov_b32 s2, exec_lo
	v_cmpx_gt_u32_e32 22, v0
	s_cbranch_execz .LBB21_536
; %bb.1:
	s_load_b256 s[24:31], s[0:1], 0x0
	s_wait_xcnt 0x0
	s_bfe_u32 s0, ttmp6, 0x4000c
	s_and_b32 s1, ttmp6, 15
	s_add_co_i32 s0, s0, 1
	s_getreg_b32 s2, hwreg(HW_REG_IB_STS2, 6, 4)
	s_mul_i32 s0, ttmp9, s0
	v_mov_b32_e32 v1, 0
	s_add_co_i32 s0, s1, s0
	s_delay_alu instid0(VALU_DEP_1)
	v_mov_b32_e32 v35, v1
	s_wait_kmcnt 0x0
	v_add3_u32 v66, s29, s29, v0
	s_ashr_i32 s1, s28, 31
	s_cmp_eq_u32 s2, 0
	s_cselect_b32 s2, ttmp9, s0
	s_delay_alu instid0(VALU_DEP_1)
	v_add_nc_u32_e32 v68, s29, v66
	s_ashr_i32 s3, s2, 31
	s_mov_b32 s0, s28
	s_mul_u64 s[2:3], s[30:31], s[2:3]
	s_lshl_b64 s[0:1], s[0:1], 2
	v_add_nc_u32_e32 v70, s29, v68
	s_lshl_b64 s[2:3], s[2:3], 2
	s_delay_alu instid0(SALU_CYCLE_1) | instskip(NEXT) | instid1(VALU_DEP_1)
	s_add_nc_u64 s[2:3], s[26:27], s[2:3]
	v_add_nc_u32_e32 v72, s29, v70
	s_add_nc_u64 s[22:23], s[2:3], s[0:1]
	s_mov_b32 s0, s29
	s_ashr_i32 s1, s29, 31
	s_cmp_lg_u32 s25, 0x84
	v_add_nc_u32_e32 v74, s29, v72
	s_cselect_b32 s26, -1, 0
	s_cmp_eq_u32 s25, 0x84
	s_delay_alu instid0(VALU_DEP_1) | instskip(NEXT) | instid1(VALU_DEP_1)
	v_add_nc_u32_e32 v76, s29, v74
	v_add_nc_u32_e32 v78, s29, v76
	s_delay_alu instid0(VALU_DEP_1) | instskip(NEXT) | instid1(VALU_DEP_1)
	v_add_nc_u32_e32 v80, s29, v78
	v_add_nc_u32_e32 v82, s29, v80
	;; [unrolled: 3-line block ×4, first 2 shown]
	s_delay_alu instid0(VALU_DEP_1) | instskip(NEXT) | instid1(VALU_DEP_1)
	v_dual_lshlrev_b32 v34, 2, v0 :: v_dual_add_nc_u32 v94, s29, v90
	v_add_nc_u64_e32 v[92:93], s[22:23], v[34:35]
	s_delay_alu instid0(VALU_DEP_2) | instskip(NEXT) | instid1(VALU_DEP_2)
	v_dual_mov_b32 v35, -1.0 :: v_dual_add_nc_u32 v98, s29, v94
	v_lshl_add_u64 v[96:97], s[0:1], 2, v[92:93]
	s_clause 0x7
	global_load_b32 v3, v[96:97], off
	global_load_b32 v4, v66, s[22:23] scale_offset
	global_load_b32 v5, v68, s[22:23] scale_offset
	;; [unrolled: 1-line block ×7, first 2 shown]
	v_add_nc_u32_e32 v100, s29, v98
	v_cmp_eq_u32_e64 s0, 0, v0
	s_delay_alu instid0(VALU_DEP_2)
	v_add_nc_u32_e32 v102, s29, v100
	s_clause 0x7
	global_load_b32 v11, v80, s[22:23] scale_offset
	global_load_b32 v12, v82, s[22:23] scale_offset
	;; [unrolled: 1-line block ×8, first 2 shown]
	v_add_nc_u32_e32 v104, s29, v102
	s_delay_alu instid0(VALU_DEP_1) | instskip(NEXT) | instid1(VALU_DEP_1)
	v_add_nc_u32_e32 v106, s29, v104
	v_add_nc_u32_e32 v108, s29, v106
	s_clause 0x5
	global_load_b32 v2, v0, s[22:23] scale_offset
	global_load_b32 v19, v100, s[22:23] scale_offset
	;; [unrolled: 1-line block ×6, first 2 shown]
	s_cbranch_scc1 .LBB21_3
; %bb.2:
	v_cmp_eq_u32_e64 s1, 1, v0
	v_cmp_eq_u32_e64 s2, 2, v0
	;; [unrolled: 1-line block ×5, first 2 shown]
	s_wait_loadcnt 0x5
	v_cndmask_b32_e64 v24, v2, v3, s1
	v_cmp_eq_u32_e64 s6, 6, v0
	v_cmp_eq_u32_e64 s7, 7, v0
	v_cmp_eq_u32_e64 s8, 8, v0
	v_cmp_eq_u32_e64 s9, 9, v0
	v_cndmask_b32_e64 v24, v24, v4, s2
	v_cmp_eq_u32_e64 s10, 10, v0
	v_cmp_eq_u32_e64 s11, 11, v0
	v_cmp_eq_u32_e64 s12, 12, v0
	v_cmp_eq_u32_e64 s13, 13, v0
	;; [unrolled: 5-line block ×4, first 2 shown]
	v_cndmask_b32_e64 v24, v24, v7, s5
	s_delay_alu instid0(VALU_DEP_1) | instskip(NEXT) | instid1(VALU_DEP_1)
	v_cndmask_b32_e64 v24, v24, v8, s6
	v_cndmask_b32_e64 v24, v24, v9, s7
	s_delay_alu instid0(VALU_DEP_1) | instskip(NEXT) | instid1(VALU_DEP_1)
	v_cndmask_b32_e64 v24, v24, v10, s8
	;; [unrolled: 3-line block ×5, first 2 shown]
	v_cndmask_b32_e64 v24, v24, v17, s15
	s_delay_alu instid0(VALU_DEP_1) | instskip(SKIP_1) | instid1(VALU_DEP_1)
	v_cndmask_b32_e64 v24, v24, v18, s16
	s_wait_loadcnt 0x4
	v_cndmask_b32_e64 v24, v24, v19, s17
	s_wait_loadcnt 0x3
	s_delay_alu instid0(VALU_DEP_1) | instskip(SKIP_1) | instid1(VALU_DEP_1)
	v_cndmask_b32_e64 v24, v24, v20, s18
	s_wait_loadcnt 0x2
	v_cndmask_b32_e64 v24, v24, v21, s19
	s_wait_loadcnt 0x1
	s_delay_alu instid0(VALU_DEP_1) | instskip(SKIP_1) | instid1(VALU_DEP_1)
	v_cndmask_b32_e64 v24, v24, v22, s20
	s_wait_loadcnt 0x0
	v_cndmask_b32_e64 v24, v24, v23, s21
	s_delay_alu instid0(VALU_DEP_1) | instskip(SKIP_1) | instid1(VALU_DEP_2)
	v_div_scale_f32 v25, null, v24, v24, 1.0
	v_div_scale_f32 v28, vcc_lo, 1.0, v24, 1.0
	v_rcp_f32_e32 v26, v25
	v_nop
	s_delay_alu instid0(TRANS32_DEP_1) | instskip(NEXT) | instid1(VALU_DEP_1)
	v_fma_f32 v27, -v25, v26, 1.0
	v_fmac_f32_e32 v26, v27, v26
	s_delay_alu instid0(VALU_DEP_1) | instskip(NEXT) | instid1(VALU_DEP_1)
	v_mul_f32_e32 v27, v28, v26
	v_fma_f32 v29, -v25, v27, v28
	s_delay_alu instid0(VALU_DEP_1) | instskip(NEXT) | instid1(VALU_DEP_1)
	v_fmac_f32_e32 v27, v29, v26
	v_fma_f32 v25, -v25, v27, v28
	s_delay_alu instid0(VALU_DEP_1) | instskip(NEXT) | instid1(VALU_DEP_1)
	v_div_fmas_f32 v25, v25, v26, v27
	v_div_fixup_f32 v24, v25, v24, 1.0
	s_delay_alu instid0(VALU_DEP_1)
	v_dual_cndmask_b32 v23, v23, v24, s21 :: v_dual_cndmask_b32 v22, v22, v24, s20
	v_dual_cndmask_b32 v21, v21, v24, s19 :: v_dual_cndmask_b32 v20, v20, v24, s18
	v_dual_cndmask_b32 v19, v19, v24, s17 :: v_dual_cndmask_b32 v18, v18, v24, s16
	v_dual_cndmask_b32 v17, v17, v24, s15 :: v_dual_cndmask_b32 v16, v16, v24, s14
	v_dual_cndmask_b32 v15, v15, v24, s13 :: v_dual_cndmask_b32 v14, v14, v24, s12
	v_dual_cndmask_b32 v13, v13, v24, s11 :: v_dual_cndmask_b32 v12, v12, v24, s10
	v_dual_cndmask_b32 v11, v11, v24, s9 :: v_dual_cndmask_b32 v10, v10, v24, s8
	v_dual_cndmask_b32 v9, v9, v24, s7 :: v_dual_cndmask_b32 v8, v8, v24, s6
	v_dual_cndmask_b32 v7, v7, v24, s5 :: v_dual_cndmask_b32 v6, v6, v24, s4
	v_dual_cndmask_b32 v5, v5, v24, s3 :: v_dual_cndmask_b32 v4, v4, v24, s2
	v_dual_cndmask_b32 v3, v3, v24, s1 :: v_dual_cndmask_b32 v2, v2, v24, s0
	v_xor_b32_e32 v35, 0x80000000, v24
.LBB21_3:
	v_dual_ashrrev_i32 v67, 31, v66 :: v_dual_ashrrev_i32 v69, 31, v68
	v_dual_ashrrev_i32 v71, 31, v70 :: v_dual_ashrrev_i32 v73, 31, v72
	;; [unrolled: 1-line block ×9, first 2 shown]
	v_ashrrev_i32_e32 v103, 31, v102
	v_ashrrev_i32_e32 v107, 31, v106
	v_add_nc_u32_e32 v113, 0x60, v34
	s_cmp_eq_u32 s24, 0x79
	ds_store_b32 v34, v35
	s_cbranch_scc1 .LBB21_7
; %bb.4:
	s_wait_loadcnt 0x0
	v_mov_b64_e32 v[64:65], v[32:33]
	v_mov_b64_e32 v[62:63], v[30:31]
	;; [unrolled: 1-line block ×16, first 2 shown]
	v_cmp_eq_u32_e64 s0, 21, v0
	ds_store_b32 v113, v22
	s_wait_dscnt 0x0
	s_barrier_signal -1
	s_barrier_wait -1
	s_and_saveexec_b32 s1, s0
	s_cbranch_execz .LBB21_11
; %bb.5:
	s_and_b32 vcc_lo, exec_lo, s26
	s_cbranch_vccz .LBB21_8
; %bb.6:
	v_cmp_eq_u32_e32 vcc_lo, 1, v0
	ds_load_b32 v35, v113
	v_cndmask_b32_e32 v34, v2, v3, vcc_lo
	v_cmp_eq_u32_e32 vcc_lo, 2, v0
	s_delay_alu instid0(VALU_DEP_2) | instskip(SKIP_1) | instid1(VALU_DEP_2)
	v_cndmask_b32_e32 v34, v34, v4, vcc_lo
	v_cmp_eq_u32_e32 vcc_lo, 3, v0
	v_cndmask_b32_e32 v34, v34, v5, vcc_lo
	v_cmp_eq_u32_e32 vcc_lo, 4, v0
	s_delay_alu instid0(VALU_DEP_2) | instskip(SKIP_1) | instid1(VALU_DEP_2)
	v_cndmask_b32_e32 v34, v34, v6, vcc_lo
	v_cmp_eq_u32_e32 vcc_lo, 5, v0
	;; [unrolled: 5-line block ×10, first 2 shown]
	v_cndmask_b32_e32 v34, v34, v23, vcc_lo
	s_wait_dscnt 0x0
	s_delay_alu instid0(VALU_DEP_1)
	v_mul_f32_e32 v54, v34, v35
	s_cbranch_execz .LBB21_9
	s_branch .LBB21_10
.LBB21_7:
                                        ; implicit-def: $vgpr34_vgpr35_vgpr36_vgpr37_vgpr38_vgpr39_vgpr40_vgpr41_vgpr42_vgpr43_vgpr44_vgpr45_vgpr46_vgpr47_vgpr48_vgpr49_vgpr50_vgpr51_vgpr52_vgpr53_vgpr54_vgpr55_vgpr56_vgpr57_vgpr58_vgpr59_vgpr60_vgpr61_vgpr62_vgpr63_vgpr64_vgpr65
	s_cbranch_execnz .LBB21_322
	s_branch .LBB21_535
.LBB21_8:
                                        ; implicit-def: $vgpr54
.LBB21_9:
	ds_load_b32 v54, v113
.LBB21_10:
	v_dual_mov_b32 v35, 0 :: v_dual_mov_b32 v34, v2
	v_dual_mov_b32 v37, v5 :: v_dual_mov_b32 v38, v6
	;; [unrolled: 1-line block ×3, first 2 shown]
	ds_load_b32 v55, v35 offset:80
	v_dual_mov_b32 v35, v3 :: v_dual_mov_b32 v36, v4
	v_dual_mov_b32 v41, v9 :: v_dual_mov_b32 v42, v10
	;; [unrolled: 1-line block ×7, first 2 shown]
	s_wait_dscnt 0x0
	v_dual_mov_b32 v53, v21 :: v_dual_mul_f32 v54, v54, v55
	v_mov_b32_e32 v55, v23
.LBB21_11:
	s_or_b32 exec_lo, exec_lo, s1
	v_cmp_lt_u32_e64 s1, 19, v0
	ds_store_b32 v113, v53
	s_wait_dscnt 0x0
	s_barrier_signal -1
	s_barrier_wait -1
	s_and_saveexec_b32 s2, s1
	s_cbranch_execz .LBB21_17
; %bb.12:
	s_and_not1_b32 vcc_lo, exec_lo, s26
	s_cbranch_vccnz .LBB21_14
; %bb.13:
	v_cmp_eq_u32_e32 vcc_lo, 1, v0
	ds_load_b32 v57, v113
	v_cndmask_b32_e32 v56, v34, v35, vcc_lo
	v_cmp_eq_u32_e32 vcc_lo, 2, v0
	s_delay_alu instid0(VALU_DEP_2) | instskip(SKIP_1) | instid1(VALU_DEP_2)
	v_cndmask_b32_e32 v56, v56, v36, vcc_lo
	v_cmp_eq_u32_e32 vcc_lo, 3, v0
	v_cndmask_b32_e32 v56, v56, v37, vcc_lo
	v_cmp_eq_u32_e32 vcc_lo, 4, v0
	s_delay_alu instid0(VALU_DEP_2) | instskip(SKIP_1) | instid1(VALU_DEP_2)
	v_cndmask_b32_e32 v56, v56, v38, vcc_lo
	v_cmp_eq_u32_e32 vcc_lo, 5, v0
	;; [unrolled: 5-line block ×10, first 2 shown]
	v_cndmask_b32_e32 v53, v53, v55, vcc_lo
	s_wait_dscnt 0x0
	s_delay_alu instid0(VALU_DEP_1)
	v_mul_f32_e32 v53, v53, v57
	s_cbranch_execz .LBB21_15
	s_branch .LBB21_16
.LBB21_14:
                                        ; implicit-def: $vgpr53
.LBB21_15:
	ds_load_b32 v53, v113
.LBB21_16:
	v_mov_b32_e32 v56, 0
	ds_load_2addr_b32 v[56:57], v56 offset0:19 offset1:44
	s_wait_dscnt 0x0
	v_fma_f32 v57, v54, v57, v53
	s_delay_alu instid0(VALU_DEP_1) | instskip(NEXT) | instid1(VALU_DEP_1)
	v_cndmask_b32_e64 v53, v53, v57, s0
	v_mul_f32_e32 v53, v53, v56
.LBB21_17:
	s_or_b32 exec_lo, exec_lo, s2
	v_cmp_lt_u32_e64 s0, 18, v0
	ds_store_b32 v113, v52
	s_wait_dscnt 0x0
	s_barrier_signal -1
	s_barrier_wait -1
	s_and_saveexec_b32 s4, s0
	s_cbranch_execz .LBB21_33
; %bb.18:
	s_and_not1_b32 vcc_lo, exec_lo, s26
	s_cbranch_vccnz .LBB21_20
; %bb.19:
	v_cmp_eq_u32_e32 vcc_lo, 1, v0
	v_cmp_eq_u32_e64 s2, 2, v0
	ds_load_b32 v111, v113
	v_cndmask_b32_e32 v110, v34, v35, vcc_lo
	v_cmp_eq_u32_e32 vcc_lo, 3, v0
	s_delay_alu instid0(VALU_DEP_2) | instskip(SKIP_1) | instid1(VALU_DEP_2)
	v_cndmask_b32_e64 v110, v110, v36, s2
	v_cmp_eq_u32_e64 s2, 4, v0
	v_cndmask_b32_e32 v110, v110, v37, vcc_lo
	v_cmp_eq_u32_e32 vcc_lo, 5, v0
	s_delay_alu instid0(VALU_DEP_2) | instskip(SKIP_1) | instid1(VALU_DEP_2)
	v_cndmask_b32_e64 v110, v110, v38, s2
	v_cmp_eq_u32_e64 s2, 6, v0
	;; [unrolled: 5-line block ×9, first 2 shown]
	v_cndmask_b32_e32 v110, v110, v53, vcc_lo
	v_cmp_eq_u32_e32 vcc_lo, 21, v0
	s_delay_alu instid0(VALU_DEP_2) | instskip(NEXT) | instid1(VALU_DEP_1)
	v_cndmask_b32_e64 v110, v110, v54, s2
	v_cndmask_b32_e32 v110, v110, v55, vcc_lo
	s_wait_dscnt 0x0
	s_delay_alu instid0(VALU_DEP_1)
	v_mul_f32_e32 v114, v110, v111
	s_cbranch_execz .LBB21_21
	s_branch .LBB21_22
.LBB21_20:
                                        ; implicit-def: $vgpr114
.LBB21_21:
	ds_load_b32 v114, v113
.LBB21_22:
	s_and_saveexec_b32 s5, s1
	s_cbranch_execz .LBB21_32
; %bb.23:
	v_subrev_nc_u32_e32 v112, 20, v0
	v_mov_b32_e32 v110, 19
	v_subrev_nc_u32_e32 v111, 19, v0
	s_mov_b32 s1, exec_lo
	s_delay_alu instid0(VALU_DEP_3)
	v_cmpx_lt_u32_e32 6, v112
	s_cbranch_execz .LBB21_27
; %bb.24:
	s_delay_alu instid0(VALU_DEP_2) | instskip(SKIP_3) | instid1(VALU_DEP_1)
	v_and_b32_e32 v110, -8, v111
	s_mov_b32 s6, 0
	s_mov_b64 s[2:3], 26
	s_movk_i32 s7, 0xac
	v_sub_nc_u32_e32 v112, 0, v110
.LBB21_25:                              ; =>This Inner Loop Header: Depth=1
	s_add_co_i32 m0, s2, -7
	v_movrels_b32_e32 v115, v34
	v_mov_b32_e32 v110, s7
	s_add_co_i32 m0, s2, -6
	s_add_co_i32 s7, s7, 32
	v_movrels_b32_e32 v124, v34
	ds_load_2addr_b32 v[116:117], v110 offset1:1
	ds_load_2addr_b32 v[118:119], v110 offset0:2 offset1:3
	s_add_co_i32 m0, s2, -5
	s_wait_dscnt 0x1
	v_fmac_f32_e32 v114, v115, v116
	ds_load_2addr_b32 v[120:121], v110 offset0:4 offset1:5
	ds_load_2addr_b32 v[122:123], v110 offset0:6 offset1:7
	v_movrels_b32_e32 v110, v34
	s_add_co_i32 m0, s2, -4
	v_fmac_f32_e32 v114, v124, v117
	v_movrels_b32_e32 v115, v34
	s_add_co_i32 m0, s2, -3
	s_wait_dscnt 0x2
	s_delay_alu instid0(VALU_DEP_2) | instskip(SKIP_2) | instid1(VALU_DEP_2)
	v_fmac_f32_e32 v114, v110, v118
	v_movrels_b32_e32 v110, v34
	s_add_co_i32 m0, s2, -2
	v_fmac_f32_e32 v114, v115, v119
	v_movrels_b32_e32 v115, v34
	s_add_co_i32 m0, s2, -1
	s_wait_dscnt 0x1
	s_delay_alu instid0(VALU_DEP_2)
	v_fmac_f32_e32 v114, v110, v120
	v_movrels_b32_e32 v110, v34
	s_mov_b32 m0, s2
	s_add_nc_u64 s[2:3], s[2:3], 8
	v_movrels_b32_e32 v116, v34
	v_dual_fmac_f32 v114, v115, v121 :: v_dual_add_nc_u32 v115, s2, v112
	s_add_co_i32 s8, s2, -7
	s_wait_dscnt 0x0
	s_delay_alu instid0(VALU_DEP_1) | instskip(NEXT) | instid1(VALU_DEP_2)
	v_fmac_f32_e32 v114, v110, v122
	v_cmp_eq_u32_e32 vcc_lo, 26, v115
	s_delay_alu instid0(VALU_DEP_2) | instskip(SKIP_1) | instid1(SALU_CYCLE_1)
	v_dual_mov_b32 v110, s8 :: v_dual_fmac_f32 v114, v116, v123
	s_or_b32 s6, vcc_lo, s6
	s_and_not1_b32 exec_lo, exec_lo, s6
	s_cbranch_execnz .LBB21_25
; %bb.26:
	s_or_b32 exec_lo, exec_lo, s6
.LBB21_27:
	s_delay_alu instid0(SALU_CYCLE_1) | instskip(SKIP_3) | instid1(VALU_DEP_1)
	s_or_b32 exec_lo, exec_lo, s1
	v_and_b32_e32 v56, 7, v111
	s_mov_b32 s2, 0
	s_mov_b32 s1, exec_lo
	v_cmpx_ne_u32_e32 0, v56
	s_cbranch_execz .LBB21_31
; %bb.28:
	v_lshl_add_u32 v57, v110, 2, 0x60
	v_mov_b32_e32 v111, 0
.LBB21_29:                              ; =>This Inner Loop Header: Depth=1
	v_cmp_eq_u32_e32 vcc_lo, 1, v110
	ds_load_b32 v59, v57
	v_dual_add_nc_u32 v56, -1, v56 :: v_dual_add_nc_u32 v57, 4, v57
	v_cndmask_b32_e32 v58, v34, v35, vcc_lo
	v_cmp_eq_u32_e32 vcc_lo, 2, v110
	s_delay_alu instid0(VALU_DEP_2) | instskip(SKIP_1) | instid1(VALU_DEP_2)
	v_cndmask_b32_e32 v58, v58, v36, vcc_lo
	v_cmp_eq_u32_e32 vcc_lo, 3, v110
	v_cndmask_b32_e32 v58, v58, v37, vcc_lo
	v_cmp_eq_u32_e32 vcc_lo, 4, v110
	s_delay_alu instid0(VALU_DEP_2) | instskip(SKIP_1) | instid1(VALU_DEP_2)
	v_cndmask_b32_e32 v58, v58, v38, vcc_lo
	v_cmp_eq_u32_e32 vcc_lo, 5, v110
	;; [unrolled: 5-line block ×9, first 2 shown]
	v_cndmask_b32_e32 v58, v58, v53, vcc_lo
	v_cmp_eq_u32_e32 vcc_lo, 20, v110
	s_delay_alu instid0(VALU_DEP_2) | instskip(SKIP_2) | instid1(VALU_DEP_3)
	v_cndmask_b32_e32 v58, v58, v54, vcc_lo
	v_cmp_eq_u32_e32 vcc_lo, 21, v110
	v_add_nc_u64_e32 v[110:111], 1, v[110:111]
	v_cndmask_b32_e32 v58, v58, v55, vcc_lo
	v_cmp_eq_u32_e32 vcc_lo, 0, v56
	s_wait_dscnt 0x0
	s_delay_alu instid0(VALU_DEP_2) | instskip(SKIP_1) | instid1(SALU_CYCLE_1)
	v_fmac_f32_e32 v114, v58, v59
	s_or_b32 s2, vcc_lo, s2
	s_and_not1_b32 exec_lo, exec_lo, s2
	s_cbranch_execnz .LBB21_29
; %bb.30:
	s_or_b32 exec_lo, exec_lo, s2
.LBB21_31:
	s_delay_alu instid0(SALU_CYCLE_1)
	s_or_b32 exec_lo, exec_lo, s1
.LBB21_32:
	s_delay_alu instid0(SALU_CYCLE_1)
	s_or_b32 exec_lo, exec_lo, s5
	v_mov_b32_e32 v52, 0
	ds_load_b32 v52, v52 offset:72
	s_wait_dscnt 0x0
	v_mul_f32_e32 v52, v114, v52
.LBB21_33:
	s_or_b32 exec_lo, exec_lo, s4
	v_cmp_lt_u32_e64 s1, 17, v0
	ds_store_b32 v113, v51
	s_wait_dscnt 0x0
	s_barrier_signal -1
	s_barrier_wait -1
	s_and_saveexec_b32 s4, s1
	s_cbranch_execz .LBB21_49
; %bb.34:
	s_and_not1_b32 vcc_lo, exec_lo, s26
	s_cbranch_vccnz .LBB21_36
; %bb.35:
	v_cmp_eq_u32_e32 vcc_lo, 1, v0
	ds_load_b32 v111, v113
	v_cndmask_b32_e32 v110, v34, v35, vcc_lo
	v_cmp_eq_u32_e32 vcc_lo, 2, v0
	s_delay_alu instid0(VALU_DEP_2) | instskip(SKIP_1) | instid1(VALU_DEP_2)
	v_cndmask_b32_e32 v110, v110, v36, vcc_lo
	v_cmp_eq_u32_e32 vcc_lo, 3, v0
	v_cndmask_b32_e32 v110, v110, v37, vcc_lo
	v_cmp_eq_u32_e32 vcc_lo, 4, v0
	s_delay_alu instid0(VALU_DEP_2) | instskip(SKIP_1) | instid1(VALU_DEP_2)
	v_cndmask_b32_e32 v110, v110, v38, vcc_lo
	v_cmp_eq_u32_e32 vcc_lo, 5, v0
	;; [unrolled: 5-line block ×10, first 2 shown]
	v_cndmask_b32_e32 v110, v110, v55, vcc_lo
	s_wait_dscnt 0x0
	s_delay_alu instid0(VALU_DEP_1)
	v_mul_f32_e32 v114, v110, v111
	s_cbranch_execz .LBB21_37
	s_branch .LBB21_38
.LBB21_36:
                                        ; implicit-def: $vgpr114
.LBB21_37:
	ds_load_b32 v114, v113
.LBB21_38:
	s_and_saveexec_b32 s5, s0
	s_cbranch_execz .LBB21_48
; %bb.39:
	v_subrev_nc_u32_e32 v112, 19, v0
	v_mov_b32_e32 v110, 18
	v_subrev_nc_u32_e32 v111, 18, v0
	s_mov_b32 s0, exec_lo
	s_delay_alu instid0(VALU_DEP_3)
	v_cmpx_lt_u32_e32 6, v112
	s_cbranch_execz .LBB21_43
; %bb.40:
	s_delay_alu instid0(VALU_DEP_2) | instskip(SKIP_3) | instid1(VALU_DEP_1)
	v_and_b32_e32 v110, -8, v111
	s_mov_b32 s6, 0
	s_mov_b64 s[2:3], 25
	s_movk_i32 s7, 0xa8
	v_sub_nc_u32_e32 v112, 0, v110
.LBB21_41:                              ; =>This Inner Loop Header: Depth=1
	s_add_co_i32 m0, s2, -7
	v_movrels_b32_e32 v115, v34
	v_mov_b32_e32 v110, s7
	s_add_co_i32 m0, s2, -6
	s_add_co_i32 s7, s7, 32
	v_movrels_b32_e32 v124, v34
	s_add_co_i32 m0, s2, -5
	ds_load_2addr_b64 v[116:119], v110 offset1:1
	ds_load_2addr_b64 v[120:123], v110 offset0:2 offset1:3
	v_movrels_b32_e32 v110, v34
	s_add_co_i32 m0, s2, -4
	s_wait_dscnt 0x1
	v_fmac_f32_e32 v114, v115, v116
	v_movrels_b32_e32 v115, v34
	s_add_co_i32 m0, s2, -3
	s_delay_alu instid0(VALU_DEP_2) | instskip(NEXT) | instid1(VALU_DEP_1)
	v_fmac_f32_e32 v114, v124, v117
	v_fmac_f32_e32 v114, v110, v118
	v_movrels_b32_e32 v110, v34
	s_add_co_i32 m0, s2, -2
	s_delay_alu instid0(VALU_DEP_2) | instskip(SKIP_3) | instid1(VALU_DEP_2)
	v_fmac_f32_e32 v114, v115, v119
	v_movrels_b32_e32 v115, v34
	s_add_co_i32 m0, s2, -1
	s_wait_dscnt 0x0
	v_fmac_f32_e32 v114, v110, v120
	v_movrels_b32_e32 v110, v34
	s_mov_b32 m0, s2
	s_add_nc_u64 s[2:3], s[2:3], 8
	v_movrels_b32_e32 v116, v34
	v_dual_fmac_f32 v114, v115, v121 :: v_dual_add_nc_u32 v115, s2, v112
	s_add_co_i32 s8, s2, -7
	s_delay_alu instid0(VALU_DEP_1) | instskip(NEXT) | instid1(VALU_DEP_2)
	v_fmac_f32_e32 v114, v110, v122
	v_cmp_eq_u32_e32 vcc_lo, 25, v115
	s_delay_alu instid0(VALU_DEP_2) | instskip(SKIP_1) | instid1(SALU_CYCLE_1)
	v_dual_mov_b32 v110, s8 :: v_dual_fmac_f32 v114, v116, v123
	s_or_b32 s6, vcc_lo, s6
	s_and_not1_b32 exec_lo, exec_lo, s6
	s_cbranch_execnz .LBB21_41
; %bb.42:
	s_or_b32 exec_lo, exec_lo, s6
.LBB21_43:
	s_delay_alu instid0(SALU_CYCLE_1) | instskip(SKIP_3) | instid1(VALU_DEP_1)
	s_or_b32 exec_lo, exec_lo, s0
	v_and_b32_e32 v56, 7, v111
	s_mov_b32 s2, 0
	s_mov_b32 s0, exec_lo
	v_cmpx_ne_u32_e32 0, v56
	s_cbranch_execz .LBB21_47
; %bb.44:
	v_lshl_add_u32 v57, v110, 2, 0x60
	v_mov_b32_e32 v111, 0
.LBB21_45:                              ; =>This Inner Loop Header: Depth=1
	v_cmp_eq_u32_e32 vcc_lo, 1, v110
	ds_load_b32 v59, v57
	v_dual_add_nc_u32 v56, -1, v56 :: v_dual_add_nc_u32 v57, 4, v57
	v_cndmask_b32_e32 v58, v34, v35, vcc_lo
	v_cmp_eq_u32_e32 vcc_lo, 2, v110
	s_delay_alu instid0(VALU_DEP_2) | instskip(SKIP_1) | instid1(VALU_DEP_2)
	v_cndmask_b32_e32 v58, v58, v36, vcc_lo
	v_cmp_eq_u32_e32 vcc_lo, 3, v110
	v_cndmask_b32_e32 v58, v58, v37, vcc_lo
	v_cmp_eq_u32_e32 vcc_lo, 4, v110
	s_delay_alu instid0(VALU_DEP_2) | instskip(SKIP_1) | instid1(VALU_DEP_2)
	v_cndmask_b32_e32 v58, v58, v38, vcc_lo
	v_cmp_eq_u32_e32 vcc_lo, 5, v110
	;; [unrolled: 5-line block ×9, first 2 shown]
	v_cndmask_b32_e32 v58, v58, v53, vcc_lo
	v_cmp_eq_u32_e32 vcc_lo, 20, v110
	s_delay_alu instid0(VALU_DEP_2) | instskip(SKIP_2) | instid1(VALU_DEP_3)
	v_cndmask_b32_e32 v58, v58, v54, vcc_lo
	v_cmp_eq_u32_e32 vcc_lo, 21, v110
	v_add_nc_u64_e32 v[110:111], 1, v[110:111]
	v_cndmask_b32_e32 v58, v58, v55, vcc_lo
	v_cmp_eq_u32_e32 vcc_lo, 0, v56
	s_wait_dscnt 0x0
	s_delay_alu instid0(VALU_DEP_2) | instskip(SKIP_1) | instid1(SALU_CYCLE_1)
	v_fmac_f32_e32 v114, v58, v59
	s_or_b32 s2, vcc_lo, s2
	s_and_not1_b32 exec_lo, exec_lo, s2
	s_cbranch_execnz .LBB21_45
; %bb.46:
	s_or_b32 exec_lo, exec_lo, s2
.LBB21_47:
	s_delay_alu instid0(SALU_CYCLE_1)
	s_or_b32 exec_lo, exec_lo, s0
.LBB21_48:
	s_delay_alu instid0(SALU_CYCLE_1)
	s_or_b32 exec_lo, exec_lo, s5
	v_mov_b32_e32 v51, 0
	ds_load_b32 v51, v51 offset:68
	s_wait_dscnt 0x0
	v_mul_f32_e32 v51, v114, v51
.LBB21_49:
	s_or_b32 exec_lo, exec_lo, s4
	v_cmp_lt_u32_e64 s0, 16, v0
	ds_store_b32 v113, v50
	s_wait_dscnt 0x0
	s_barrier_signal -1
	s_barrier_wait -1
	s_and_saveexec_b32 s4, s0
	s_cbranch_execz .LBB21_65
; %bb.50:
	s_and_not1_b32 vcc_lo, exec_lo, s26
	s_cbranch_vccnz .LBB21_52
; %bb.51:
	v_cmp_eq_u32_e32 vcc_lo, 1, v0
	ds_load_b32 v111, v113
	v_cndmask_b32_e32 v110, v34, v35, vcc_lo
	v_cmp_eq_u32_e32 vcc_lo, 2, v0
	s_delay_alu instid0(VALU_DEP_2) | instskip(SKIP_1) | instid1(VALU_DEP_2)
	v_cndmask_b32_e32 v110, v110, v36, vcc_lo
	v_cmp_eq_u32_e32 vcc_lo, 3, v0
	v_cndmask_b32_e32 v110, v110, v37, vcc_lo
	v_cmp_eq_u32_e32 vcc_lo, 4, v0
	s_delay_alu instid0(VALU_DEP_2) | instskip(SKIP_1) | instid1(VALU_DEP_2)
	v_cndmask_b32_e32 v110, v110, v38, vcc_lo
	v_cmp_eq_u32_e32 vcc_lo, 5, v0
	;; [unrolled: 5-line block ×10, first 2 shown]
	v_cndmask_b32_e32 v110, v110, v55, vcc_lo
	s_wait_dscnt 0x0
	s_delay_alu instid0(VALU_DEP_1)
	v_mul_f32_e32 v114, v110, v111
	s_cbranch_execz .LBB21_53
	s_branch .LBB21_54
.LBB21_52:
                                        ; implicit-def: $vgpr114
.LBB21_53:
	ds_load_b32 v114, v113
.LBB21_54:
	s_and_saveexec_b32 s5, s1
	s_cbranch_execz .LBB21_64
; %bb.55:
	v_subrev_nc_u32_e32 v112, 18, v0
	v_mov_b32_e32 v110, 17
	v_subrev_nc_u32_e32 v111, 17, v0
	s_mov_b32 s1, exec_lo
	s_delay_alu instid0(VALU_DEP_3)
	v_cmpx_lt_u32_e32 6, v112
	s_cbranch_execz .LBB21_59
; %bb.56:
	s_delay_alu instid0(VALU_DEP_2) | instskip(SKIP_3) | instid1(VALU_DEP_1)
	v_and_b32_e32 v110, -8, v111
	s_mov_b32 s6, 0
	s_mov_b64 s[2:3], 24
	s_movk_i32 s7, 0xa4
	v_sub_nc_u32_e32 v112, 0, v110
.LBB21_57:                              ; =>This Inner Loop Header: Depth=1
	s_add_co_i32 m0, s2, -7
	v_movrels_b32_e32 v115, v34
	v_mov_b32_e32 v110, s7
	s_add_co_i32 m0, s2, -6
	s_add_co_i32 s7, s7, 32
	v_movrels_b32_e32 v124, v34
	ds_load_2addr_b32 v[116:117], v110 offset1:1
	ds_load_2addr_b32 v[118:119], v110 offset0:2 offset1:3
	s_add_co_i32 m0, s2, -5
	s_wait_dscnt 0x1
	v_fmac_f32_e32 v114, v115, v116
	ds_load_2addr_b32 v[120:121], v110 offset0:4 offset1:5
	ds_load_2addr_b32 v[122:123], v110 offset0:6 offset1:7
	v_movrels_b32_e32 v110, v34
	s_add_co_i32 m0, s2, -4
	v_fmac_f32_e32 v114, v124, v117
	v_movrels_b32_e32 v115, v34
	s_add_co_i32 m0, s2, -3
	s_wait_dscnt 0x2
	s_delay_alu instid0(VALU_DEP_2) | instskip(SKIP_2) | instid1(VALU_DEP_2)
	v_fmac_f32_e32 v114, v110, v118
	v_movrels_b32_e32 v110, v34
	s_add_co_i32 m0, s2, -2
	v_fmac_f32_e32 v114, v115, v119
	v_movrels_b32_e32 v115, v34
	s_add_co_i32 m0, s2, -1
	s_wait_dscnt 0x1
	s_delay_alu instid0(VALU_DEP_2)
	v_fmac_f32_e32 v114, v110, v120
	v_movrels_b32_e32 v110, v34
	s_mov_b32 m0, s2
	s_add_nc_u64 s[2:3], s[2:3], 8
	v_movrels_b32_e32 v116, v34
	v_dual_fmac_f32 v114, v115, v121 :: v_dual_add_nc_u32 v115, s2, v112
	s_add_co_i32 s8, s2, -7
	s_wait_dscnt 0x0
	s_delay_alu instid0(VALU_DEP_1) | instskip(NEXT) | instid1(VALU_DEP_2)
	v_fmac_f32_e32 v114, v110, v122
	v_cmp_eq_u32_e32 vcc_lo, 24, v115
	s_delay_alu instid0(VALU_DEP_2) | instskip(SKIP_1) | instid1(SALU_CYCLE_1)
	v_dual_mov_b32 v110, s8 :: v_dual_fmac_f32 v114, v116, v123
	s_or_b32 s6, vcc_lo, s6
	s_and_not1_b32 exec_lo, exec_lo, s6
	s_cbranch_execnz .LBB21_57
; %bb.58:
	s_or_b32 exec_lo, exec_lo, s6
.LBB21_59:
	s_delay_alu instid0(SALU_CYCLE_1) | instskip(SKIP_3) | instid1(VALU_DEP_1)
	s_or_b32 exec_lo, exec_lo, s1
	v_and_b32_e32 v56, 7, v111
	s_mov_b32 s2, 0
	s_mov_b32 s1, exec_lo
	v_cmpx_ne_u32_e32 0, v56
	s_cbranch_execz .LBB21_63
; %bb.60:
	v_lshl_add_u32 v57, v110, 2, 0x60
	v_mov_b32_e32 v111, 0
.LBB21_61:                              ; =>This Inner Loop Header: Depth=1
	v_cmp_eq_u32_e32 vcc_lo, 1, v110
	ds_load_b32 v59, v57
	v_dual_add_nc_u32 v56, -1, v56 :: v_dual_add_nc_u32 v57, 4, v57
	v_cndmask_b32_e32 v58, v34, v35, vcc_lo
	v_cmp_eq_u32_e32 vcc_lo, 2, v110
	s_delay_alu instid0(VALU_DEP_2) | instskip(SKIP_1) | instid1(VALU_DEP_2)
	v_cndmask_b32_e32 v58, v58, v36, vcc_lo
	v_cmp_eq_u32_e32 vcc_lo, 3, v110
	v_cndmask_b32_e32 v58, v58, v37, vcc_lo
	v_cmp_eq_u32_e32 vcc_lo, 4, v110
	s_delay_alu instid0(VALU_DEP_2) | instskip(SKIP_1) | instid1(VALU_DEP_2)
	v_cndmask_b32_e32 v58, v58, v38, vcc_lo
	v_cmp_eq_u32_e32 vcc_lo, 5, v110
	;; [unrolled: 5-line block ×9, first 2 shown]
	v_cndmask_b32_e32 v58, v58, v53, vcc_lo
	v_cmp_eq_u32_e32 vcc_lo, 20, v110
	s_delay_alu instid0(VALU_DEP_2) | instskip(SKIP_2) | instid1(VALU_DEP_3)
	v_cndmask_b32_e32 v58, v58, v54, vcc_lo
	v_cmp_eq_u32_e32 vcc_lo, 21, v110
	v_add_nc_u64_e32 v[110:111], 1, v[110:111]
	v_cndmask_b32_e32 v58, v58, v55, vcc_lo
	v_cmp_eq_u32_e32 vcc_lo, 0, v56
	s_wait_dscnt 0x0
	s_delay_alu instid0(VALU_DEP_2) | instskip(SKIP_1) | instid1(SALU_CYCLE_1)
	v_fmac_f32_e32 v114, v58, v59
	s_or_b32 s2, vcc_lo, s2
	s_and_not1_b32 exec_lo, exec_lo, s2
	s_cbranch_execnz .LBB21_61
; %bb.62:
	s_or_b32 exec_lo, exec_lo, s2
.LBB21_63:
	s_delay_alu instid0(SALU_CYCLE_1)
	s_or_b32 exec_lo, exec_lo, s1
.LBB21_64:
	s_delay_alu instid0(SALU_CYCLE_1)
	s_or_b32 exec_lo, exec_lo, s5
	v_mov_b32_e32 v50, 0
	ds_load_b32 v50, v50 offset:64
	s_wait_dscnt 0x0
	v_mul_f32_e32 v50, v114, v50
.LBB21_65:
	s_or_b32 exec_lo, exec_lo, s4
	v_cmp_lt_u32_e64 s1, 15, v0
	ds_store_b32 v113, v49
	s_wait_dscnt 0x0
	s_barrier_signal -1
	s_barrier_wait -1
	s_and_saveexec_b32 s4, s1
	s_cbranch_execz .LBB21_81
; %bb.66:
	s_and_not1_b32 vcc_lo, exec_lo, s26
	s_cbranch_vccnz .LBB21_68
; %bb.67:
	v_cmp_eq_u32_e32 vcc_lo, 1, v0
	ds_load_b32 v111, v113
	v_cndmask_b32_e32 v110, v34, v35, vcc_lo
	v_cmp_eq_u32_e32 vcc_lo, 2, v0
	s_delay_alu instid0(VALU_DEP_2) | instskip(SKIP_1) | instid1(VALU_DEP_2)
	v_cndmask_b32_e32 v110, v110, v36, vcc_lo
	v_cmp_eq_u32_e32 vcc_lo, 3, v0
	v_cndmask_b32_e32 v110, v110, v37, vcc_lo
	v_cmp_eq_u32_e32 vcc_lo, 4, v0
	s_delay_alu instid0(VALU_DEP_2) | instskip(SKIP_1) | instid1(VALU_DEP_2)
	v_cndmask_b32_e32 v110, v110, v38, vcc_lo
	v_cmp_eq_u32_e32 vcc_lo, 5, v0
	;; [unrolled: 5-line block ×10, first 2 shown]
	v_cndmask_b32_e32 v110, v110, v55, vcc_lo
	s_wait_dscnt 0x0
	s_delay_alu instid0(VALU_DEP_1)
	v_mul_f32_e32 v114, v110, v111
	s_cbranch_execz .LBB21_69
	s_branch .LBB21_70
.LBB21_68:
                                        ; implicit-def: $vgpr114
.LBB21_69:
	ds_load_b32 v114, v113
.LBB21_70:
	s_and_saveexec_b32 s5, s0
	s_cbranch_execz .LBB21_80
; %bb.71:
	v_subrev_nc_u32_e32 v110, 17, v0
	s_delay_alu instid0(VALU_DEP_1)
	v_cmp_lt_u32_e32 vcc_lo, 6, v110
	v_mov_b32_e32 v110, 16
	s_and_saveexec_b32 s0, vcc_lo
	s_cbranch_execz .LBB21_75
; %bb.72:
	v_and_b32_e32 v110, 24, v0
	s_mov_b32 s6, 0
	s_mov_b64 s[2:3], 23
	s_movk_i32 s7, 0xa0
	s_delay_alu instid0(VALU_DEP_1)
	v_sub_nc_u32_e32 v112, 0, v110
.LBB21_73:                              ; =>This Inner Loop Header: Depth=1
	s_add_co_i32 m0, s2, -7
	v_movrels_b32_e32 v111, v34
	v_mov_b32_e32 v110, s7
	s_add_co_i32 m0, s2, -6
	s_add_co_i32 s7, s7, 32
	v_movrels_b32_e32 v115, v34
	s_add_co_i32 m0, s2, -5
	ds_load_b128 v[116:119], v110
	ds_load_b128 v[120:123], v110 offset:16
	v_movrels_b32_e32 v110, v34
	s_add_co_i32 m0, s2, -4
	s_wait_dscnt 0x1
	v_fmac_f32_e32 v114, v111, v116
	v_movrels_b32_e32 v111, v34
	s_add_co_i32 m0, s2, -3
	s_delay_alu instid0(VALU_DEP_2) | instskip(NEXT) | instid1(VALU_DEP_1)
	v_fmac_f32_e32 v114, v115, v117
	v_fmac_f32_e32 v114, v110, v118
	v_movrels_b32_e32 v110, v34
	s_add_co_i32 m0, s2, -2
	s_delay_alu instid0(VALU_DEP_2) | instskip(SKIP_3) | instid1(VALU_DEP_2)
	v_fmac_f32_e32 v114, v111, v119
	v_movrels_b32_e32 v111, v34
	s_add_co_i32 m0, s2, -1
	s_wait_dscnt 0x0
	v_fmac_f32_e32 v114, v110, v120
	v_movrels_b32_e32 v110, v34
	s_mov_b32 m0, s2
	s_add_nc_u64 s[2:3], s[2:3], 8
	v_movrels_b32_e32 v115, v34
	v_dual_fmac_f32 v114, v111, v121 :: v_dual_add_nc_u32 v111, s2, v112
	s_add_co_i32 s8, s2, -7
	s_delay_alu instid0(VALU_DEP_1) | instskip(NEXT) | instid1(VALU_DEP_2)
	v_fmac_f32_e32 v114, v110, v122
	v_cmp_eq_u32_e32 vcc_lo, 7, v111
	s_delay_alu instid0(VALU_DEP_2) | instskip(SKIP_1) | instid1(SALU_CYCLE_1)
	v_dual_mov_b32 v110, s8 :: v_dual_fmac_f32 v114, v115, v123
	s_or_b32 s6, vcc_lo, s6
	s_and_not1_b32 exec_lo, exec_lo, s6
	s_cbranch_execnz .LBB21_73
; %bb.74:
	s_or_b32 exec_lo, exec_lo, s6
.LBB21_75:
	s_delay_alu instid0(SALU_CYCLE_1) | instskip(SKIP_3) | instid1(VALU_DEP_1)
	s_or_b32 exec_lo, exec_lo, s0
	v_and_b32_e32 v56, 7, v0
	s_mov_b32 s2, 0
	s_mov_b32 s0, exec_lo
	v_cmpx_ne_u32_e32 0, v56
	s_cbranch_execz .LBB21_79
; %bb.76:
	v_lshl_add_u32 v57, v110, 2, 0x60
	v_mov_b32_e32 v111, 0
.LBB21_77:                              ; =>This Inner Loop Header: Depth=1
	v_cmp_eq_u32_e32 vcc_lo, 1, v110
	ds_load_b32 v59, v57
	v_dual_add_nc_u32 v56, -1, v56 :: v_dual_add_nc_u32 v57, 4, v57
	v_cndmask_b32_e32 v58, v34, v35, vcc_lo
	v_cmp_eq_u32_e32 vcc_lo, 2, v110
	s_delay_alu instid0(VALU_DEP_2) | instskip(SKIP_1) | instid1(VALU_DEP_2)
	v_cndmask_b32_e32 v58, v58, v36, vcc_lo
	v_cmp_eq_u32_e32 vcc_lo, 3, v110
	v_cndmask_b32_e32 v58, v58, v37, vcc_lo
	v_cmp_eq_u32_e32 vcc_lo, 4, v110
	s_delay_alu instid0(VALU_DEP_2) | instskip(SKIP_1) | instid1(VALU_DEP_2)
	v_cndmask_b32_e32 v58, v58, v38, vcc_lo
	v_cmp_eq_u32_e32 vcc_lo, 5, v110
	;; [unrolled: 5-line block ×9, first 2 shown]
	v_cndmask_b32_e32 v58, v58, v53, vcc_lo
	v_cmp_eq_u32_e32 vcc_lo, 20, v110
	s_delay_alu instid0(VALU_DEP_2) | instskip(SKIP_2) | instid1(VALU_DEP_3)
	v_cndmask_b32_e32 v58, v58, v54, vcc_lo
	v_cmp_eq_u32_e32 vcc_lo, 21, v110
	v_add_nc_u64_e32 v[110:111], 1, v[110:111]
	v_cndmask_b32_e32 v58, v58, v55, vcc_lo
	v_cmp_eq_u32_e32 vcc_lo, 0, v56
	s_wait_dscnt 0x0
	s_delay_alu instid0(VALU_DEP_2) | instskip(SKIP_1) | instid1(SALU_CYCLE_1)
	v_fmac_f32_e32 v114, v58, v59
	s_or_b32 s2, vcc_lo, s2
	s_and_not1_b32 exec_lo, exec_lo, s2
	s_cbranch_execnz .LBB21_77
; %bb.78:
	s_or_b32 exec_lo, exec_lo, s2
.LBB21_79:
	s_delay_alu instid0(SALU_CYCLE_1)
	s_or_b32 exec_lo, exec_lo, s0
.LBB21_80:
	s_delay_alu instid0(SALU_CYCLE_1)
	s_or_b32 exec_lo, exec_lo, s5
	v_mov_b32_e32 v49, 0
	ds_load_b32 v49, v49 offset:60
	s_wait_dscnt 0x0
	v_mul_f32_e32 v49, v114, v49
.LBB21_81:
	s_or_b32 exec_lo, exec_lo, s4
	v_cmp_lt_u32_e64 s0, 14, v0
	ds_store_b32 v113, v48
	s_wait_dscnt 0x0
	s_barrier_signal -1
	s_barrier_wait -1
	s_and_saveexec_b32 s4, s0
	s_cbranch_execz .LBB21_97
; %bb.82:
	s_and_not1_b32 vcc_lo, exec_lo, s26
	s_cbranch_vccnz .LBB21_84
; %bb.83:
	v_cmp_eq_u32_e32 vcc_lo, 1, v0
	ds_load_b32 v111, v113
	v_cndmask_b32_e32 v110, v34, v35, vcc_lo
	v_cmp_eq_u32_e32 vcc_lo, 2, v0
	s_delay_alu instid0(VALU_DEP_2) | instskip(SKIP_1) | instid1(VALU_DEP_2)
	v_cndmask_b32_e32 v110, v110, v36, vcc_lo
	v_cmp_eq_u32_e32 vcc_lo, 3, v0
	v_cndmask_b32_e32 v110, v110, v37, vcc_lo
	v_cmp_eq_u32_e32 vcc_lo, 4, v0
	s_delay_alu instid0(VALU_DEP_2) | instskip(SKIP_1) | instid1(VALU_DEP_2)
	v_cndmask_b32_e32 v110, v110, v38, vcc_lo
	v_cmp_eq_u32_e32 vcc_lo, 5, v0
	v_cndmask_b32_e32 v110, v110, v39, vcc_lo
	v_cmp_eq_u32_e32 vcc_lo, 6, v0
	s_delay_alu instid0(VALU_DEP_2) | instskip(SKIP_1) | instid1(VALU_DEP_2)
	v_cndmask_b32_e32 v110, v110, v40, vcc_lo
	v_cmp_eq_u32_e32 vcc_lo, 7, v0
	v_cndmask_b32_e32 v110, v110, v41, vcc_lo
	v_cmp_eq_u32_e32 vcc_lo, 8, v0
	s_delay_alu instid0(VALU_DEP_2) | instskip(SKIP_1) | instid1(VALU_DEP_2)
	v_cndmask_b32_e32 v110, v110, v42, vcc_lo
	v_cmp_eq_u32_e32 vcc_lo, 9, v0
	v_cndmask_b32_e32 v110, v110, v43, vcc_lo
	v_cmp_eq_u32_e32 vcc_lo, 10, v0
	s_delay_alu instid0(VALU_DEP_2) | instskip(SKIP_1) | instid1(VALU_DEP_2)
	v_cndmask_b32_e32 v110, v110, v44, vcc_lo
	v_cmp_eq_u32_e32 vcc_lo, 11, v0
	v_cndmask_b32_e32 v110, v110, v45, vcc_lo
	v_cmp_eq_u32_e32 vcc_lo, 12, v0
	s_delay_alu instid0(VALU_DEP_2) | instskip(SKIP_1) | instid1(VALU_DEP_2)
	v_cndmask_b32_e32 v110, v110, v46, vcc_lo
	v_cmp_eq_u32_e32 vcc_lo, 13, v0
	v_cndmask_b32_e32 v110, v110, v47, vcc_lo
	v_cmp_eq_u32_e32 vcc_lo, 14, v0
	s_delay_alu instid0(VALU_DEP_2) | instskip(SKIP_1) | instid1(VALU_DEP_2)
	v_cndmask_b32_e32 v110, v110, v48, vcc_lo
	v_cmp_eq_u32_e32 vcc_lo, 15, v0
	v_cndmask_b32_e32 v110, v110, v49, vcc_lo
	v_cmp_eq_u32_e32 vcc_lo, 16, v0
	s_delay_alu instid0(VALU_DEP_2) | instskip(SKIP_1) | instid1(VALU_DEP_2)
	v_cndmask_b32_e32 v110, v110, v50, vcc_lo
	v_cmp_eq_u32_e32 vcc_lo, 17, v0
	v_cndmask_b32_e32 v110, v110, v51, vcc_lo
	v_cmp_eq_u32_e32 vcc_lo, 18, v0
	s_delay_alu instid0(VALU_DEP_2) | instskip(SKIP_1) | instid1(VALU_DEP_2)
	v_cndmask_b32_e32 v110, v110, v52, vcc_lo
	v_cmp_eq_u32_e32 vcc_lo, 19, v0
	v_cndmask_b32_e32 v110, v110, v53, vcc_lo
	v_cmp_eq_u32_e32 vcc_lo, 20, v0
	s_delay_alu instid0(VALU_DEP_2) | instskip(SKIP_1) | instid1(VALU_DEP_2)
	v_cndmask_b32_e32 v110, v110, v54, vcc_lo
	v_cmp_eq_u32_e32 vcc_lo, 21, v0
	v_cndmask_b32_e32 v110, v110, v55, vcc_lo
	s_wait_dscnt 0x0
	s_delay_alu instid0(VALU_DEP_1)
	v_mul_f32_e32 v114, v110, v111
	s_cbranch_execz .LBB21_85
	s_branch .LBB21_86
.LBB21_84:
                                        ; implicit-def: $vgpr114
.LBB21_85:
	ds_load_b32 v114, v113
.LBB21_86:
	s_and_saveexec_b32 s5, s1
	s_cbranch_execz .LBB21_96
; %bb.87:
	v_dual_add_nc_u32 v110, -16, v0 :: v_dual_add_nc_u32 v111, -15, v0
	s_delay_alu instid0(VALU_DEP_1)
	v_cmp_lt_u32_e32 vcc_lo, 6, v110
	v_mov_b32_e32 v110, 15
	s_and_saveexec_b32 s1, vcc_lo
	s_cbranch_execz .LBB21_91
; %bb.88:
	v_and_b32_e32 v110, -8, v111
	s_mov_b32 s6, 0
	s_mov_b64 s[2:3], 22
	s_movk_i32 s7, 0x9c
	s_delay_alu instid0(VALU_DEP_1)
	v_sub_nc_u32_e32 v112, 0, v110
.LBB21_89:                              ; =>This Inner Loop Header: Depth=1
	s_add_co_i32 m0, s2, -7
	v_movrels_b32_e32 v115, v34
	v_mov_b32_e32 v110, s7
	s_add_co_i32 m0, s2, -6
	s_add_co_i32 s7, s7, 32
	v_movrels_b32_e32 v124, v34
	ds_load_2addr_b32 v[116:117], v110 offset1:1
	ds_load_2addr_b32 v[118:119], v110 offset0:2 offset1:3
	s_add_co_i32 m0, s2, -5
	s_wait_dscnt 0x1
	v_fmac_f32_e32 v114, v115, v116
	ds_load_2addr_b32 v[120:121], v110 offset0:4 offset1:5
	ds_load_2addr_b32 v[122:123], v110 offset0:6 offset1:7
	v_movrels_b32_e32 v110, v34
	s_add_co_i32 m0, s2, -4
	v_fmac_f32_e32 v114, v124, v117
	v_movrels_b32_e32 v115, v34
	s_add_co_i32 m0, s2, -3
	s_wait_dscnt 0x2
	s_delay_alu instid0(VALU_DEP_2) | instskip(SKIP_2) | instid1(VALU_DEP_2)
	v_fmac_f32_e32 v114, v110, v118
	v_movrels_b32_e32 v110, v34
	s_add_co_i32 m0, s2, -2
	v_fmac_f32_e32 v114, v115, v119
	v_movrels_b32_e32 v115, v34
	s_add_co_i32 m0, s2, -1
	s_wait_dscnt 0x1
	s_delay_alu instid0(VALU_DEP_2)
	v_fmac_f32_e32 v114, v110, v120
	v_movrels_b32_e32 v110, v34
	s_mov_b32 m0, s2
	s_add_nc_u64 s[2:3], s[2:3], 8
	v_movrels_b32_e32 v116, v34
	v_dual_fmac_f32 v114, v115, v121 :: v_dual_add_nc_u32 v115, s2, v112
	s_add_co_i32 s8, s2, -7
	s_wait_dscnt 0x0
	s_delay_alu instid0(VALU_DEP_1) | instskip(NEXT) | instid1(VALU_DEP_2)
	v_fmac_f32_e32 v114, v110, v122
	v_cmp_eq_u32_e32 vcc_lo, 22, v115
	s_delay_alu instid0(VALU_DEP_2) | instskip(SKIP_1) | instid1(SALU_CYCLE_1)
	v_dual_mov_b32 v110, s8 :: v_dual_fmac_f32 v114, v116, v123
	s_or_b32 s6, vcc_lo, s6
	s_and_not1_b32 exec_lo, exec_lo, s6
	s_cbranch_execnz .LBB21_89
; %bb.90:
	s_or_b32 exec_lo, exec_lo, s6
.LBB21_91:
	s_delay_alu instid0(SALU_CYCLE_1) | instskip(SKIP_3) | instid1(VALU_DEP_1)
	s_or_b32 exec_lo, exec_lo, s1
	v_and_b32_e32 v56, 7, v111
	s_mov_b32 s2, 0
	s_mov_b32 s1, exec_lo
	v_cmpx_ne_u32_e32 0, v56
	s_cbranch_execz .LBB21_95
; %bb.92:
	v_lshl_add_u32 v57, v110, 2, 0x60
	v_mov_b32_e32 v111, 0
.LBB21_93:                              ; =>This Inner Loop Header: Depth=1
	v_cmp_eq_u32_e32 vcc_lo, 1, v110
	ds_load_b32 v59, v57
	v_dual_add_nc_u32 v56, -1, v56 :: v_dual_add_nc_u32 v57, 4, v57
	v_cndmask_b32_e32 v58, v34, v35, vcc_lo
	v_cmp_eq_u32_e32 vcc_lo, 2, v110
	s_delay_alu instid0(VALU_DEP_2) | instskip(SKIP_1) | instid1(VALU_DEP_2)
	v_cndmask_b32_e32 v58, v58, v36, vcc_lo
	v_cmp_eq_u32_e32 vcc_lo, 3, v110
	v_cndmask_b32_e32 v58, v58, v37, vcc_lo
	v_cmp_eq_u32_e32 vcc_lo, 4, v110
	s_delay_alu instid0(VALU_DEP_2) | instskip(SKIP_1) | instid1(VALU_DEP_2)
	v_cndmask_b32_e32 v58, v58, v38, vcc_lo
	v_cmp_eq_u32_e32 vcc_lo, 5, v110
	;; [unrolled: 5-line block ×9, first 2 shown]
	v_cndmask_b32_e32 v58, v58, v53, vcc_lo
	v_cmp_eq_u32_e32 vcc_lo, 20, v110
	s_delay_alu instid0(VALU_DEP_2) | instskip(SKIP_2) | instid1(VALU_DEP_3)
	v_cndmask_b32_e32 v58, v58, v54, vcc_lo
	v_cmp_eq_u32_e32 vcc_lo, 21, v110
	v_add_nc_u64_e32 v[110:111], 1, v[110:111]
	v_cndmask_b32_e32 v58, v58, v55, vcc_lo
	v_cmp_eq_u32_e32 vcc_lo, 0, v56
	s_wait_dscnt 0x0
	s_delay_alu instid0(VALU_DEP_2) | instskip(SKIP_1) | instid1(SALU_CYCLE_1)
	v_fmac_f32_e32 v114, v58, v59
	s_or_b32 s2, vcc_lo, s2
	s_and_not1_b32 exec_lo, exec_lo, s2
	s_cbranch_execnz .LBB21_93
; %bb.94:
	s_or_b32 exec_lo, exec_lo, s2
.LBB21_95:
	s_delay_alu instid0(SALU_CYCLE_1)
	s_or_b32 exec_lo, exec_lo, s1
.LBB21_96:
	s_delay_alu instid0(SALU_CYCLE_1)
	s_or_b32 exec_lo, exec_lo, s5
	v_mov_b32_e32 v48, 0
	ds_load_b32 v48, v48 offset:56
	s_wait_dscnt 0x0
	v_mul_f32_e32 v48, v114, v48
.LBB21_97:
	s_or_b32 exec_lo, exec_lo, s4
	v_cmp_lt_u32_e64 s1, 13, v0
	ds_store_b32 v113, v47
	s_wait_dscnt 0x0
	s_barrier_signal -1
	s_barrier_wait -1
	s_and_saveexec_b32 s4, s1
	s_cbranch_execz .LBB21_113
; %bb.98:
	s_and_not1_b32 vcc_lo, exec_lo, s26
	s_cbranch_vccnz .LBB21_100
; %bb.99:
	v_cmp_eq_u32_e32 vcc_lo, 1, v0
	ds_load_b32 v111, v113
	v_cndmask_b32_e32 v110, v34, v35, vcc_lo
	v_cmp_eq_u32_e32 vcc_lo, 2, v0
	s_delay_alu instid0(VALU_DEP_2) | instskip(SKIP_1) | instid1(VALU_DEP_2)
	v_cndmask_b32_e32 v110, v110, v36, vcc_lo
	v_cmp_eq_u32_e32 vcc_lo, 3, v0
	v_cndmask_b32_e32 v110, v110, v37, vcc_lo
	v_cmp_eq_u32_e32 vcc_lo, 4, v0
	s_delay_alu instid0(VALU_DEP_2) | instskip(SKIP_1) | instid1(VALU_DEP_2)
	v_cndmask_b32_e32 v110, v110, v38, vcc_lo
	v_cmp_eq_u32_e32 vcc_lo, 5, v0
	;; [unrolled: 5-line block ×10, first 2 shown]
	v_cndmask_b32_e32 v110, v110, v55, vcc_lo
	s_wait_dscnt 0x0
	s_delay_alu instid0(VALU_DEP_1)
	v_mul_f32_e32 v114, v110, v111
	s_cbranch_execz .LBB21_101
	s_branch .LBB21_102
.LBB21_100:
                                        ; implicit-def: $vgpr114
.LBB21_101:
	ds_load_b32 v114, v113
.LBB21_102:
	s_and_saveexec_b32 s5, s0
	s_cbranch_execz .LBB21_112
; %bb.103:
	v_dual_add_nc_u32 v110, -15, v0 :: v_dual_add_nc_u32 v111, -14, v0
	s_delay_alu instid0(VALU_DEP_1)
	v_cmp_lt_u32_e32 vcc_lo, 6, v110
	v_mov_b32_e32 v110, 14
	s_and_saveexec_b32 s0, vcc_lo
	s_cbranch_execz .LBB21_107
; %bb.104:
	v_and_b32_e32 v110, -8, v111
	s_mov_b32 s6, 0
	s_mov_b64 s[2:3], 21
	s_movk_i32 s7, 0x98
	s_delay_alu instid0(VALU_DEP_1)
	v_sub_nc_u32_e32 v112, 0, v110
.LBB21_105:                             ; =>This Inner Loop Header: Depth=1
	s_add_co_i32 m0, s2, -7
	v_movrels_b32_e32 v115, v34
	v_mov_b32_e32 v110, s7
	s_add_co_i32 m0, s2, -6
	s_add_co_i32 s7, s7, 32
	v_movrels_b32_e32 v124, v34
	s_add_co_i32 m0, s2, -5
	ds_load_2addr_b64 v[116:119], v110 offset1:1
	ds_load_2addr_b64 v[120:123], v110 offset0:2 offset1:3
	v_movrels_b32_e32 v110, v34
	s_add_co_i32 m0, s2, -4
	s_wait_dscnt 0x1
	v_fmac_f32_e32 v114, v115, v116
	v_movrels_b32_e32 v115, v34
	s_add_co_i32 m0, s2, -3
	s_delay_alu instid0(VALU_DEP_2) | instskip(NEXT) | instid1(VALU_DEP_1)
	v_fmac_f32_e32 v114, v124, v117
	v_fmac_f32_e32 v114, v110, v118
	v_movrels_b32_e32 v110, v34
	s_add_co_i32 m0, s2, -2
	s_delay_alu instid0(VALU_DEP_2) | instskip(SKIP_3) | instid1(VALU_DEP_2)
	v_fmac_f32_e32 v114, v115, v119
	v_movrels_b32_e32 v115, v34
	s_add_co_i32 m0, s2, -1
	s_wait_dscnt 0x0
	v_fmac_f32_e32 v114, v110, v120
	v_movrels_b32_e32 v110, v34
	s_mov_b32 m0, s2
	s_add_nc_u64 s[2:3], s[2:3], 8
	v_movrels_b32_e32 v116, v34
	v_dual_fmac_f32 v114, v115, v121 :: v_dual_add_nc_u32 v115, s2, v112
	s_add_co_i32 s8, s2, -7
	s_delay_alu instid0(VALU_DEP_1) | instskip(NEXT) | instid1(VALU_DEP_2)
	v_fmac_f32_e32 v114, v110, v122
	v_cmp_eq_u32_e32 vcc_lo, 21, v115
	s_delay_alu instid0(VALU_DEP_2) | instskip(SKIP_1) | instid1(SALU_CYCLE_1)
	v_dual_mov_b32 v110, s8 :: v_dual_fmac_f32 v114, v116, v123
	s_or_b32 s6, vcc_lo, s6
	s_and_not1_b32 exec_lo, exec_lo, s6
	s_cbranch_execnz .LBB21_105
; %bb.106:
	s_or_b32 exec_lo, exec_lo, s6
.LBB21_107:
	s_delay_alu instid0(SALU_CYCLE_1) | instskip(SKIP_3) | instid1(VALU_DEP_1)
	s_or_b32 exec_lo, exec_lo, s0
	v_and_b32_e32 v56, 7, v111
	s_mov_b32 s2, 0
	s_mov_b32 s0, exec_lo
	v_cmpx_ne_u32_e32 0, v56
	s_cbranch_execz .LBB21_111
; %bb.108:
	v_lshl_add_u32 v57, v110, 2, 0x60
	v_mov_b32_e32 v111, 0
.LBB21_109:                             ; =>This Inner Loop Header: Depth=1
	v_cmp_eq_u32_e32 vcc_lo, 1, v110
	ds_load_b32 v59, v57
	v_dual_add_nc_u32 v56, -1, v56 :: v_dual_add_nc_u32 v57, 4, v57
	v_cndmask_b32_e32 v58, v34, v35, vcc_lo
	v_cmp_eq_u32_e32 vcc_lo, 2, v110
	s_delay_alu instid0(VALU_DEP_2) | instskip(SKIP_1) | instid1(VALU_DEP_2)
	v_cndmask_b32_e32 v58, v58, v36, vcc_lo
	v_cmp_eq_u32_e32 vcc_lo, 3, v110
	v_cndmask_b32_e32 v58, v58, v37, vcc_lo
	v_cmp_eq_u32_e32 vcc_lo, 4, v110
	s_delay_alu instid0(VALU_DEP_2) | instskip(SKIP_1) | instid1(VALU_DEP_2)
	v_cndmask_b32_e32 v58, v58, v38, vcc_lo
	v_cmp_eq_u32_e32 vcc_lo, 5, v110
	;; [unrolled: 5-line block ×9, first 2 shown]
	v_cndmask_b32_e32 v58, v58, v53, vcc_lo
	v_cmp_eq_u32_e32 vcc_lo, 20, v110
	s_delay_alu instid0(VALU_DEP_2) | instskip(SKIP_2) | instid1(VALU_DEP_3)
	v_cndmask_b32_e32 v58, v58, v54, vcc_lo
	v_cmp_eq_u32_e32 vcc_lo, 21, v110
	v_add_nc_u64_e32 v[110:111], 1, v[110:111]
	v_cndmask_b32_e32 v58, v58, v55, vcc_lo
	v_cmp_eq_u32_e32 vcc_lo, 0, v56
	s_wait_dscnt 0x0
	s_delay_alu instid0(VALU_DEP_2) | instskip(SKIP_1) | instid1(SALU_CYCLE_1)
	v_fmac_f32_e32 v114, v58, v59
	s_or_b32 s2, vcc_lo, s2
	s_and_not1_b32 exec_lo, exec_lo, s2
	s_cbranch_execnz .LBB21_109
; %bb.110:
	s_or_b32 exec_lo, exec_lo, s2
.LBB21_111:
	s_delay_alu instid0(SALU_CYCLE_1)
	s_or_b32 exec_lo, exec_lo, s0
.LBB21_112:
	s_delay_alu instid0(SALU_CYCLE_1)
	s_or_b32 exec_lo, exec_lo, s5
	v_mov_b32_e32 v47, 0
	ds_load_b32 v47, v47 offset:52
	s_wait_dscnt 0x0
	v_mul_f32_e32 v47, v114, v47
.LBB21_113:
	s_or_b32 exec_lo, exec_lo, s4
	v_cmp_lt_u32_e64 s0, 12, v0
	ds_store_b32 v113, v46
	s_wait_dscnt 0x0
	s_barrier_signal -1
	s_barrier_wait -1
	s_and_saveexec_b32 s4, s0
	s_cbranch_execz .LBB21_129
; %bb.114:
	s_and_not1_b32 vcc_lo, exec_lo, s26
	s_cbranch_vccnz .LBB21_116
; %bb.115:
	v_cmp_eq_u32_e32 vcc_lo, 1, v0
	ds_load_b32 v111, v113
	v_cndmask_b32_e32 v110, v34, v35, vcc_lo
	v_cmp_eq_u32_e32 vcc_lo, 2, v0
	s_delay_alu instid0(VALU_DEP_2) | instskip(SKIP_1) | instid1(VALU_DEP_2)
	v_cndmask_b32_e32 v110, v110, v36, vcc_lo
	v_cmp_eq_u32_e32 vcc_lo, 3, v0
	v_cndmask_b32_e32 v110, v110, v37, vcc_lo
	v_cmp_eq_u32_e32 vcc_lo, 4, v0
	s_delay_alu instid0(VALU_DEP_2) | instskip(SKIP_1) | instid1(VALU_DEP_2)
	v_cndmask_b32_e32 v110, v110, v38, vcc_lo
	v_cmp_eq_u32_e32 vcc_lo, 5, v0
	;; [unrolled: 5-line block ×10, first 2 shown]
	v_cndmask_b32_e32 v110, v110, v55, vcc_lo
	s_wait_dscnt 0x0
	s_delay_alu instid0(VALU_DEP_1)
	v_mul_f32_e32 v114, v110, v111
	s_cbranch_execz .LBB21_117
	s_branch .LBB21_118
.LBB21_116:
                                        ; implicit-def: $vgpr114
.LBB21_117:
	ds_load_b32 v114, v113
.LBB21_118:
	s_and_saveexec_b32 s5, s1
	s_cbranch_execz .LBB21_128
; %bb.119:
	v_dual_add_nc_u32 v110, -14, v0 :: v_dual_add_nc_u32 v111, -13, v0
	s_delay_alu instid0(VALU_DEP_1)
	v_cmp_lt_u32_e32 vcc_lo, 6, v110
	v_mov_b32_e32 v110, 13
	s_and_saveexec_b32 s1, vcc_lo
	s_cbranch_execz .LBB21_123
; %bb.120:
	v_and_b32_e32 v110, -8, v111
	s_mov_b32 s6, 0
	s_mov_b64 s[2:3], 20
	s_movk_i32 s7, 0x94
	s_delay_alu instid0(VALU_DEP_1)
	v_sub_nc_u32_e32 v112, 0, v110
.LBB21_121:                             ; =>This Inner Loop Header: Depth=1
	s_add_co_i32 m0, s2, -7
	v_movrels_b32_e32 v115, v34
	v_mov_b32_e32 v110, s7
	s_add_co_i32 m0, s2, -6
	s_add_co_i32 s7, s7, 32
	v_movrels_b32_e32 v124, v34
	ds_load_2addr_b32 v[116:117], v110 offset1:1
	ds_load_2addr_b32 v[118:119], v110 offset0:2 offset1:3
	s_add_co_i32 m0, s2, -5
	s_wait_dscnt 0x1
	v_fmac_f32_e32 v114, v115, v116
	ds_load_2addr_b32 v[120:121], v110 offset0:4 offset1:5
	ds_load_2addr_b32 v[122:123], v110 offset0:6 offset1:7
	v_movrels_b32_e32 v110, v34
	s_add_co_i32 m0, s2, -4
	v_fmac_f32_e32 v114, v124, v117
	v_movrels_b32_e32 v115, v34
	s_add_co_i32 m0, s2, -3
	s_wait_dscnt 0x2
	s_delay_alu instid0(VALU_DEP_2) | instskip(SKIP_2) | instid1(VALU_DEP_2)
	v_fmac_f32_e32 v114, v110, v118
	v_movrels_b32_e32 v110, v34
	s_add_co_i32 m0, s2, -2
	v_fmac_f32_e32 v114, v115, v119
	v_movrels_b32_e32 v115, v34
	s_add_co_i32 m0, s2, -1
	s_wait_dscnt 0x1
	s_delay_alu instid0(VALU_DEP_2)
	v_fmac_f32_e32 v114, v110, v120
	v_movrels_b32_e32 v110, v34
	s_mov_b32 m0, s2
	s_add_nc_u64 s[2:3], s[2:3], 8
	v_movrels_b32_e32 v116, v34
	v_dual_fmac_f32 v114, v115, v121 :: v_dual_add_nc_u32 v115, s2, v112
	s_add_co_i32 s8, s2, -7
	s_wait_dscnt 0x0
	s_delay_alu instid0(VALU_DEP_1) | instskip(NEXT) | instid1(VALU_DEP_2)
	v_fmac_f32_e32 v114, v110, v122
	v_cmp_eq_u32_e32 vcc_lo, 20, v115
	s_delay_alu instid0(VALU_DEP_2) | instskip(SKIP_1) | instid1(SALU_CYCLE_1)
	v_dual_mov_b32 v110, s8 :: v_dual_fmac_f32 v114, v116, v123
	s_or_b32 s6, vcc_lo, s6
	s_and_not1_b32 exec_lo, exec_lo, s6
	s_cbranch_execnz .LBB21_121
; %bb.122:
	s_or_b32 exec_lo, exec_lo, s6
.LBB21_123:
	s_delay_alu instid0(SALU_CYCLE_1) | instskip(SKIP_3) | instid1(VALU_DEP_1)
	s_or_b32 exec_lo, exec_lo, s1
	v_and_b32_e32 v56, 7, v111
	s_mov_b32 s2, 0
	s_mov_b32 s1, exec_lo
	v_cmpx_ne_u32_e32 0, v56
	s_cbranch_execz .LBB21_127
; %bb.124:
	v_lshl_add_u32 v57, v110, 2, 0x60
	v_mov_b32_e32 v111, 0
.LBB21_125:                             ; =>This Inner Loop Header: Depth=1
	v_cmp_eq_u32_e32 vcc_lo, 1, v110
	ds_load_b32 v59, v57
	v_dual_add_nc_u32 v56, -1, v56 :: v_dual_add_nc_u32 v57, 4, v57
	v_cndmask_b32_e32 v58, v34, v35, vcc_lo
	v_cmp_eq_u32_e32 vcc_lo, 2, v110
	s_delay_alu instid0(VALU_DEP_2) | instskip(SKIP_1) | instid1(VALU_DEP_2)
	v_cndmask_b32_e32 v58, v58, v36, vcc_lo
	v_cmp_eq_u32_e32 vcc_lo, 3, v110
	v_cndmask_b32_e32 v58, v58, v37, vcc_lo
	v_cmp_eq_u32_e32 vcc_lo, 4, v110
	s_delay_alu instid0(VALU_DEP_2) | instskip(SKIP_1) | instid1(VALU_DEP_2)
	v_cndmask_b32_e32 v58, v58, v38, vcc_lo
	v_cmp_eq_u32_e32 vcc_lo, 5, v110
	;; [unrolled: 5-line block ×9, first 2 shown]
	v_cndmask_b32_e32 v58, v58, v53, vcc_lo
	v_cmp_eq_u32_e32 vcc_lo, 20, v110
	s_delay_alu instid0(VALU_DEP_2) | instskip(SKIP_2) | instid1(VALU_DEP_3)
	v_cndmask_b32_e32 v58, v58, v54, vcc_lo
	v_cmp_eq_u32_e32 vcc_lo, 21, v110
	v_add_nc_u64_e32 v[110:111], 1, v[110:111]
	v_cndmask_b32_e32 v58, v58, v55, vcc_lo
	v_cmp_eq_u32_e32 vcc_lo, 0, v56
	s_wait_dscnt 0x0
	s_delay_alu instid0(VALU_DEP_2) | instskip(SKIP_1) | instid1(SALU_CYCLE_1)
	v_fmac_f32_e32 v114, v58, v59
	s_or_b32 s2, vcc_lo, s2
	s_and_not1_b32 exec_lo, exec_lo, s2
	s_cbranch_execnz .LBB21_125
; %bb.126:
	s_or_b32 exec_lo, exec_lo, s2
.LBB21_127:
	s_delay_alu instid0(SALU_CYCLE_1)
	s_or_b32 exec_lo, exec_lo, s1
.LBB21_128:
	s_delay_alu instid0(SALU_CYCLE_1)
	s_or_b32 exec_lo, exec_lo, s5
	v_mov_b32_e32 v46, 0
	ds_load_b32 v46, v46 offset:48
	s_wait_dscnt 0x0
	v_mul_f32_e32 v46, v114, v46
.LBB21_129:
	s_or_b32 exec_lo, exec_lo, s4
	v_cmp_lt_u32_e64 s1, 11, v0
	ds_store_b32 v113, v45
	s_wait_dscnt 0x0
	s_barrier_signal -1
	s_barrier_wait -1
	s_and_saveexec_b32 s4, s1
	s_cbranch_execz .LBB21_145
; %bb.130:
	s_and_not1_b32 vcc_lo, exec_lo, s26
	s_cbranch_vccnz .LBB21_132
; %bb.131:
	v_cmp_eq_u32_e32 vcc_lo, 1, v0
	ds_load_b32 v111, v113
	v_cndmask_b32_e32 v110, v34, v35, vcc_lo
	v_cmp_eq_u32_e32 vcc_lo, 2, v0
	s_delay_alu instid0(VALU_DEP_2) | instskip(SKIP_1) | instid1(VALU_DEP_2)
	v_cndmask_b32_e32 v110, v110, v36, vcc_lo
	v_cmp_eq_u32_e32 vcc_lo, 3, v0
	v_cndmask_b32_e32 v110, v110, v37, vcc_lo
	v_cmp_eq_u32_e32 vcc_lo, 4, v0
	s_delay_alu instid0(VALU_DEP_2) | instskip(SKIP_1) | instid1(VALU_DEP_2)
	v_cndmask_b32_e32 v110, v110, v38, vcc_lo
	v_cmp_eq_u32_e32 vcc_lo, 5, v0
	;; [unrolled: 5-line block ×10, first 2 shown]
	v_cndmask_b32_e32 v110, v110, v55, vcc_lo
	s_wait_dscnt 0x0
	s_delay_alu instid0(VALU_DEP_1)
	v_mul_f32_e32 v114, v110, v111
	s_cbranch_execz .LBB21_133
	s_branch .LBB21_134
.LBB21_132:
                                        ; implicit-def: $vgpr114
.LBB21_133:
	ds_load_b32 v114, v113
.LBB21_134:
	s_and_saveexec_b32 s5, s0
	s_cbranch_execz .LBB21_144
; %bb.135:
	v_dual_add_nc_u32 v110, -13, v0 :: v_dual_add_nc_u32 v111, -12, v0
	s_delay_alu instid0(VALU_DEP_1)
	v_cmp_lt_u32_e32 vcc_lo, 6, v110
	v_mov_b32_e32 v110, 12
	s_and_saveexec_b32 s0, vcc_lo
	s_cbranch_execz .LBB21_139
; %bb.136:
	v_and_b32_e32 v110, -8, v111
	s_mov_b32 s6, 0
	s_mov_b64 s[2:3], 19
	s_movk_i32 s7, 0x90
	s_delay_alu instid0(VALU_DEP_1)
	v_sub_nc_u32_e32 v112, 0, v110
.LBB21_137:                             ; =>This Inner Loop Header: Depth=1
	s_add_co_i32 m0, s2, -7
	v_movrels_b32_e32 v115, v34
	v_mov_b32_e32 v110, s7
	s_add_co_i32 m0, s2, -6
	s_add_co_i32 s7, s7, 32
	v_movrels_b32_e32 v124, v34
	s_add_co_i32 m0, s2, -5
	ds_load_b128 v[116:119], v110
	ds_load_b128 v[120:123], v110 offset:16
	v_movrels_b32_e32 v110, v34
	s_add_co_i32 m0, s2, -4
	s_wait_dscnt 0x1
	v_fmac_f32_e32 v114, v115, v116
	v_movrels_b32_e32 v115, v34
	s_add_co_i32 m0, s2, -3
	s_delay_alu instid0(VALU_DEP_2) | instskip(NEXT) | instid1(VALU_DEP_1)
	v_fmac_f32_e32 v114, v124, v117
	v_fmac_f32_e32 v114, v110, v118
	v_movrels_b32_e32 v110, v34
	s_add_co_i32 m0, s2, -2
	s_delay_alu instid0(VALU_DEP_2) | instskip(SKIP_3) | instid1(VALU_DEP_2)
	v_fmac_f32_e32 v114, v115, v119
	v_movrels_b32_e32 v115, v34
	s_add_co_i32 m0, s2, -1
	s_wait_dscnt 0x0
	v_fmac_f32_e32 v114, v110, v120
	v_movrels_b32_e32 v110, v34
	s_mov_b32 m0, s2
	s_add_nc_u64 s[2:3], s[2:3], 8
	v_movrels_b32_e32 v116, v34
	v_dual_fmac_f32 v114, v115, v121 :: v_dual_add_nc_u32 v115, s2, v112
	s_add_co_i32 s8, s2, -7
	s_delay_alu instid0(VALU_DEP_1) | instskip(NEXT) | instid1(VALU_DEP_2)
	v_fmac_f32_e32 v114, v110, v122
	v_cmp_eq_u32_e32 vcc_lo, 19, v115
	s_delay_alu instid0(VALU_DEP_2) | instskip(SKIP_1) | instid1(SALU_CYCLE_1)
	v_dual_mov_b32 v110, s8 :: v_dual_fmac_f32 v114, v116, v123
	s_or_b32 s6, vcc_lo, s6
	s_and_not1_b32 exec_lo, exec_lo, s6
	s_cbranch_execnz .LBB21_137
; %bb.138:
	s_or_b32 exec_lo, exec_lo, s6
.LBB21_139:
	s_delay_alu instid0(SALU_CYCLE_1) | instskip(SKIP_3) | instid1(VALU_DEP_1)
	s_or_b32 exec_lo, exec_lo, s0
	v_and_b32_e32 v56, 7, v111
	s_mov_b32 s2, 0
	s_mov_b32 s0, exec_lo
	v_cmpx_ne_u32_e32 0, v56
	s_cbranch_execz .LBB21_143
; %bb.140:
	v_lshl_add_u32 v57, v110, 2, 0x60
	v_mov_b32_e32 v111, 0
.LBB21_141:                             ; =>This Inner Loop Header: Depth=1
	v_cmp_eq_u32_e32 vcc_lo, 1, v110
	ds_load_b32 v59, v57
	v_dual_add_nc_u32 v56, -1, v56 :: v_dual_add_nc_u32 v57, 4, v57
	v_cndmask_b32_e32 v58, v34, v35, vcc_lo
	v_cmp_eq_u32_e32 vcc_lo, 2, v110
	s_delay_alu instid0(VALU_DEP_2) | instskip(SKIP_1) | instid1(VALU_DEP_2)
	v_cndmask_b32_e32 v58, v58, v36, vcc_lo
	v_cmp_eq_u32_e32 vcc_lo, 3, v110
	v_cndmask_b32_e32 v58, v58, v37, vcc_lo
	v_cmp_eq_u32_e32 vcc_lo, 4, v110
	s_delay_alu instid0(VALU_DEP_2) | instskip(SKIP_1) | instid1(VALU_DEP_2)
	v_cndmask_b32_e32 v58, v58, v38, vcc_lo
	v_cmp_eq_u32_e32 vcc_lo, 5, v110
	;; [unrolled: 5-line block ×9, first 2 shown]
	v_cndmask_b32_e32 v58, v58, v53, vcc_lo
	v_cmp_eq_u32_e32 vcc_lo, 20, v110
	s_delay_alu instid0(VALU_DEP_2) | instskip(SKIP_2) | instid1(VALU_DEP_3)
	v_cndmask_b32_e32 v58, v58, v54, vcc_lo
	v_cmp_eq_u32_e32 vcc_lo, 21, v110
	v_add_nc_u64_e32 v[110:111], 1, v[110:111]
	v_cndmask_b32_e32 v58, v58, v55, vcc_lo
	v_cmp_eq_u32_e32 vcc_lo, 0, v56
	s_wait_dscnt 0x0
	s_delay_alu instid0(VALU_DEP_2) | instskip(SKIP_1) | instid1(SALU_CYCLE_1)
	v_fmac_f32_e32 v114, v58, v59
	s_or_b32 s2, vcc_lo, s2
	s_and_not1_b32 exec_lo, exec_lo, s2
	s_cbranch_execnz .LBB21_141
; %bb.142:
	s_or_b32 exec_lo, exec_lo, s2
.LBB21_143:
	s_delay_alu instid0(SALU_CYCLE_1)
	s_or_b32 exec_lo, exec_lo, s0
.LBB21_144:
	s_delay_alu instid0(SALU_CYCLE_1)
	s_or_b32 exec_lo, exec_lo, s5
	v_mov_b32_e32 v45, 0
	ds_load_b32 v45, v45 offset:44
	s_wait_dscnt 0x0
	v_mul_f32_e32 v45, v114, v45
.LBB21_145:
	s_or_b32 exec_lo, exec_lo, s4
	v_cmp_lt_u32_e64 s0, 10, v0
	ds_store_b32 v113, v44
	s_wait_dscnt 0x0
	s_barrier_signal -1
	s_barrier_wait -1
	s_and_saveexec_b32 s4, s0
	s_cbranch_execz .LBB21_161
; %bb.146:
	s_and_not1_b32 vcc_lo, exec_lo, s26
	s_cbranch_vccnz .LBB21_148
; %bb.147:
	v_cmp_eq_u32_e32 vcc_lo, 1, v0
	ds_load_b32 v111, v113
	v_cndmask_b32_e32 v110, v34, v35, vcc_lo
	v_cmp_eq_u32_e32 vcc_lo, 2, v0
	s_delay_alu instid0(VALU_DEP_2) | instskip(SKIP_1) | instid1(VALU_DEP_2)
	v_cndmask_b32_e32 v110, v110, v36, vcc_lo
	v_cmp_eq_u32_e32 vcc_lo, 3, v0
	v_cndmask_b32_e32 v110, v110, v37, vcc_lo
	v_cmp_eq_u32_e32 vcc_lo, 4, v0
	s_delay_alu instid0(VALU_DEP_2) | instskip(SKIP_1) | instid1(VALU_DEP_2)
	v_cndmask_b32_e32 v110, v110, v38, vcc_lo
	v_cmp_eq_u32_e32 vcc_lo, 5, v0
	;; [unrolled: 5-line block ×10, first 2 shown]
	v_cndmask_b32_e32 v110, v110, v55, vcc_lo
	s_wait_dscnt 0x0
	s_delay_alu instid0(VALU_DEP_1)
	v_mul_f32_e32 v114, v110, v111
	s_cbranch_execz .LBB21_149
	s_branch .LBB21_150
.LBB21_148:
                                        ; implicit-def: $vgpr114
.LBB21_149:
	ds_load_b32 v114, v113
.LBB21_150:
	s_and_saveexec_b32 s5, s1
	s_cbranch_execz .LBB21_160
; %bb.151:
	v_dual_add_nc_u32 v110, -12, v0 :: v_dual_add_nc_u32 v111, -11, v0
	s_delay_alu instid0(VALU_DEP_1)
	v_cmp_lt_u32_e32 vcc_lo, 6, v110
	v_mov_b32_e32 v110, 11
	s_and_saveexec_b32 s1, vcc_lo
	s_cbranch_execz .LBB21_155
; %bb.152:
	v_and_b32_e32 v110, -8, v111
	s_mov_b32 s6, 0
	s_mov_b64 s[2:3], 18
	s_movk_i32 s7, 0x8c
	s_delay_alu instid0(VALU_DEP_1)
	v_sub_nc_u32_e32 v112, 0, v110
.LBB21_153:                             ; =>This Inner Loop Header: Depth=1
	s_add_co_i32 m0, s2, -7
	v_movrels_b32_e32 v115, v34
	v_mov_b32_e32 v110, s7
	s_add_co_i32 m0, s2, -6
	s_add_co_i32 s7, s7, 32
	v_movrels_b32_e32 v124, v34
	ds_load_2addr_b32 v[116:117], v110 offset1:1
	ds_load_2addr_b32 v[118:119], v110 offset0:2 offset1:3
	s_add_co_i32 m0, s2, -5
	s_wait_dscnt 0x1
	v_fmac_f32_e32 v114, v115, v116
	ds_load_2addr_b32 v[120:121], v110 offset0:4 offset1:5
	ds_load_2addr_b32 v[122:123], v110 offset0:6 offset1:7
	v_movrels_b32_e32 v110, v34
	s_add_co_i32 m0, s2, -4
	v_fmac_f32_e32 v114, v124, v117
	v_movrels_b32_e32 v115, v34
	s_add_co_i32 m0, s2, -3
	s_wait_dscnt 0x2
	s_delay_alu instid0(VALU_DEP_2) | instskip(SKIP_2) | instid1(VALU_DEP_2)
	v_fmac_f32_e32 v114, v110, v118
	v_movrels_b32_e32 v110, v34
	s_add_co_i32 m0, s2, -2
	v_fmac_f32_e32 v114, v115, v119
	v_movrels_b32_e32 v115, v34
	s_add_co_i32 m0, s2, -1
	s_wait_dscnt 0x1
	s_delay_alu instid0(VALU_DEP_2)
	v_fmac_f32_e32 v114, v110, v120
	v_movrels_b32_e32 v110, v34
	s_mov_b32 m0, s2
	s_add_nc_u64 s[2:3], s[2:3], 8
	v_movrels_b32_e32 v116, v34
	v_dual_fmac_f32 v114, v115, v121 :: v_dual_add_nc_u32 v115, s2, v112
	s_add_co_i32 s8, s2, -7
	s_wait_dscnt 0x0
	s_delay_alu instid0(VALU_DEP_1) | instskip(NEXT) | instid1(VALU_DEP_2)
	v_fmac_f32_e32 v114, v110, v122
	v_cmp_eq_u32_e32 vcc_lo, 18, v115
	s_delay_alu instid0(VALU_DEP_2) | instskip(SKIP_1) | instid1(SALU_CYCLE_1)
	v_dual_mov_b32 v110, s8 :: v_dual_fmac_f32 v114, v116, v123
	s_or_b32 s6, vcc_lo, s6
	s_and_not1_b32 exec_lo, exec_lo, s6
	s_cbranch_execnz .LBB21_153
; %bb.154:
	s_or_b32 exec_lo, exec_lo, s6
.LBB21_155:
	s_delay_alu instid0(SALU_CYCLE_1) | instskip(SKIP_3) | instid1(VALU_DEP_1)
	s_or_b32 exec_lo, exec_lo, s1
	v_and_b32_e32 v56, 7, v111
	s_mov_b32 s2, 0
	s_mov_b32 s1, exec_lo
	v_cmpx_ne_u32_e32 0, v56
	s_cbranch_execz .LBB21_159
; %bb.156:
	v_lshl_add_u32 v57, v110, 2, 0x60
	v_mov_b32_e32 v111, 0
.LBB21_157:                             ; =>This Inner Loop Header: Depth=1
	v_cmp_eq_u32_e32 vcc_lo, 1, v110
	ds_load_b32 v59, v57
	v_dual_add_nc_u32 v56, -1, v56 :: v_dual_add_nc_u32 v57, 4, v57
	v_cndmask_b32_e32 v58, v34, v35, vcc_lo
	v_cmp_eq_u32_e32 vcc_lo, 2, v110
	s_delay_alu instid0(VALU_DEP_2) | instskip(SKIP_1) | instid1(VALU_DEP_2)
	v_cndmask_b32_e32 v58, v58, v36, vcc_lo
	v_cmp_eq_u32_e32 vcc_lo, 3, v110
	v_cndmask_b32_e32 v58, v58, v37, vcc_lo
	v_cmp_eq_u32_e32 vcc_lo, 4, v110
	s_delay_alu instid0(VALU_DEP_2) | instskip(SKIP_1) | instid1(VALU_DEP_2)
	v_cndmask_b32_e32 v58, v58, v38, vcc_lo
	v_cmp_eq_u32_e32 vcc_lo, 5, v110
	;; [unrolled: 5-line block ×9, first 2 shown]
	v_cndmask_b32_e32 v58, v58, v53, vcc_lo
	v_cmp_eq_u32_e32 vcc_lo, 20, v110
	s_delay_alu instid0(VALU_DEP_2) | instskip(SKIP_2) | instid1(VALU_DEP_3)
	v_cndmask_b32_e32 v58, v58, v54, vcc_lo
	v_cmp_eq_u32_e32 vcc_lo, 21, v110
	v_add_nc_u64_e32 v[110:111], 1, v[110:111]
	v_cndmask_b32_e32 v58, v58, v55, vcc_lo
	v_cmp_eq_u32_e32 vcc_lo, 0, v56
	s_wait_dscnt 0x0
	s_delay_alu instid0(VALU_DEP_2) | instskip(SKIP_1) | instid1(SALU_CYCLE_1)
	v_fmac_f32_e32 v114, v58, v59
	s_or_b32 s2, vcc_lo, s2
	s_and_not1_b32 exec_lo, exec_lo, s2
	s_cbranch_execnz .LBB21_157
; %bb.158:
	s_or_b32 exec_lo, exec_lo, s2
.LBB21_159:
	s_delay_alu instid0(SALU_CYCLE_1)
	s_or_b32 exec_lo, exec_lo, s1
.LBB21_160:
	s_delay_alu instid0(SALU_CYCLE_1)
	s_or_b32 exec_lo, exec_lo, s5
	v_mov_b32_e32 v44, 0
	ds_load_b32 v44, v44 offset:40
	s_wait_dscnt 0x0
	v_mul_f32_e32 v44, v114, v44
.LBB21_161:
	s_or_b32 exec_lo, exec_lo, s4
	v_cmp_lt_u32_e64 s1, 9, v0
	ds_store_b32 v113, v43
	s_wait_dscnt 0x0
	s_barrier_signal -1
	s_barrier_wait -1
	s_and_saveexec_b32 s4, s1
	s_cbranch_execz .LBB21_177
; %bb.162:
	s_and_not1_b32 vcc_lo, exec_lo, s26
	s_cbranch_vccnz .LBB21_164
; %bb.163:
	v_cmp_eq_u32_e32 vcc_lo, 1, v0
	ds_load_b32 v111, v113
	v_cndmask_b32_e32 v110, v34, v35, vcc_lo
	v_cmp_eq_u32_e32 vcc_lo, 2, v0
	s_delay_alu instid0(VALU_DEP_2) | instskip(SKIP_1) | instid1(VALU_DEP_2)
	v_cndmask_b32_e32 v110, v110, v36, vcc_lo
	v_cmp_eq_u32_e32 vcc_lo, 3, v0
	v_cndmask_b32_e32 v110, v110, v37, vcc_lo
	v_cmp_eq_u32_e32 vcc_lo, 4, v0
	s_delay_alu instid0(VALU_DEP_2) | instskip(SKIP_1) | instid1(VALU_DEP_2)
	v_cndmask_b32_e32 v110, v110, v38, vcc_lo
	v_cmp_eq_u32_e32 vcc_lo, 5, v0
	;; [unrolled: 5-line block ×10, first 2 shown]
	v_cndmask_b32_e32 v110, v110, v55, vcc_lo
	s_wait_dscnt 0x0
	s_delay_alu instid0(VALU_DEP_1)
	v_mul_f32_e32 v114, v110, v111
	s_cbranch_execz .LBB21_165
	s_branch .LBB21_166
.LBB21_164:
                                        ; implicit-def: $vgpr114
.LBB21_165:
	ds_load_b32 v114, v113
.LBB21_166:
	s_and_saveexec_b32 s5, s0
	s_cbranch_execz .LBB21_176
; %bb.167:
	v_dual_add_nc_u32 v110, -11, v0 :: v_dual_add_nc_u32 v111, -10, v0
	s_delay_alu instid0(VALU_DEP_1)
	v_cmp_lt_u32_e32 vcc_lo, 6, v110
	v_mov_b32_e32 v110, 10
	s_and_saveexec_b32 s0, vcc_lo
	s_cbranch_execz .LBB21_171
; %bb.168:
	v_and_b32_e32 v110, -8, v111
	s_mov_b32 s6, 0
	s_mov_b64 s[2:3], 17
	s_movk_i32 s7, 0x88
	s_delay_alu instid0(VALU_DEP_1)
	v_sub_nc_u32_e32 v112, 0, v110
.LBB21_169:                             ; =>This Inner Loop Header: Depth=1
	s_add_co_i32 m0, s2, -7
	v_movrels_b32_e32 v115, v34
	v_mov_b32_e32 v110, s7
	s_add_co_i32 m0, s2, -6
	s_add_co_i32 s7, s7, 32
	v_movrels_b32_e32 v124, v34
	s_add_co_i32 m0, s2, -5
	ds_load_2addr_b64 v[116:119], v110 offset1:1
	ds_load_2addr_b64 v[120:123], v110 offset0:2 offset1:3
	v_movrels_b32_e32 v110, v34
	s_add_co_i32 m0, s2, -4
	s_wait_dscnt 0x1
	v_fmac_f32_e32 v114, v115, v116
	v_movrels_b32_e32 v115, v34
	s_add_co_i32 m0, s2, -3
	s_delay_alu instid0(VALU_DEP_2) | instskip(NEXT) | instid1(VALU_DEP_1)
	v_fmac_f32_e32 v114, v124, v117
	v_fmac_f32_e32 v114, v110, v118
	v_movrels_b32_e32 v110, v34
	s_add_co_i32 m0, s2, -2
	s_delay_alu instid0(VALU_DEP_2) | instskip(SKIP_3) | instid1(VALU_DEP_2)
	v_fmac_f32_e32 v114, v115, v119
	v_movrels_b32_e32 v115, v34
	s_add_co_i32 m0, s2, -1
	s_wait_dscnt 0x0
	v_fmac_f32_e32 v114, v110, v120
	v_movrels_b32_e32 v110, v34
	s_mov_b32 m0, s2
	s_add_nc_u64 s[2:3], s[2:3], 8
	v_movrels_b32_e32 v116, v34
	v_dual_fmac_f32 v114, v115, v121 :: v_dual_add_nc_u32 v115, s2, v112
	s_add_co_i32 s8, s2, -7
	s_delay_alu instid0(VALU_DEP_1) | instskip(NEXT) | instid1(VALU_DEP_2)
	v_fmac_f32_e32 v114, v110, v122
	v_cmp_eq_u32_e32 vcc_lo, 17, v115
	s_delay_alu instid0(VALU_DEP_2) | instskip(SKIP_1) | instid1(SALU_CYCLE_1)
	v_dual_mov_b32 v110, s8 :: v_dual_fmac_f32 v114, v116, v123
	s_or_b32 s6, vcc_lo, s6
	s_and_not1_b32 exec_lo, exec_lo, s6
	s_cbranch_execnz .LBB21_169
; %bb.170:
	s_or_b32 exec_lo, exec_lo, s6
.LBB21_171:
	s_delay_alu instid0(SALU_CYCLE_1) | instskip(SKIP_3) | instid1(VALU_DEP_1)
	s_or_b32 exec_lo, exec_lo, s0
	v_and_b32_e32 v56, 7, v111
	s_mov_b32 s2, 0
	s_mov_b32 s0, exec_lo
	v_cmpx_ne_u32_e32 0, v56
	s_cbranch_execz .LBB21_175
; %bb.172:
	v_lshl_add_u32 v57, v110, 2, 0x60
	v_mov_b32_e32 v111, 0
.LBB21_173:                             ; =>This Inner Loop Header: Depth=1
	v_cmp_eq_u32_e32 vcc_lo, 1, v110
	ds_load_b32 v59, v57
	v_dual_add_nc_u32 v56, -1, v56 :: v_dual_add_nc_u32 v57, 4, v57
	v_cndmask_b32_e32 v58, v34, v35, vcc_lo
	v_cmp_eq_u32_e32 vcc_lo, 2, v110
	s_delay_alu instid0(VALU_DEP_2) | instskip(SKIP_1) | instid1(VALU_DEP_2)
	v_cndmask_b32_e32 v58, v58, v36, vcc_lo
	v_cmp_eq_u32_e32 vcc_lo, 3, v110
	v_cndmask_b32_e32 v58, v58, v37, vcc_lo
	v_cmp_eq_u32_e32 vcc_lo, 4, v110
	s_delay_alu instid0(VALU_DEP_2) | instskip(SKIP_1) | instid1(VALU_DEP_2)
	v_cndmask_b32_e32 v58, v58, v38, vcc_lo
	v_cmp_eq_u32_e32 vcc_lo, 5, v110
	;; [unrolled: 5-line block ×9, first 2 shown]
	v_cndmask_b32_e32 v58, v58, v53, vcc_lo
	v_cmp_eq_u32_e32 vcc_lo, 20, v110
	s_delay_alu instid0(VALU_DEP_2) | instskip(SKIP_2) | instid1(VALU_DEP_3)
	v_cndmask_b32_e32 v58, v58, v54, vcc_lo
	v_cmp_eq_u32_e32 vcc_lo, 21, v110
	v_add_nc_u64_e32 v[110:111], 1, v[110:111]
	v_cndmask_b32_e32 v58, v58, v55, vcc_lo
	v_cmp_eq_u32_e32 vcc_lo, 0, v56
	s_wait_dscnt 0x0
	s_delay_alu instid0(VALU_DEP_2) | instskip(SKIP_1) | instid1(SALU_CYCLE_1)
	v_fmac_f32_e32 v114, v58, v59
	s_or_b32 s2, vcc_lo, s2
	s_and_not1_b32 exec_lo, exec_lo, s2
	s_cbranch_execnz .LBB21_173
; %bb.174:
	s_or_b32 exec_lo, exec_lo, s2
.LBB21_175:
	s_delay_alu instid0(SALU_CYCLE_1)
	s_or_b32 exec_lo, exec_lo, s0
.LBB21_176:
	s_delay_alu instid0(SALU_CYCLE_1)
	s_or_b32 exec_lo, exec_lo, s5
	v_mov_b32_e32 v43, 0
	ds_load_b32 v43, v43 offset:36
	s_wait_dscnt 0x0
	v_mul_f32_e32 v43, v114, v43
.LBB21_177:
	s_or_b32 exec_lo, exec_lo, s4
	v_cmp_lt_u32_e64 s0, 8, v0
	ds_store_b32 v113, v42
	s_wait_dscnt 0x0
	s_barrier_signal -1
	s_barrier_wait -1
	s_and_saveexec_b32 s4, s0
	s_cbranch_execz .LBB21_193
; %bb.178:
	s_and_not1_b32 vcc_lo, exec_lo, s26
	s_cbranch_vccnz .LBB21_180
; %bb.179:
	v_cmp_eq_u32_e32 vcc_lo, 1, v0
	ds_load_b32 v111, v113
	v_cndmask_b32_e32 v110, v34, v35, vcc_lo
	v_cmp_eq_u32_e32 vcc_lo, 2, v0
	s_delay_alu instid0(VALU_DEP_2) | instskip(SKIP_1) | instid1(VALU_DEP_2)
	v_cndmask_b32_e32 v110, v110, v36, vcc_lo
	v_cmp_eq_u32_e32 vcc_lo, 3, v0
	v_cndmask_b32_e32 v110, v110, v37, vcc_lo
	v_cmp_eq_u32_e32 vcc_lo, 4, v0
	s_delay_alu instid0(VALU_DEP_2) | instskip(SKIP_1) | instid1(VALU_DEP_2)
	v_cndmask_b32_e32 v110, v110, v38, vcc_lo
	v_cmp_eq_u32_e32 vcc_lo, 5, v0
	;; [unrolled: 5-line block ×10, first 2 shown]
	v_cndmask_b32_e32 v110, v110, v55, vcc_lo
	s_wait_dscnt 0x0
	s_delay_alu instid0(VALU_DEP_1)
	v_mul_f32_e32 v114, v110, v111
	s_cbranch_execz .LBB21_181
	s_branch .LBB21_182
.LBB21_180:
                                        ; implicit-def: $vgpr114
.LBB21_181:
	ds_load_b32 v114, v113
.LBB21_182:
	s_and_saveexec_b32 s5, s1
	s_cbranch_execz .LBB21_192
; %bb.183:
	v_dual_add_nc_u32 v110, -10, v0 :: v_dual_add_nc_u32 v111, -9, v0
	s_delay_alu instid0(VALU_DEP_1)
	v_cmp_lt_u32_e32 vcc_lo, 6, v110
	v_mov_b32_e32 v110, 9
	s_and_saveexec_b32 s1, vcc_lo
	s_cbranch_execz .LBB21_187
; %bb.184:
	v_and_b32_e32 v110, -8, v111
	s_mov_b32 s6, 0
	s_mov_b64 s[2:3], 16
	s_movk_i32 s7, 0x84
	s_delay_alu instid0(VALU_DEP_1)
	v_sub_nc_u32_e32 v112, 0, v110
.LBB21_185:                             ; =>This Inner Loop Header: Depth=1
	s_add_co_i32 m0, s2, -7
	v_movrels_b32_e32 v115, v34
	v_mov_b32_e32 v110, s7
	s_add_co_i32 m0, s2, -6
	s_add_co_i32 s7, s7, 32
	v_movrels_b32_e32 v124, v34
	ds_load_2addr_b32 v[116:117], v110 offset1:1
	ds_load_2addr_b32 v[118:119], v110 offset0:2 offset1:3
	s_add_co_i32 m0, s2, -5
	s_wait_dscnt 0x1
	v_fmac_f32_e32 v114, v115, v116
	ds_load_2addr_b32 v[120:121], v110 offset0:4 offset1:5
	ds_load_2addr_b32 v[122:123], v110 offset0:6 offset1:7
	v_movrels_b32_e32 v110, v34
	s_add_co_i32 m0, s2, -4
	v_fmac_f32_e32 v114, v124, v117
	v_movrels_b32_e32 v115, v34
	s_add_co_i32 m0, s2, -3
	s_wait_dscnt 0x2
	s_delay_alu instid0(VALU_DEP_2) | instskip(SKIP_2) | instid1(VALU_DEP_2)
	v_fmac_f32_e32 v114, v110, v118
	v_movrels_b32_e32 v110, v34
	s_add_co_i32 m0, s2, -2
	v_fmac_f32_e32 v114, v115, v119
	v_movrels_b32_e32 v115, v34
	s_add_co_i32 m0, s2, -1
	s_wait_dscnt 0x1
	s_delay_alu instid0(VALU_DEP_2)
	v_fmac_f32_e32 v114, v110, v120
	v_movrels_b32_e32 v110, v34
	s_mov_b32 m0, s2
	s_add_nc_u64 s[2:3], s[2:3], 8
	v_movrels_b32_e32 v116, v34
	v_dual_fmac_f32 v114, v115, v121 :: v_dual_add_nc_u32 v115, s2, v112
	s_add_co_i32 s8, s2, -7
	s_wait_dscnt 0x0
	s_delay_alu instid0(VALU_DEP_1) | instskip(NEXT) | instid1(VALU_DEP_2)
	v_fmac_f32_e32 v114, v110, v122
	v_cmp_eq_u32_e32 vcc_lo, 16, v115
	s_delay_alu instid0(VALU_DEP_2) | instskip(SKIP_1) | instid1(SALU_CYCLE_1)
	v_dual_mov_b32 v110, s8 :: v_dual_fmac_f32 v114, v116, v123
	s_or_b32 s6, vcc_lo, s6
	s_and_not1_b32 exec_lo, exec_lo, s6
	s_cbranch_execnz .LBB21_185
; %bb.186:
	s_or_b32 exec_lo, exec_lo, s6
.LBB21_187:
	s_delay_alu instid0(SALU_CYCLE_1) | instskip(SKIP_3) | instid1(VALU_DEP_1)
	s_or_b32 exec_lo, exec_lo, s1
	v_and_b32_e32 v56, 7, v111
	s_mov_b32 s2, 0
	s_mov_b32 s1, exec_lo
	v_cmpx_ne_u32_e32 0, v56
	s_cbranch_execz .LBB21_191
; %bb.188:
	v_lshl_add_u32 v57, v110, 2, 0x60
	v_mov_b32_e32 v111, 0
.LBB21_189:                             ; =>This Inner Loop Header: Depth=1
	v_cmp_eq_u32_e32 vcc_lo, 1, v110
	ds_load_b32 v59, v57
	v_dual_add_nc_u32 v56, -1, v56 :: v_dual_add_nc_u32 v57, 4, v57
	v_cndmask_b32_e32 v58, v34, v35, vcc_lo
	v_cmp_eq_u32_e32 vcc_lo, 2, v110
	s_delay_alu instid0(VALU_DEP_2) | instskip(SKIP_1) | instid1(VALU_DEP_2)
	v_cndmask_b32_e32 v58, v58, v36, vcc_lo
	v_cmp_eq_u32_e32 vcc_lo, 3, v110
	v_cndmask_b32_e32 v58, v58, v37, vcc_lo
	v_cmp_eq_u32_e32 vcc_lo, 4, v110
	s_delay_alu instid0(VALU_DEP_2) | instskip(SKIP_1) | instid1(VALU_DEP_2)
	v_cndmask_b32_e32 v58, v58, v38, vcc_lo
	v_cmp_eq_u32_e32 vcc_lo, 5, v110
	;; [unrolled: 5-line block ×9, first 2 shown]
	v_cndmask_b32_e32 v58, v58, v53, vcc_lo
	v_cmp_eq_u32_e32 vcc_lo, 20, v110
	s_delay_alu instid0(VALU_DEP_2) | instskip(SKIP_2) | instid1(VALU_DEP_3)
	v_cndmask_b32_e32 v58, v58, v54, vcc_lo
	v_cmp_eq_u32_e32 vcc_lo, 21, v110
	v_add_nc_u64_e32 v[110:111], 1, v[110:111]
	v_cndmask_b32_e32 v58, v58, v55, vcc_lo
	v_cmp_eq_u32_e32 vcc_lo, 0, v56
	s_wait_dscnt 0x0
	s_delay_alu instid0(VALU_DEP_2) | instskip(SKIP_1) | instid1(SALU_CYCLE_1)
	v_fmac_f32_e32 v114, v58, v59
	s_or_b32 s2, vcc_lo, s2
	s_and_not1_b32 exec_lo, exec_lo, s2
	s_cbranch_execnz .LBB21_189
; %bb.190:
	s_or_b32 exec_lo, exec_lo, s2
.LBB21_191:
	s_delay_alu instid0(SALU_CYCLE_1)
	s_or_b32 exec_lo, exec_lo, s1
.LBB21_192:
	s_delay_alu instid0(SALU_CYCLE_1)
	s_or_b32 exec_lo, exec_lo, s5
	v_mov_b32_e32 v42, 0
	ds_load_b32 v42, v42 offset:32
	s_wait_dscnt 0x0
	v_mul_f32_e32 v42, v114, v42
.LBB21_193:
	s_or_b32 exec_lo, exec_lo, s4
	v_cmp_lt_u32_e64 s1, 7, v0
	ds_store_b32 v113, v41
	s_wait_dscnt 0x0
	s_barrier_signal -1
	s_barrier_wait -1
	s_and_saveexec_b32 s4, s1
	s_cbranch_execz .LBB21_209
; %bb.194:
	s_and_not1_b32 vcc_lo, exec_lo, s26
	s_cbranch_vccnz .LBB21_196
; %bb.195:
	v_cmp_eq_u32_e32 vcc_lo, 1, v0
	ds_load_b32 v111, v113
	v_cndmask_b32_e32 v110, v34, v35, vcc_lo
	v_cmp_eq_u32_e32 vcc_lo, 2, v0
	s_delay_alu instid0(VALU_DEP_2) | instskip(SKIP_1) | instid1(VALU_DEP_2)
	v_cndmask_b32_e32 v110, v110, v36, vcc_lo
	v_cmp_eq_u32_e32 vcc_lo, 3, v0
	v_cndmask_b32_e32 v110, v110, v37, vcc_lo
	v_cmp_eq_u32_e32 vcc_lo, 4, v0
	s_delay_alu instid0(VALU_DEP_2) | instskip(SKIP_1) | instid1(VALU_DEP_2)
	v_cndmask_b32_e32 v110, v110, v38, vcc_lo
	v_cmp_eq_u32_e32 vcc_lo, 5, v0
	;; [unrolled: 5-line block ×10, first 2 shown]
	v_cndmask_b32_e32 v110, v110, v55, vcc_lo
	s_wait_dscnt 0x0
	s_delay_alu instid0(VALU_DEP_1)
	v_mul_f32_e32 v114, v110, v111
	s_cbranch_execz .LBB21_197
	s_branch .LBB21_198
.LBB21_196:
                                        ; implicit-def: $vgpr114
.LBB21_197:
	ds_load_b32 v114, v113
.LBB21_198:
	s_and_saveexec_b32 s5, s0
	s_cbranch_execz .LBB21_208
; %bb.199:
	v_add_nc_u32_e32 v110, -9, v0
	s_delay_alu instid0(VALU_DEP_1)
	v_cmp_lt_u32_e32 vcc_lo, 6, v110
	v_mov_b32_e32 v110, 8
	s_and_saveexec_b32 s0, vcc_lo
	s_cbranch_execz .LBB21_203
; %bb.200:
	v_and_b32_e32 v110, 24, v0
	s_mov_b32 s6, 0
	s_mov_b64 s[2:3], 15
	s_movk_i32 s7, 0x80
	s_delay_alu instid0(VALU_DEP_1)
	v_sub_nc_u32_e32 v112, 0, v110
.LBB21_201:                             ; =>This Inner Loop Header: Depth=1
	s_add_co_i32 m0, s2, -7
	v_movrels_b32_e32 v111, v34
	v_mov_b32_e32 v110, s7
	s_add_co_i32 m0, s2, -6
	s_add_co_i32 s7, s7, 32
	v_movrels_b32_e32 v115, v34
	s_add_co_i32 m0, s2, -5
	ds_load_b128 v[116:119], v110
	ds_load_b128 v[120:123], v110 offset:16
	v_movrels_b32_e32 v110, v34
	s_add_co_i32 m0, s2, -4
	s_wait_dscnt 0x1
	v_fmac_f32_e32 v114, v111, v116
	v_movrels_b32_e32 v111, v34
	s_add_co_i32 m0, s2, -3
	s_delay_alu instid0(VALU_DEP_2) | instskip(NEXT) | instid1(VALU_DEP_1)
	v_fmac_f32_e32 v114, v115, v117
	v_fmac_f32_e32 v114, v110, v118
	v_movrels_b32_e32 v110, v34
	s_add_co_i32 m0, s2, -2
	s_delay_alu instid0(VALU_DEP_2) | instskip(SKIP_3) | instid1(VALU_DEP_2)
	v_fmac_f32_e32 v114, v111, v119
	v_movrels_b32_e32 v111, v34
	s_add_co_i32 m0, s2, -1
	s_wait_dscnt 0x0
	v_fmac_f32_e32 v114, v110, v120
	v_movrels_b32_e32 v110, v34
	s_mov_b32 m0, s2
	s_add_nc_u64 s[2:3], s[2:3], 8
	v_movrels_b32_e32 v115, v34
	v_dual_fmac_f32 v114, v111, v121 :: v_dual_add_nc_u32 v111, s2, v112
	s_add_co_i32 s8, s2, -7
	s_delay_alu instid0(VALU_DEP_1) | instskip(NEXT) | instid1(VALU_DEP_2)
	v_fmac_f32_e32 v114, v110, v122
	v_cmp_eq_u32_e32 vcc_lo, 7, v111
	s_delay_alu instid0(VALU_DEP_2) | instskip(SKIP_1) | instid1(SALU_CYCLE_1)
	v_dual_mov_b32 v110, s8 :: v_dual_fmac_f32 v114, v115, v123
	s_or_b32 s6, vcc_lo, s6
	s_and_not1_b32 exec_lo, exec_lo, s6
	s_cbranch_execnz .LBB21_201
; %bb.202:
	s_or_b32 exec_lo, exec_lo, s6
.LBB21_203:
	s_delay_alu instid0(SALU_CYCLE_1) | instskip(SKIP_3) | instid1(VALU_DEP_1)
	s_or_b32 exec_lo, exec_lo, s0
	v_and_b32_e32 v56, 7, v0
	s_mov_b32 s2, 0
	s_mov_b32 s0, exec_lo
	v_cmpx_ne_u32_e32 0, v56
	s_cbranch_execz .LBB21_207
; %bb.204:
	v_lshl_add_u32 v57, v110, 2, 0x60
	v_mov_b32_e32 v111, 0
.LBB21_205:                             ; =>This Inner Loop Header: Depth=1
	v_cmp_eq_u32_e32 vcc_lo, 1, v110
	ds_load_b32 v59, v57
	v_dual_add_nc_u32 v56, -1, v56 :: v_dual_add_nc_u32 v57, 4, v57
	v_cndmask_b32_e32 v58, v34, v35, vcc_lo
	v_cmp_eq_u32_e32 vcc_lo, 2, v110
	s_delay_alu instid0(VALU_DEP_2) | instskip(SKIP_1) | instid1(VALU_DEP_2)
	v_cndmask_b32_e32 v58, v58, v36, vcc_lo
	v_cmp_eq_u32_e32 vcc_lo, 3, v110
	v_cndmask_b32_e32 v58, v58, v37, vcc_lo
	v_cmp_eq_u32_e32 vcc_lo, 4, v110
	s_delay_alu instid0(VALU_DEP_2) | instskip(SKIP_1) | instid1(VALU_DEP_2)
	v_cndmask_b32_e32 v58, v58, v38, vcc_lo
	v_cmp_eq_u32_e32 vcc_lo, 5, v110
	v_cndmask_b32_e32 v58, v58, v39, vcc_lo
	v_cmp_eq_u32_e32 vcc_lo, 6, v110
	s_delay_alu instid0(VALU_DEP_2) | instskip(SKIP_1) | instid1(VALU_DEP_2)
	v_cndmask_b32_e32 v58, v58, v40, vcc_lo
	v_cmp_eq_u32_e32 vcc_lo, 7, v110
	v_cndmask_b32_e32 v58, v58, v41, vcc_lo
	v_cmp_eq_u32_e32 vcc_lo, 8, v110
	s_delay_alu instid0(VALU_DEP_2) | instskip(SKIP_1) | instid1(VALU_DEP_2)
	v_cndmask_b32_e32 v58, v58, v42, vcc_lo
	v_cmp_eq_u32_e32 vcc_lo, 9, v110
	v_cndmask_b32_e32 v58, v58, v43, vcc_lo
	v_cmp_eq_u32_e32 vcc_lo, 10, v110
	s_delay_alu instid0(VALU_DEP_2) | instskip(SKIP_1) | instid1(VALU_DEP_2)
	v_cndmask_b32_e32 v58, v58, v44, vcc_lo
	v_cmp_eq_u32_e32 vcc_lo, 11, v110
	v_cndmask_b32_e32 v58, v58, v45, vcc_lo
	v_cmp_eq_u32_e32 vcc_lo, 12, v110
	s_delay_alu instid0(VALU_DEP_2) | instskip(SKIP_1) | instid1(VALU_DEP_2)
	v_cndmask_b32_e32 v58, v58, v46, vcc_lo
	v_cmp_eq_u32_e32 vcc_lo, 13, v110
	v_cndmask_b32_e32 v58, v58, v47, vcc_lo
	v_cmp_eq_u32_e32 vcc_lo, 14, v110
	s_delay_alu instid0(VALU_DEP_2) | instskip(SKIP_1) | instid1(VALU_DEP_2)
	v_cndmask_b32_e32 v58, v58, v48, vcc_lo
	v_cmp_eq_u32_e32 vcc_lo, 15, v110
	v_cndmask_b32_e32 v58, v58, v49, vcc_lo
	v_cmp_eq_u32_e32 vcc_lo, 16, v110
	s_delay_alu instid0(VALU_DEP_2) | instskip(SKIP_1) | instid1(VALU_DEP_2)
	v_cndmask_b32_e32 v58, v58, v50, vcc_lo
	v_cmp_eq_u32_e32 vcc_lo, 17, v110
	v_cndmask_b32_e32 v58, v58, v51, vcc_lo
	v_cmp_eq_u32_e32 vcc_lo, 18, v110
	s_delay_alu instid0(VALU_DEP_2) | instskip(SKIP_1) | instid1(VALU_DEP_2)
	v_cndmask_b32_e32 v58, v58, v52, vcc_lo
	v_cmp_eq_u32_e32 vcc_lo, 19, v110
	v_cndmask_b32_e32 v58, v58, v53, vcc_lo
	v_cmp_eq_u32_e32 vcc_lo, 20, v110
	s_delay_alu instid0(VALU_DEP_2) | instskip(SKIP_2) | instid1(VALU_DEP_3)
	v_cndmask_b32_e32 v58, v58, v54, vcc_lo
	v_cmp_eq_u32_e32 vcc_lo, 21, v110
	v_add_nc_u64_e32 v[110:111], 1, v[110:111]
	v_cndmask_b32_e32 v58, v58, v55, vcc_lo
	v_cmp_eq_u32_e32 vcc_lo, 0, v56
	s_wait_dscnt 0x0
	s_delay_alu instid0(VALU_DEP_2) | instskip(SKIP_1) | instid1(SALU_CYCLE_1)
	v_fmac_f32_e32 v114, v58, v59
	s_or_b32 s2, vcc_lo, s2
	s_and_not1_b32 exec_lo, exec_lo, s2
	s_cbranch_execnz .LBB21_205
; %bb.206:
	s_or_b32 exec_lo, exec_lo, s2
.LBB21_207:
	s_delay_alu instid0(SALU_CYCLE_1)
	s_or_b32 exec_lo, exec_lo, s0
.LBB21_208:
	s_delay_alu instid0(SALU_CYCLE_1)
	s_or_b32 exec_lo, exec_lo, s5
	v_mov_b32_e32 v41, 0
	ds_load_b32 v41, v41 offset:28
	s_wait_dscnt 0x0
	v_mul_f32_e32 v41, v114, v41
.LBB21_209:
	s_or_b32 exec_lo, exec_lo, s4
	v_cmp_lt_u32_e64 s0, 6, v0
	ds_store_b32 v113, v40
	s_wait_dscnt 0x0
	s_barrier_signal -1
	s_barrier_wait -1
	s_and_saveexec_b32 s4, s0
	s_cbranch_execz .LBB21_225
; %bb.210:
	s_and_not1_b32 vcc_lo, exec_lo, s26
	s_cbranch_vccnz .LBB21_212
; %bb.211:
	v_cmp_eq_u32_e32 vcc_lo, 1, v0
	ds_load_b32 v111, v113
	v_cndmask_b32_e32 v110, v34, v35, vcc_lo
	v_cmp_eq_u32_e32 vcc_lo, 2, v0
	s_delay_alu instid0(VALU_DEP_2) | instskip(SKIP_1) | instid1(VALU_DEP_2)
	v_cndmask_b32_e32 v110, v110, v36, vcc_lo
	v_cmp_eq_u32_e32 vcc_lo, 3, v0
	v_cndmask_b32_e32 v110, v110, v37, vcc_lo
	v_cmp_eq_u32_e32 vcc_lo, 4, v0
	s_delay_alu instid0(VALU_DEP_2) | instskip(SKIP_1) | instid1(VALU_DEP_2)
	v_cndmask_b32_e32 v110, v110, v38, vcc_lo
	v_cmp_eq_u32_e32 vcc_lo, 5, v0
	;; [unrolled: 5-line block ×10, first 2 shown]
	v_cndmask_b32_e32 v110, v110, v55, vcc_lo
	s_wait_dscnt 0x0
	s_delay_alu instid0(VALU_DEP_1)
	v_mul_f32_e32 v114, v110, v111
	s_cbranch_execz .LBB21_213
	s_branch .LBB21_214
.LBB21_212:
                                        ; implicit-def: $vgpr114
.LBB21_213:
	ds_load_b32 v114, v113
.LBB21_214:
	s_and_saveexec_b32 s5, s1
	s_cbranch_execz .LBB21_224
; %bb.215:
	v_dual_add_nc_u32 v110, -8, v0 :: v_dual_add_nc_u32 v111, -7, v0
	s_delay_alu instid0(VALU_DEP_1)
	v_cmp_lt_u32_e32 vcc_lo, 6, v110
	v_mov_b32_e32 v110, 7
	s_and_saveexec_b32 s1, vcc_lo
	s_cbranch_execz .LBB21_219
; %bb.216:
	v_and_b32_e32 v110, -8, v111
	s_mov_b32 s6, 0
	s_mov_b64 s[2:3], 14
	s_movk_i32 s7, 0x7c
	s_delay_alu instid0(VALU_DEP_1)
	v_sub_nc_u32_e32 v112, 0, v110
.LBB21_217:                             ; =>This Inner Loop Header: Depth=1
	s_add_co_i32 m0, s2, -7
	v_movrels_b32_e32 v115, v34
	v_mov_b32_e32 v110, s7
	s_add_co_i32 m0, s2, -6
	s_add_co_i32 s7, s7, 32
	v_movrels_b32_e32 v124, v34
	ds_load_2addr_b32 v[116:117], v110 offset1:1
	ds_load_2addr_b32 v[118:119], v110 offset0:2 offset1:3
	s_add_co_i32 m0, s2, -5
	s_wait_dscnt 0x1
	v_fmac_f32_e32 v114, v115, v116
	ds_load_2addr_b32 v[120:121], v110 offset0:4 offset1:5
	ds_load_2addr_b32 v[122:123], v110 offset0:6 offset1:7
	v_movrels_b32_e32 v110, v34
	s_add_co_i32 m0, s2, -4
	v_fmac_f32_e32 v114, v124, v117
	v_movrels_b32_e32 v115, v34
	s_add_co_i32 m0, s2, -3
	s_wait_dscnt 0x2
	s_delay_alu instid0(VALU_DEP_2) | instskip(SKIP_2) | instid1(VALU_DEP_2)
	v_fmac_f32_e32 v114, v110, v118
	v_movrels_b32_e32 v110, v34
	s_add_co_i32 m0, s2, -2
	v_fmac_f32_e32 v114, v115, v119
	v_movrels_b32_e32 v115, v34
	s_add_co_i32 m0, s2, -1
	s_wait_dscnt 0x1
	s_delay_alu instid0(VALU_DEP_2)
	v_fmac_f32_e32 v114, v110, v120
	v_movrels_b32_e32 v110, v34
	s_mov_b32 m0, s2
	s_add_nc_u64 s[2:3], s[2:3], 8
	v_movrels_b32_e32 v116, v34
	v_dual_fmac_f32 v114, v115, v121 :: v_dual_add_nc_u32 v115, s2, v112
	s_add_co_i32 s8, s2, -7
	s_wait_dscnt 0x0
	s_delay_alu instid0(VALU_DEP_1) | instskip(NEXT) | instid1(VALU_DEP_2)
	v_fmac_f32_e32 v114, v110, v122
	v_cmp_eq_u32_e32 vcc_lo, 14, v115
	s_delay_alu instid0(VALU_DEP_2) | instskip(SKIP_1) | instid1(SALU_CYCLE_1)
	v_dual_mov_b32 v110, s8 :: v_dual_fmac_f32 v114, v116, v123
	s_or_b32 s6, vcc_lo, s6
	s_and_not1_b32 exec_lo, exec_lo, s6
	s_cbranch_execnz .LBB21_217
; %bb.218:
	s_or_b32 exec_lo, exec_lo, s6
.LBB21_219:
	s_delay_alu instid0(SALU_CYCLE_1) | instskip(SKIP_3) | instid1(VALU_DEP_1)
	s_or_b32 exec_lo, exec_lo, s1
	v_and_b32_e32 v56, 7, v111
	s_mov_b32 s2, 0
	s_mov_b32 s1, exec_lo
	v_cmpx_ne_u32_e32 0, v56
	s_cbranch_execz .LBB21_223
; %bb.220:
	v_lshl_add_u32 v57, v110, 2, 0x60
	v_mov_b32_e32 v111, 0
.LBB21_221:                             ; =>This Inner Loop Header: Depth=1
	v_cmp_eq_u32_e32 vcc_lo, 1, v110
	ds_load_b32 v59, v57
	v_dual_add_nc_u32 v56, -1, v56 :: v_dual_add_nc_u32 v57, 4, v57
	v_cndmask_b32_e32 v58, v34, v35, vcc_lo
	v_cmp_eq_u32_e32 vcc_lo, 2, v110
	s_delay_alu instid0(VALU_DEP_2) | instskip(SKIP_1) | instid1(VALU_DEP_2)
	v_cndmask_b32_e32 v58, v58, v36, vcc_lo
	v_cmp_eq_u32_e32 vcc_lo, 3, v110
	v_cndmask_b32_e32 v58, v58, v37, vcc_lo
	v_cmp_eq_u32_e32 vcc_lo, 4, v110
	s_delay_alu instid0(VALU_DEP_2) | instskip(SKIP_1) | instid1(VALU_DEP_2)
	v_cndmask_b32_e32 v58, v58, v38, vcc_lo
	v_cmp_eq_u32_e32 vcc_lo, 5, v110
	;; [unrolled: 5-line block ×9, first 2 shown]
	v_cndmask_b32_e32 v58, v58, v53, vcc_lo
	v_cmp_eq_u32_e32 vcc_lo, 20, v110
	s_delay_alu instid0(VALU_DEP_2) | instskip(SKIP_2) | instid1(VALU_DEP_3)
	v_cndmask_b32_e32 v58, v58, v54, vcc_lo
	v_cmp_eq_u32_e32 vcc_lo, 21, v110
	v_add_nc_u64_e32 v[110:111], 1, v[110:111]
	v_cndmask_b32_e32 v58, v58, v55, vcc_lo
	v_cmp_eq_u32_e32 vcc_lo, 0, v56
	s_wait_dscnt 0x0
	s_delay_alu instid0(VALU_DEP_2) | instskip(SKIP_1) | instid1(SALU_CYCLE_1)
	v_fmac_f32_e32 v114, v58, v59
	s_or_b32 s2, vcc_lo, s2
	s_and_not1_b32 exec_lo, exec_lo, s2
	s_cbranch_execnz .LBB21_221
; %bb.222:
	s_or_b32 exec_lo, exec_lo, s2
.LBB21_223:
	s_delay_alu instid0(SALU_CYCLE_1)
	s_or_b32 exec_lo, exec_lo, s1
.LBB21_224:
	s_delay_alu instid0(SALU_CYCLE_1)
	s_or_b32 exec_lo, exec_lo, s5
	v_mov_b32_e32 v40, 0
	ds_load_b32 v40, v40 offset:24
	s_wait_dscnt 0x0
	v_mul_f32_e32 v40, v114, v40
.LBB21_225:
	s_or_b32 exec_lo, exec_lo, s4
	v_cmp_lt_u32_e64 s1, 5, v0
	ds_store_b32 v113, v39
	s_wait_dscnt 0x0
	s_barrier_signal -1
	s_barrier_wait -1
	s_and_saveexec_b32 s4, s1
	s_cbranch_execz .LBB21_241
; %bb.226:
	s_and_not1_b32 vcc_lo, exec_lo, s26
	s_cbranch_vccnz .LBB21_228
; %bb.227:
	v_cmp_eq_u32_e32 vcc_lo, 1, v0
	ds_load_b32 v111, v113
	v_cndmask_b32_e32 v110, v34, v35, vcc_lo
	v_cmp_eq_u32_e32 vcc_lo, 2, v0
	s_delay_alu instid0(VALU_DEP_2) | instskip(SKIP_1) | instid1(VALU_DEP_2)
	v_cndmask_b32_e32 v110, v110, v36, vcc_lo
	v_cmp_eq_u32_e32 vcc_lo, 3, v0
	v_cndmask_b32_e32 v110, v110, v37, vcc_lo
	v_cmp_eq_u32_e32 vcc_lo, 4, v0
	s_delay_alu instid0(VALU_DEP_2) | instskip(SKIP_1) | instid1(VALU_DEP_2)
	v_cndmask_b32_e32 v110, v110, v38, vcc_lo
	v_cmp_eq_u32_e32 vcc_lo, 5, v0
	v_cndmask_b32_e32 v110, v110, v39, vcc_lo
	v_cmp_eq_u32_e32 vcc_lo, 6, v0
	s_delay_alu instid0(VALU_DEP_2) | instskip(SKIP_1) | instid1(VALU_DEP_2)
	v_cndmask_b32_e32 v110, v110, v40, vcc_lo
	v_cmp_eq_u32_e32 vcc_lo, 7, v0
	v_cndmask_b32_e32 v110, v110, v41, vcc_lo
	v_cmp_eq_u32_e32 vcc_lo, 8, v0
	s_delay_alu instid0(VALU_DEP_2) | instskip(SKIP_1) | instid1(VALU_DEP_2)
	v_cndmask_b32_e32 v110, v110, v42, vcc_lo
	v_cmp_eq_u32_e32 vcc_lo, 9, v0
	v_cndmask_b32_e32 v110, v110, v43, vcc_lo
	v_cmp_eq_u32_e32 vcc_lo, 10, v0
	s_delay_alu instid0(VALU_DEP_2) | instskip(SKIP_1) | instid1(VALU_DEP_2)
	v_cndmask_b32_e32 v110, v110, v44, vcc_lo
	v_cmp_eq_u32_e32 vcc_lo, 11, v0
	v_cndmask_b32_e32 v110, v110, v45, vcc_lo
	v_cmp_eq_u32_e32 vcc_lo, 12, v0
	s_delay_alu instid0(VALU_DEP_2) | instskip(SKIP_1) | instid1(VALU_DEP_2)
	v_cndmask_b32_e32 v110, v110, v46, vcc_lo
	v_cmp_eq_u32_e32 vcc_lo, 13, v0
	v_cndmask_b32_e32 v110, v110, v47, vcc_lo
	v_cmp_eq_u32_e32 vcc_lo, 14, v0
	s_delay_alu instid0(VALU_DEP_2) | instskip(SKIP_1) | instid1(VALU_DEP_2)
	v_cndmask_b32_e32 v110, v110, v48, vcc_lo
	v_cmp_eq_u32_e32 vcc_lo, 15, v0
	v_cndmask_b32_e32 v110, v110, v49, vcc_lo
	v_cmp_eq_u32_e32 vcc_lo, 16, v0
	s_delay_alu instid0(VALU_DEP_2) | instskip(SKIP_1) | instid1(VALU_DEP_2)
	v_cndmask_b32_e32 v110, v110, v50, vcc_lo
	v_cmp_eq_u32_e32 vcc_lo, 17, v0
	v_cndmask_b32_e32 v110, v110, v51, vcc_lo
	v_cmp_eq_u32_e32 vcc_lo, 18, v0
	s_delay_alu instid0(VALU_DEP_2) | instskip(SKIP_1) | instid1(VALU_DEP_2)
	v_cndmask_b32_e32 v110, v110, v52, vcc_lo
	v_cmp_eq_u32_e32 vcc_lo, 19, v0
	v_cndmask_b32_e32 v110, v110, v53, vcc_lo
	v_cmp_eq_u32_e32 vcc_lo, 20, v0
	s_delay_alu instid0(VALU_DEP_2) | instskip(SKIP_1) | instid1(VALU_DEP_2)
	v_cndmask_b32_e32 v110, v110, v54, vcc_lo
	v_cmp_eq_u32_e32 vcc_lo, 21, v0
	v_cndmask_b32_e32 v110, v110, v55, vcc_lo
	s_wait_dscnt 0x0
	s_delay_alu instid0(VALU_DEP_1)
	v_mul_f32_e32 v114, v110, v111
	s_cbranch_execz .LBB21_229
	s_branch .LBB21_230
.LBB21_228:
                                        ; implicit-def: $vgpr114
.LBB21_229:
	ds_load_b32 v114, v113
.LBB21_230:
	s_and_saveexec_b32 s5, s0
	s_cbranch_execz .LBB21_240
; %bb.231:
	v_dual_add_nc_u32 v112, -7, v0 :: v_dual_add_nc_u32 v111, -6, v0
	v_mov_b32_e32 v110, 6
	s_mov_b32 s0, exec_lo
	s_delay_alu instid0(VALU_DEP_2)
	v_cmpx_lt_u32_e32 6, v112
	s_cbranch_execz .LBB21_235
; %bb.232:
	v_and_b32_e32 v110, -8, v111
	s_mov_b32 s6, 0
	s_mov_b64 s[2:3], 13
	s_movk_i32 s7, 0x78
	s_delay_alu instid0(VALU_DEP_1)
	v_sub_nc_u32_e32 v112, 0, v110
.LBB21_233:                             ; =>This Inner Loop Header: Depth=1
	s_add_co_i32 m0, s2, -7
	v_movrels_b32_e32 v115, v34
	v_mov_b32_e32 v110, s7
	s_add_co_i32 m0, s2, -6
	s_add_co_i32 s7, s7, 32
	v_movrels_b32_e32 v124, v34
	s_add_co_i32 m0, s2, -5
	ds_load_2addr_b64 v[116:119], v110 offset1:1
	ds_load_2addr_b64 v[120:123], v110 offset0:2 offset1:3
	v_movrels_b32_e32 v110, v34
	s_add_co_i32 m0, s2, -4
	s_wait_dscnt 0x1
	v_fmac_f32_e32 v114, v115, v116
	v_movrels_b32_e32 v115, v34
	s_add_co_i32 m0, s2, -3
	s_delay_alu instid0(VALU_DEP_2) | instskip(NEXT) | instid1(VALU_DEP_1)
	v_fmac_f32_e32 v114, v124, v117
	v_fmac_f32_e32 v114, v110, v118
	v_movrels_b32_e32 v110, v34
	s_add_co_i32 m0, s2, -2
	s_delay_alu instid0(VALU_DEP_2) | instskip(SKIP_3) | instid1(VALU_DEP_2)
	v_fmac_f32_e32 v114, v115, v119
	v_movrels_b32_e32 v115, v34
	s_add_co_i32 m0, s2, -1
	s_wait_dscnt 0x0
	v_fmac_f32_e32 v114, v110, v120
	v_movrels_b32_e32 v110, v34
	s_mov_b32 m0, s2
	s_add_nc_u64 s[2:3], s[2:3], 8
	v_movrels_b32_e32 v116, v34
	v_dual_fmac_f32 v114, v115, v121 :: v_dual_add_nc_u32 v115, s2, v112
	s_add_co_i32 s8, s2, -7
	s_delay_alu instid0(VALU_DEP_1) | instskip(NEXT) | instid1(VALU_DEP_2)
	v_fmac_f32_e32 v114, v110, v122
	v_cmp_eq_u32_e32 vcc_lo, 13, v115
	s_delay_alu instid0(VALU_DEP_2) | instskip(SKIP_1) | instid1(SALU_CYCLE_1)
	v_dual_mov_b32 v110, s8 :: v_dual_fmac_f32 v114, v116, v123
	s_or_b32 s6, vcc_lo, s6
	s_and_not1_b32 exec_lo, exec_lo, s6
	s_cbranch_execnz .LBB21_233
; %bb.234:
	s_or_b32 exec_lo, exec_lo, s6
.LBB21_235:
	s_delay_alu instid0(SALU_CYCLE_1) | instskip(SKIP_3) | instid1(VALU_DEP_1)
	s_or_b32 exec_lo, exec_lo, s0
	v_and_b32_e32 v56, 7, v111
	s_mov_b32 s2, 0
	s_mov_b32 s0, exec_lo
	v_cmpx_ne_u32_e32 0, v56
	s_cbranch_execz .LBB21_239
; %bb.236:
	v_lshl_add_u32 v57, v110, 2, 0x60
	v_mov_b32_e32 v111, 0
.LBB21_237:                             ; =>This Inner Loop Header: Depth=1
	v_cmp_eq_u32_e32 vcc_lo, 1, v110
	ds_load_b32 v59, v57
	v_dual_add_nc_u32 v56, -1, v56 :: v_dual_add_nc_u32 v57, 4, v57
	v_cndmask_b32_e32 v58, v34, v35, vcc_lo
	v_cmp_eq_u32_e32 vcc_lo, 2, v110
	s_delay_alu instid0(VALU_DEP_2) | instskip(SKIP_1) | instid1(VALU_DEP_2)
	v_cndmask_b32_e32 v58, v58, v36, vcc_lo
	v_cmp_eq_u32_e32 vcc_lo, 3, v110
	v_cndmask_b32_e32 v58, v58, v37, vcc_lo
	v_cmp_eq_u32_e32 vcc_lo, 4, v110
	s_delay_alu instid0(VALU_DEP_2) | instskip(SKIP_1) | instid1(VALU_DEP_2)
	v_cndmask_b32_e32 v58, v58, v38, vcc_lo
	v_cmp_eq_u32_e32 vcc_lo, 5, v110
	;; [unrolled: 5-line block ×9, first 2 shown]
	v_cndmask_b32_e32 v58, v58, v53, vcc_lo
	v_cmp_eq_u32_e32 vcc_lo, 20, v110
	s_delay_alu instid0(VALU_DEP_2) | instskip(SKIP_2) | instid1(VALU_DEP_3)
	v_cndmask_b32_e32 v58, v58, v54, vcc_lo
	v_cmp_eq_u32_e32 vcc_lo, 21, v110
	v_add_nc_u64_e32 v[110:111], 1, v[110:111]
	v_cndmask_b32_e32 v58, v58, v55, vcc_lo
	v_cmp_eq_u32_e32 vcc_lo, 0, v56
	s_wait_dscnt 0x0
	s_delay_alu instid0(VALU_DEP_2) | instskip(SKIP_1) | instid1(SALU_CYCLE_1)
	v_fmac_f32_e32 v114, v58, v59
	s_or_b32 s2, vcc_lo, s2
	s_and_not1_b32 exec_lo, exec_lo, s2
	s_cbranch_execnz .LBB21_237
; %bb.238:
	s_or_b32 exec_lo, exec_lo, s2
.LBB21_239:
	s_delay_alu instid0(SALU_CYCLE_1)
	s_or_b32 exec_lo, exec_lo, s0
.LBB21_240:
	s_delay_alu instid0(SALU_CYCLE_1)
	s_or_b32 exec_lo, exec_lo, s5
	v_mov_b32_e32 v39, 0
	ds_load_b32 v39, v39 offset:20
	s_wait_dscnt 0x0
	v_mul_f32_e32 v39, v114, v39
.LBB21_241:
	s_or_b32 exec_lo, exec_lo, s4
	v_cmp_lt_u32_e64 s0, 4, v0
	ds_store_b32 v113, v38
	s_wait_dscnt 0x0
	s_barrier_signal -1
	s_barrier_wait -1
	s_and_saveexec_b32 s4, s0
	s_cbranch_execz .LBB21_257
; %bb.242:
	s_and_not1_b32 vcc_lo, exec_lo, s26
	s_cbranch_vccnz .LBB21_244
; %bb.243:
	v_cmp_eq_u32_e32 vcc_lo, 1, v0
	ds_load_b32 v111, v113
	v_cndmask_b32_e32 v110, v34, v35, vcc_lo
	v_cmp_eq_u32_e32 vcc_lo, 2, v0
	s_delay_alu instid0(VALU_DEP_2) | instskip(SKIP_1) | instid1(VALU_DEP_2)
	v_cndmask_b32_e32 v110, v110, v36, vcc_lo
	v_cmp_eq_u32_e32 vcc_lo, 3, v0
	v_cndmask_b32_e32 v110, v110, v37, vcc_lo
	v_cmp_eq_u32_e32 vcc_lo, 4, v0
	s_delay_alu instid0(VALU_DEP_2) | instskip(SKIP_1) | instid1(VALU_DEP_2)
	v_cndmask_b32_e32 v110, v110, v38, vcc_lo
	v_cmp_eq_u32_e32 vcc_lo, 5, v0
	v_cndmask_b32_e32 v110, v110, v39, vcc_lo
	v_cmp_eq_u32_e32 vcc_lo, 6, v0
	s_delay_alu instid0(VALU_DEP_2) | instskip(SKIP_1) | instid1(VALU_DEP_2)
	v_cndmask_b32_e32 v110, v110, v40, vcc_lo
	v_cmp_eq_u32_e32 vcc_lo, 7, v0
	v_cndmask_b32_e32 v110, v110, v41, vcc_lo
	v_cmp_eq_u32_e32 vcc_lo, 8, v0
	s_delay_alu instid0(VALU_DEP_2) | instskip(SKIP_1) | instid1(VALU_DEP_2)
	v_cndmask_b32_e32 v110, v110, v42, vcc_lo
	v_cmp_eq_u32_e32 vcc_lo, 9, v0
	v_cndmask_b32_e32 v110, v110, v43, vcc_lo
	v_cmp_eq_u32_e32 vcc_lo, 10, v0
	s_delay_alu instid0(VALU_DEP_2) | instskip(SKIP_1) | instid1(VALU_DEP_2)
	v_cndmask_b32_e32 v110, v110, v44, vcc_lo
	v_cmp_eq_u32_e32 vcc_lo, 11, v0
	v_cndmask_b32_e32 v110, v110, v45, vcc_lo
	v_cmp_eq_u32_e32 vcc_lo, 12, v0
	s_delay_alu instid0(VALU_DEP_2) | instskip(SKIP_1) | instid1(VALU_DEP_2)
	v_cndmask_b32_e32 v110, v110, v46, vcc_lo
	v_cmp_eq_u32_e32 vcc_lo, 13, v0
	v_cndmask_b32_e32 v110, v110, v47, vcc_lo
	v_cmp_eq_u32_e32 vcc_lo, 14, v0
	s_delay_alu instid0(VALU_DEP_2) | instskip(SKIP_1) | instid1(VALU_DEP_2)
	v_cndmask_b32_e32 v110, v110, v48, vcc_lo
	v_cmp_eq_u32_e32 vcc_lo, 15, v0
	v_cndmask_b32_e32 v110, v110, v49, vcc_lo
	v_cmp_eq_u32_e32 vcc_lo, 16, v0
	s_delay_alu instid0(VALU_DEP_2) | instskip(SKIP_1) | instid1(VALU_DEP_2)
	v_cndmask_b32_e32 v110, v110, v50, vcc_lo
	v_cmp_eq_u32_e32 vcc_lo, 17, v0
	v_cndmask_b32_e32 v110, v110, v51, vcc_lo
	v_cmp_eq_u32_e32 vcc_lo, 18, v0
	s_delay_alu instid0(VALU_DEP_2) | instskip(SKIP_1) | instid1(VALU_DEP_2)
	v_cndmask_b32_e32 v110, v110, v52, vcc_lo
	v_cmp_eq_u32_e32 vcc_lo, 19, v0
	v_cndmask_b32_e32 v110, v110, v53, vcc_lo
	v_cmp_eq_u32_e32 vcc_lo, 20, v0
	s_delay_alu instid0(VALU_DEP_2) | instskip(SKIP_1) | instid1(VALU_DEP_2)
	v_cndmask_b32_e32 v110, v110, v54, vcc_lo
	v_cmp_eq_u32_e32 vcc_lo, 21, v0
	v_cndmask_b32_e32 v110, v110, v55, vcc_lo
	s_wait_dscnt 0x0
	s_delay_alu instid0(VALU_DEP_1)
	v_mul_f32_e32 v114, v110, v111
	s_cbranch_execz .LBB21_245
	s_branch .LBB21_246
.LBB21_244:
                                        ; implicit-def: $vgpr114
.LBB21_245:
	ds_load_b32 v114, v113
.LBB21_246:
	s_and_saveexec_b32 s5, s1
	s_cbranch_execz .LBB21_256
; %bb.247:
	v_dual_add_nc_u32 v110, -6, v0 :: v_dual_add_nc_u32 v111, -5, v0
	s_delay_alu instid0(VALU_DEP_1)
	v_cmp_lt_u32_e32 vcc_lo, 6, v110
	v_mov_b32_e32 v110, 5
	s_and_saveexec_b32 s1, vcc_lo
	s_cbranch_execz .LBB21_251
; %bb.248:
	v_and_b32_e32 v110, -8, v111
	s_mov_b32 s6, 0
	s_mov_b64 s[2:3], 12
	s_movk_i32 s7, 0x74
	s_delay_alu instid0(VALU_DEP_1)
	v_sub_nc_u32_e32 v112, 0, v110
.LBB21_249:                             ; =>This Inner Loop Header: Depth=1
	s_add_co_i32 m0, s2, -7
	v_movrels_b32_e32 v115, v34
	v_mov_b32_e32 v110, s7
	s_add_co_i32 m0, s2, -6
	s_add_co_i32 s7, s7, 32
	v_movrels_b32_e32 v124, v34
	ds_load_2addr_b32 v[116:117], v110 offset1:1
	ds_load_2addr_b32 v[118:119], v110 offset0:2 offset1:3
	s_add_co_i32 m0, s2, -5
	s_wait_dscnt 0x1
	v_fmac_f32_e32 v114, v115, v116
	ds_load_2addr_b32 v[120:121], v110 offset0:4 offset1:5
	ds_load_2addr_b32 v[122:123], v110 offset0:6 offset1:7
	v_movrels_b32_e32 v110, v34
	s_add_co_i32 m0, s2, -4
	v_fmac_f32_e32 v114, v124, v117
	v_movrels_b32_e32 v115, v34
	s_add_co_i32 m0, s2, -3
	s_wait_dscnt 0x2
	s_delay_alu instid0(VALU_DEP_2) | instskip(SKIP_2) | instid1(VALU_DEP_2)
	v_fmac_f32_e32 v114, v110, v118
	v_movrels_b32_e32 v110, v34
	s_add_co_i32 m0, s2, -2
	v_fmac_f32_e32 v114, v115, v119
	v_movrels_b32_e32 v115, v34
	s_add_co_i32 m0, s2, -1
	s_wait_dscnt 0x1
	s_delay_alu instid0(VALU_DEP_2)
	v_fmac_f32_e32 v114, v110, v120
	v_movrels_b32_e32 v110, v34
	s_mov_b32 m0, s2
	s_add_nc_u64 s[2:3], s[2:3], 8
	v_movrels_b32_e32 v116, v34
	v_dual_fmac_f32 v114, v115, v121 :: v_dual_add_nc_u32 v115, s2, v112
	s_add_co_i32 s8, s2, -7
	s_wait_dscnt 0x0
	s_delay_alu instid0(VALU_DEP_1) | instskip(NEXT) | instid1(VALU_DEP_2)
	v_fmac_f32_e32 v114, v110, v122
	v_cmp_eq_u32_e32 vcc_lo, 12, v115
	s_delay_alu instid0(VALU_DEP_2) | instskip(SKIP_1) | instid1(SALU_CYCLE_1)
	v_dual_mov_b32 v110, s8 :: v_dual_fmac_f32 v114, v116, v123
	s_or_b32 s6, vcc_lo, s6
	s_and_not1_b32 exec_lo, exec_lo, s6
	s_cbranch_execnz .LBB21_249
; %bb.250:
	s_or_b32 exec_lo, exec_lo, s6
.LBB21_251:
	s_delay_alu instid0(SALU_CYCLE_1) | instskip(SKIP_3) | instid1(VALU_DEP_1)
	s_or_b32 exec_lo, exec_lo, s1
	v_and_b32_e32 v56, 7, v111
	s_mov_b32 s2, 0
	s_mov_b32 s1, exec_lo
	v_cmpx_ne_u32_e32 0, v56
	s_cbranch_execz .LBB21_255
; %bb.252:
	v_lshl_add_u32 v57, v110, 2, 0x60
	v_mov_b32_e32 v111, 0
.LBB21_253:                             ; =>This Inner Loop Header: Depth=1
	v_cmp_eq_u32_e32 vcc_lo, 1, v110
	ds_load_b32 v59, v57
	v_dual_add_nc_u32 v56, -1, v56 :: v_dual_add_nc_u32 v57, 4, v57
	v_cndmask_b32_e32 v58, v34, v35, vcc_lo
	v_cmp_eq_u32_e32 vcc_lo, 2, v110
	s_delay_alu instid0(VALU_DEP_2) | instskip(SKIP_1) | instid1(VALU_DEP_2)
	v_cndmask_b32_e32 v58, v58, v36, vcc_lo
	v_cmp_eq_u32_e32 vcc_lo, 3, v110
	v_cndmask_b32_e32 v58, v58, v37, vcc_lo
	v_cmp_eq_u32_e32 vcc_lo, 4, v110
	s_delay_alu instid0(VALU_DEP_2) | instskip(SKIP_1) | instid1(VALU_DEP_2)
	v_cndmask_b32_e32 v58, v58, v38, vcc_lo
	v_cmp_eq_u32_e32 vcc_lo, 5, v110
	;; [unrolled: 5-line block ×9, first 2 shown]
	v_cndmask_b32_e32 v58, v58, v53, vcc_lo
	v_cmp_eq_u32_e32 vcc_lo, 20, v110
	s_delay_alu instid0(VALU_DEP_2) | instskip(SKIP_2) | instid1(VALU_DEP_3)
	v_cndmask_b32_e32 v58, v58, v54, vcc_lo
	v_cmp_eq_u32_e32 vcc_lo, 21, v110
	v_add_nc_u64_e32 v[110:111], 1, v[110:111]
	v_cndmask_b32_e32 v58, v58, v55, vcc_lo
	v_cmp_eq_u32_e32 vcc_lo, 0, v56
	s_wait_dscnt 0x0
	s_delay_alu instid0(VALU_DEP_2) | instskip(SKIP_1) | instid1(SALU_CYCLE_1)
	v_fmac_f32_e32 v114, v58, v59
	s_or_b32 s2, vcc_lo, s2
	s_and_not1_b32 exec_lo, exec_lo, s2
	s_cbranch_execnz .LBB21_253
; %bb.254:
	s_or_b32 exec_lo, exec_lo, s2
.LBB21_255:
	s_delay_alu instid0(SALU_CYCLE_1)
	s_or_b32 exec_lo, exec_lo, s1
.LBB21_256:
	s_delay_alu instid0(SALU_CYCLE_1)
	s_or_b32 exec_lo, exec_lo, s5
	v_mov_b32_e32 v38, 0
	ds_load_b32 v38, v38 offset:16
	s_wait_dscnt 0x0
	v_mul_f32_e32 v38, v114, v38
.LBB21_257:
	s_or_b32 exec_lo, exec_lo, s4
	v_cmp_lt_u32_e64 s1, 3, v0
	ds_store_b32 v113, v37
	s_wait_dscnt 0x0
	s_barrier_signal -1
	s_barrier_wait -1
	s_and_saveexec_b32 s4, s1
	s_cbranch_execz .LBB21_273
; %bb.258:
	s_and_not1_b32 vcc_lo, exec_lo, s26
	s_cbranch_vccnz .LBB21_260
; %bb.259:
	v_cmp_eq_u32_e32 vcc_lo, 1, v0
	ds_load_b32 v111, v113
	v_cndmask_b32_e32 v110, v34, v35, vcc_lo
	v_cmp_eq_u32_e32 vcc_lo, 2, v0
	s_delay_alu instid0(VALU_DEP_2) | instskip(SKIP_1) | instid1(VALU_DEP_2)
	v_cndmask_b32_e32 v110, v110, v36, vcc_lo
	v_cmp_eq_u32_e32 vcc_lo, 3, v0
	v_cndmask_b32_e32 v110, v110, v37, vcc_lo
	v_cmp_eq_u32_e32 vcc_lo, 4, v0
	s_delay_alu instid0(VALU_DEP_2) | instskip(SKIP_1) | instid1(VALU_DEP_2)
	v_cndmask_b32_e32 v110, v110, v38, vcc_lo
	v_cmp_eq_u32_e32 vcc_lo, 5, v0
	;; [unrolled: 5-line block ×10, first 2 shown]
	v_cndmask_b32_e32 v110, v110, v55, vcc_lo
	s_wait_dscnt 0x0
	s_delay_alu instid0(VALU_DEP_1)
	v_mul_f32_e32 v114, v110, v111
	s_cbranch_execz .LBB21_261
	s_branch .LBB21_262
.LBB21_260:
                                        ; implicit-def: $vgpr114
.LBB21_261:
	ds_load_b32 v114, v113
.LBB21_262:
	s_and_saveexec_b32 s5, s0
	s_cbranch_execz .LBB21_272
; %bb.263:
	v_dual_add_nc_u32 v110, -5, v0 :: v_dual_add_nc_u32 v111, -4, v0
	s_delay_alu instid0(VALU_DEP_1)
	v_cmp_lt_u32_e32 vcc_lo, 6, v110
	v_mov_b32_e32 v110, 4
	s_and_saveexec_b32 s0, vcc_lo
	s_cbranch_execz .LBB21_267
; %bb.264:
	v_and_b32_e32 v110, -8, v111
	s_mov_b32 s6, 0
	s_mov_b64 s[2:3], 5
	s_movk_i32 s7, 0x70
	s_delay_alu instid0(VALU_DEP_1)
	v_sub_nc_u32_e32 v112, 0, v110
.LBB21_265:                             ; =>This Inner Loop Header: Depth=1
	s_add_co_i32 m0, s2, -1
	v_movrels_b32_e32 v115, v34
	v_mov_b32_e32 v110, s7
	s_mov_b32 m0, s2
	s_add_co_i32 s7, s7, 32
	v_movrels_b32_e32 v124, v34
	s_add_co_i32 m0, s2, 1
	ds_load_b128 v[116:119], v110
	ds_load_b128 v[120:123], v110 offset:16
	v_movrels_b32_e32 v110, v34
	s_add_co_i32 m0, s2, 2
	s_wait_dscnt 0x1
	v_fmac_f32_e32 v114, v115, v116
	v_movrels_b32_e32 v115, v34
	s_add_co_i32 m0, s2, 3
	s_delay_alu instid0(VALU_DEP_2) | instskip(NEXT) | instid1(VALU_DEP_1)
	v_fmac_f32_e32 v114, v124, v117
	v_fmac_f32_e32 v114, v110, v118
	v_movrels_b32_e32 v110, v34
	s_add_co_i32 m0, s2, 4
	s_delay_alu instid0(VALU_DEP_2) | instskip(SKIP_3) | instid1(VALU_DEP_2)
	v_fmac_f32_e32 v114, v115, v119
	v_movrels_b32_e32 v115, v34
	s_add_co_i32 m0, s2, 5
	s_wait_dscnt 0x0
	v_fmac_f32_e32 v114, v110, v120
	v_movrels_b32_e32 v110, v34
	s_add_co_i32 m0, s2, 6
	s_add_nc_u64 s[2:3], s[2:3], 8
	v_movrels_b32_e32 v116, v34
	v_dual_fmac_f32 v114, v115, v121 :: v_dual_add_nc_u32 v115, s2, v112
	s_add_co_i32 s8, s2, -1
	s_delay_alu instid0(VALU_DEP_1) | instskip(NEXT) | instid1(VALU_DEP_2)
	v_fmac_f32_e32 v114, v110, v122
	v_cmp_eq_u32_e32 vcc_lo, 5, v115
	s_delay_alu instid0(VALU_DEP_2) | instskip(SKIP_1) | instid1(SALU_CYCLE_1)
	v_dual_mov_b32 v110, s8 :: v_dual_fmac_f32 v114, v116, v123
	s_or_b32 s6, vcc_lo, s6
	s_and_not1_b32 exec_lo, exec_lo, s6
	s_cbranch_execnz .LBB21_265
; %bb.266:
	s_or_b32 exec_lo, exec_lo, s6
.LBB21_267:
	s_delay_alu instid0(SALU_CYCLE_1) | instskip(SKIP_3) | instid1(VALU_DEP_1)
	s_or_b32 exec_lo, exec_lo, s0
	v_and_b32_e32 v56, 7, v111
	s_mov_b32 s2, 0
	s_mov_b32 s0, exec_lo
	v_cmpx_ne_u32_e32 0, v56
	s_cbranch_execz .LBB21_271
; %bb.268:
	v_lshl_add_u32 v57, v110, 2, 0x60
	v_mov_b32_e32 v111, 0
.LBB21_269:                             ; =>This Inner Loop Header: Depth=1
	v_cmp_eq_u32_e32 vcc_lo, 1, v110
	ds_load_b32 v59, v57
	v_dual_add_nc_u32 v56, -1, v56 :: v_dual_add_nc_u32 v57, 4, v57
	v_cndmask_b32_e32 v58, v34, v35, vcc_lo
	v_cmp_eq_u32_e32 vcc_lo, 2, v110
	s_delay_alu instid0(VALU_DEP_2) | instskip(SKIP_1) | instid1(VALU_DEP_2)
	v_cndmask_b32_e32 v58, v58, v36, vcc_lo
	v_cmp_eq_u32_e32 vcc_lo, 3, v110
	v_cndmask_b32_e32 v58, v58, v37, vcc_lo
	v_cmp_eq_u32_e32 vcc_lo, 4, v110
	s_delay_alu instid0(VALU_DEP_2) | instskip(SKIP_1) | instid1(VALU_DEP_2)
	v_cndmask_b32_e32 v58, v58, v38, vcc_lo
	v_cmp_eq_u32_e32 vcc_lo, 5, v110
	;; [unrolled: 5-line block ×9, first 2 shown]
	v_cndmask_b32_e32 v58, v58, v53, vcc_lo
	v_cmp_eq_u32_e32 vcc_lo, 20, v110
	s_delay_alu instid0(VALU_DEP_2) | instskip(SKIP_2) | instid1(VALU_DEP_3)
	v_cndmask_b32_e32 v58, v58, v54, vcc_lo
	v_cmp_eq_u32_e32 vcc_lo, 21, v110
	v_add_nc_u64_e32 v[110:111], 1, v[110:111]
	v_cndmask_b32_e32 v58, v58, v55, vcc_lo
	v_cmp_eq_u32_e32 vcc_lo, 0, v56
	s_wait_dscnt 0x0
	s_delay_alu instid0(VALU_DEP_2) | instskip(SKIP_1) | instid1(SALU_CYCLE_1)
	v_fmac_f32_e32 v114, v58, v59
	s_or_b32 s2, vcc_lo, s2
	s_and_not1_b32 exec_lo, exec_lo, s2
	s_cbranch_execnz .LBB21_269
; %bb.270:
	s_or_b32 exec_lo, exec_lo, s2
.LBB21_271:
	s_delay_alu instid0(SALU_CYCLE_1)
	s_or_b32 exec_lo, exec_lo, s0
.LBB21_272:
	s_delay_alu instid0(SALU_CYCLE_1)
	s_or_b32 exec_lo, exec_lo, s5
	v_mov_b32_e32 v37, 0
	ds_load_b32 v37, v37 offset:12
	s_wait_dscnt 0x0
	v_mul_f32_e32 v37, v114, v37
.LBB21_273:
	s_or_b32 exec_lo, exec_lo, s4
	v_cmp_lt_u32_e64 s0, 2, v0
	ds_store_b32 v113, v36
	s_wait_dscnt 0x0
	s_barrier_signal -1
	s_barrier_wait -1
	s_and_saveexec_b32 s4, s0
	s_cbranch_execz .LBB21_289
; %bb.274:
	s_and_not1_b32 vcc_lo, exec_lo, s26
	s_cbranch_vccnz .LBB21_276
; %bb.275:
	v_cmp_eq_u32_e32 vcc_lo, 1, v0
	ds_load_b32 v111, v113
	v_cndmask_b32_e32 v110, v34, v35, vcc_lo
	v_cmp_eq_u32_e32 vcc_lo, 2, v0
	s_delay_alu instid0(VALU_DEP_2) | instskip(SKIP_1) | instid1(VALU_DEP_2)
	v_cndmask_b32_e32 v110, v110, v36, vcc_lo
	v_cmp_eq_u32_e32 vcc_lo, 3, v0
	v_cndmask_b32_e32 v110, v110, v37, vcc_lo
	v_cmp_eq_u32_e32 vcc_lo, 4, v0
	s_delay_alu instid0(VALU_DEP_2) | instskip(SKIP_1) | instid1(VALU_DEP_2)
	v_cndmask_b32_e32 v110, v110, v38, vcc_lo
	v_cmp_eq_u32_e32 vcc_lo, 5, v0
	;; [unrolled: 5-line block ×10, first 2 shown]
	v_cndmask_b32_e32 v110, v110, v55, vcc_lo
	s_wait_dscnt 0x0
	s_delay_alu instid0(VALU_DEP_1)
	v_mul_f32_e32 v114, v110, v111
	s_cbranch_execz .LBB21_277
	s_branch .LBB21_278
.LBB21_276:
                                        ; implicit-def: $vgpr114
.LBB21_277:
	ds_load_b32 v114, v113
.LBB21_278:
	s_and_saveexec_b32 s5, s1
	s_cbranch_execz .LBB21_288
; %bb.279:
	v_dual_add_nc_u32 v110, -4, v0 :: v_dual_add_nc_u32 v111, -3, v0
	s_delay_alu instid0(VALU_DEP_1)
	v_cmp_lt_u32_e32 vcc_lo, 6, v110
	v_mov_b32_e32 v110, 3
	s_and_saveexec_b32 s1, vcc_lo
	s_cbranch_execz .LBB21_283
; %bb.280:
	v_and_b32_e32 v110, -8, v111
	s_mov_b32 s6, 0
	s_mov_b64 s[2:3], 10
	s_movk_i32 s7, 0x6c
	s_delay_alu instid0(VALU_DEP_1)
	v_sub_nc_u32_e32 v112, 0, v110
.LBB21_281:                             ; =>This Inner Loop Header: Depth=1
	s_add_co_i32 m0, s2, -7
	v_movrels_b32_e32 v115, v34
	v_mov_b32_e32 v110, s7
	s_add_co_i32 m0, s2, -6
	s_add_co_i32 s7, s7, 32
	v_movrels_b32_e32 v124, v34
	ds_load_2addr_b32 v[116:117], v110 offset1:1
	ds_load_2addr_b32 v[118:119], v110 offset0:2 offset1:3
	s_add_co_i32 m0, s2, -5
	s_wait_dscnt 0x1
	v_fmac_f32_e32 v114, v115, v116
	ds_load_2addr_b32 v[120:121], v110 offset0:4 offset1:5
	ds_load_2addr_b32 v[122:123], v110 offset0:6 offset1:7
	v_movrels_b32_e32 v110, v34
	s_add_co_i32 m0, s2, -4
	v_fmac_f32_e32 v114, v124, v117
	v_movrels_b32_e32 v115, v34
	s_add_co_i32 m0, s2, -3
	s_wait_dscnt 0x2
	s_delay_alu instid0(VALU_DEP_2) | instskip(SKIP_2) | instid1(VALU_DEP_2)
	v_fmac_f32_e32 v114, v110, v118
	v_movrels_b32_e32 v110, v34
	s_add_co_i32 m0, s2, -2
	v_fmac_f32_e32 v114, v115, v119
	v_movrels_b32_e32 v115, v34
	s_add_co_i32 m0, s2, -1
	s_wait_dscnt 0x1
	s_delay_alu instid0(VALU_DEP_2)
	v_fmac_f32_e32 v114, v110, v120
	v_movrels_b32_e32 v110, v34
	s_mov_b32 m0, s2
	s_add_nc_u64 s[2:3], s[2:3], 8
	v_movrels_b32_e32 v116, v34
	v_dual_fmac_f32 v114, v115, v121 :: v_dual_add_nc_u32 v115, s2, v112
	s_add_co_i32 s8, s2, -7
	s_wait_dscnt 0x0
	s_delay_alu instid0(VALU_DEP_1) | instskip(NEXT) | instid1(VALU_DEP_2)
	v_fmac_f32_e32 v114, v110, v122
	v_cmp_eq_u32_e32 vcc_lo, 10, v115
	s_delay_alu instid0(VALU_DEP_2) | instskip(SKIP_1) | instid1(SALU_CYCLE_1)
	v_dual_mov_b32 v110, s8 :: v_dual_fmac_f32 v114, v116, v123
	s_or_b32 s6, vcc_lo, s6
	s_and_not1_b32 exec_lo, exec_lo, s6
	s_cbranch_execnz .LBB21_281
; %bb.282:
	s_or_b32 exec_lo, exec_lo, s6
.LBB21_283:
	s_delay_alu instid0(SALU_CYCLE_1) | instskip(SKIP_3) | instid1(VALU_DEP_1)
	s_or_b32 exec_lo, exec_lo, s1
	v_and_b32_e32 v56, 7, v111
	s_mov_b32 s2, 0
	s_mov_b32 s1, exec_lo
	v_cmpx_ne_u32_e32 0, v56
	s_cbranch_execz .LBB21_287
; %bb.284:
	v_lshl_add_u32 v57, v110, 2, 0x60
	v_mov_b32_e32 v111, 0
.LBB21_285:                             ; =>This Inner Loop Header: Depth=1
	v_cmp_eq_u32_e32 vcc_lo, 1, v110
	ds_load_b32 v59, v57
	v_dual_add_nc_u32 v56, -1, v56 :: v_dual_add_nc_u32 v57, 4, v57
	v_cndmask_b32_e32 v58, v34, v35, vcc_lo
	v_cmp_eq_u32_e32 vcc_lo, 2, v110
	s_delay_alu instid0(VALU_DEP_2) | instskip(SKIP_1) | instid1(VALU_DEP_2)
	v_cndmask_b32_e32 v58, v58, v36, vcc_lo
	v_cmp_eq_u32_e32 vcc_lo, 3, v110
	v_cndmask_b32_e32 v58, v58, v37, vcc_lo
	v_cmp_eq_u32_e32 vcc_lo, 4, v110
	s_delay_alu instid0(VALU_DEP_2) | instskip(SKIP_1) | instid1(VALU_DEP_2)
	v_cndmask_b32_e32 v58, v58, v38, vcc_lo
	v_cmp_eq_u32_e32 vcc_lo, 5, v110
	;; [unrolled: 5-line block ×9, first 2 shown]
	v_cndmask_b32_e32 v58, v58, v53, vcc_lo
	v_cmp_eq_u32_e32 vcc_lo, 20, v110
	s_delay_alu instid0(VALU_DEP_2) | instskip(SKIP_2) | instid1(VALU_DEP_3)
	v_cndmask_b32_e32 v58, v58, v54, vcc_lo
	v_cmp_eq_u32_e32 vcc_lo, 21, v110
	v_add_nc_u64_e32 v[110:111], 1, v[110:111]
	v_cndmask_b32_e32 v58, v58, v55, vcc_lo
	v_cmp_eq_u32_e32 vcc_lo, 0, v56
	s_wait_dscnt 0x0
	s_delay_alu instid0(VALU_DEP_2) | instskip(SKIP_1) | instid1(SALU_CYCLE_1)
	v_fmac_f32_e32 v114, v58, v59
	s_or_b32 s2, vcc_lo, s2
	s_and_not1_b32 exec_lo, exec_lo, s2
	s_cbranch_execnz .LBB21_285
; %bb.286:
	s_or_b32 exec_lo, exec_lo, s2
.LBB21_287:
	s_delay_alu instid0(SALU_CYCLE_1)
	s_or_b32 exec_lo, exec_lo, s1
.LBB21_288:
	s_delay_alu instid0(SALU_CYCLE_1)
	s_or_b32 exec_lo, exec_lo, s5
	v_mov_b32_e32 v36, 0
	ds_load_b32 v36, v36 offset:8
	s_wait_dscnt 0x0
	v_mul_f32_e32 v36, v114, v36
.LBB21_289:
	s_or_b32 exec_lo, exec_lo, s4
	v_cmp_lt_u32_e64 s1, 1, v0
	ds_store_b32 v113, v35
	s_wait_dscnt 0x0
	s_barrier_signal -1
	s_barrier_wait -1
	s_and_saveexec_b32 s4, s1
	s_cbranch_execz .LBB21_305
; %bb.290:
	s_and_not1_b32 vcc_lo, exec_lo, s26
	s_cbranch_vccnz .LBB21_292
; %bb.291:
	v_cmp_eq_u32_e32 vcc_lo, 1, v0
	ds_load_b32 v111, v113
	v_cndmask_b32_e32 v110, v34, v35, vcc_lo
	v_cmp_eq_u32_e32 vcc_lo, 2, v0
	s_delay_alu instid0(VALU_DEP_2) | instskip(SKIP_1) | instid1(VALU_DEP_2)
	v_cndmask_b32_e32 v110, v110, v36, vcc_lo
	v_cmp_eq_u32_e32 vcc_lo, 3, v0
	v_cndmask_b32_e32 v110, v110, v37, vcc_lo
	v_cmp_eq_u32_e32 vcc_lo, 4, v0
	s_delay_alu instid0(VALU_DEP_2) | instskip(SKIP_1) | instid1(VALU_DEP_2)
	v_cndmask_b32_e32 v110, v110, v38, vcc_lo
	v_cmp_eq_u32_e32 vcc_lo, 5, v0
	;; [unrolled: 5-line block ×10, first 2 shown]
	v_cndmask_b32_e32 v110, v110, v55, vcc_lo
	s_wait_dscnt 0x0
	s_delay_alu instid0(VALU_DEP_1)
	v_mul_f32_e32 v114, v110, v111
	s_cbranch_execz .LBB21_293
	s_branch .LBB21_294
.LBB21_292:
                                        ; implicit-def: $vgpr114
.LBB21_293:
	ds_load_b32 v114, v113
.LBB21_294:
	s_and_saveexec_b32 s5, s0
	s_cbranch_execz .LBB21_304
; %bb.295:
	v_dual_add_nc_u32 v110, -3, v0 :: v_dual_add_nc_u32 v111, -2, v0
	s_delay_alu instid0(VALU_DEP_1)
	v_cmp_lt_u32_e32 vcc_lo, 6, v110
	v_mov_b32_e32 v110, 2
	s_and_saveexec_b32 s0, vcc_lo
	s_cbranch_execz .LBB21_299
; %bb.296:
	v_and_b32_e32 v110, -8, v111
	s_mov_b32 s6, 0
	s_mov_b64 s[2:3], 9
	s_movk_i32 s7, 0x68
	s_delay_alu instid0(VALU_DEP_1)
	v_sub_nc_u32_e32 v112, 0, v110
.LBB21_297:                             ; =>This Inner Loop Header: Depth=1
	s_add_co_i32 m0, s2, -7
	v_movrels_b32_e32 v115, v34
	v_mov_b32_e32 v110, s7
	s_add_co_i32 m0, s2, -6
	s_add_co_i32 s7, s7, 32
	v_movrels_b32_e32 v124, v34
	s_add_co_i32 m0, s2, -5
	ds_load_2addr_b64 v[116:119], v110 offset1:1
	ds_load_2addr_b64 v[120:123], v110 offset0:2 offset1:3
	v_movrels_b32_e32 v110, v34
	s_add_co_i32 m0, s2, -4
	s_wait_dscnt 0x1
	v_fmac_f32_e32 v114, v115, v116
	v_movrels_b32_e32 v115, v34
	s_add_co_i32 m0, s2, -3
	s_delay_alu instid0(VALU_DEP_2) | instskip(NEXT) | instid1(VALU_DEP_1)
	v_fmac_f32_e32 v114, v124, v117
	v_fmac_f32_e32 v114, v110, v118
	v_movrels_b32_e32 v110, v34
	s_add_co_i32 m0, s2, -2
	s_delay_alu instid0(VALU_DEP_2) | instskip(SKIP_3) | instid1(VALU_DEP_2)
	v_fmac_f32_e32 v114, v115, v119
	v_movrels_b32_e32 v115, v34
	s_add_co_i32 m0, s2, -1
	s_wait_dscnt 0x0
	v_fmac_f32_e32 v114, v110, v120
	v_movrels_b32_e32 v110, v34
	s_mov_b32 m0, s2
	s_add_nc_u64 s[2:3], s[2:3], 8
	v_movrels_b32_e32 v116, v34
	v_dual_fmac_f32 v114, v115, v121 :: v_dual_add_nc_u32 v115, s2, v112
	s_add_co_i32 s8, s2, -7
	s_delay_alu instid0(VALU_DEP_1) | instskip(NEXT) | instid1(VALU_DEP_2)
	v_fmac_f32_e32 v114, v110, v122
	v_cmp_eq_u32_e32 vcc_lo, 9, v115
	s_delay_alu instid0(VALU_DEP_2) | instskip(SKIP_1) | instid1(SALU_CYCLE_1)
	v_dual_mov_b32 v110, s8 :: v_dual_fmac_f32 v114, v116, v123
	s_or_b32 s6, vcc_lo, s6
	s_and_not1_b32 exec_lo, exec_lo, s6
	s_cbranch_execnz .LBB21_297
; %bb.298:
	s_or_b32 exec_lo, exec_lo, s6
.LBB21_299:
	s_delay_alu instid0(SALU_CYCLE_1) | instskip(SKIP_3) | instid1(VALU_DEP_1)
	s_or_b32 exec_lo, exec_lo, s0
	v_and_b32_e32 v56, 7, v111
	s_mov_b32 s2, 0
	s_mov_b32 s0, exec_lo
	v_cmpx_ne_u32_e32 0, v56
	s_cbranch_execz .LBB21_303
; %bb.300:
	v_lshl_add_u32 v57, v110, 2, 0x60
	v_mov_b32_e32 v111, 0
.LBB21_301:                             ; =>This Inner Loop Header: Depth=1
	v_cmp_eq_u32_e32 vcc_lo, 1, v110
	ds_load_b32 v59, v57
	v_dual_add_nc_u32 v56, -1, v56 :: v_dual_add_nc_u32 v57, 4, v57
	v_cndmask_b32_e32 v58, v34, v35, vcc_lo
	v_cmp_eq_u32_e32 vcc_lo, 2, v110
	s_delay_alu instid0(VALU_DEP_2) | instskip(SKIP_1) | instid1(VALU_DEP_2)
	v_cndmask_b32_e32 v58, v58, v36, vcc_lo
	v_cmp_eq_u32_e32 vcc_lo, 3, v110
	v_cndmask_b32_e32 v58, v58, v37, vcc_lo
	v_cmp_eq_u32_e32 vcc_lo, 4, v110
	s_delay_alu instid0(VALU_DEP_2) | instskip(SKIP_1) | instid1(VALU_DEP_2)
	v_cndmask_b32_e32 v58, v58, v38, vcc_lo
	v_cmp_eq_u32_e32 vcc_lo, 5, v110
	;; [unrolled: 5-line block ×9, first 2 shown]
	v_cndmask_b32_e32 v58, v58, v53, vcc_lo
	v_cmp_eq_u32_e32 vcc_lo, 20, v110
	s_delay_alu instid0(VALU_DEP_2) | instskip(SKIP_2) | instid1(VALU_DEP_3)
	v_cndmask_b32_e32 v58, v58, v54, vcc_lo
	v_cmp_eq_u32_e32 vcc_lo, 21, v110
	v_add_nc_u64_e32 v[110:111], 1, v[110:111]
	v_cndmask_b32_e32 v58, v58, v55, vcc_lo
	v_cmp_eq_u32_e32 vcc_lo, 0, v56
	s_wait_dscnt 0x0
	s_delay_alu instid0(VALU_DEP_2) | instskip(SKIP_1) | instid1(SALU_CYCLE_1)
	v_fmac_f32_e32 v114, v58, v59
	s_or_b32 s2, vcc_lo, s2
	s_and_not1_b32 exec_lo, exec_lo, s2
	s_cbranch_execnz .LBB21_301
; %bb.302:
	s_or_b32 exec_lo, exec_lo, s2
.LBB21_303:
	s_delay_alu instid0(SALU_CYCLE_1)
	s_or_b32 exec_lo, exec_lo, s0
.LBB21_304:
	s_delay_alu instid0(SALU_CYCLE_1)
	s_or_b32 exec_lo, exec_lo, s5
	v_mov_b32_e32 v35, 0
	ds_load_b32 v35, v35 offset:4
	s_wait_dscnt 0x0
	v_mul_f32_e32 v35, v114, v35
.LBB21_305:
	s_or_b32 exec_lo, exec_lo, s4
	s_mov_b32 s2, 0
	s_mov_b32 s3, exec_lo
	ds_store_b32 v113, v34
	s_wait_dscnt 0x0
	s_barrier_signal -1
	s_barrier_wait -1
	v_cmpx_ne_u32_e32 0, v0
	s_cbranch_execz .LBB21_321
; %bb.306:
	s_and_not1_b32 vcc_lo, exec_lo, s26
	s_cbranch_vccnz .LBB21_308
; %bb.307:
	v_cmp_eq_u32_e32 vcc_lo, 1, v0
	ds_load_b32 v111, v113
	v_cndmask_b32_e32 v110, v34, v35, vcc_lo
	v_cmp_eq_u32_e32 vcc_lo, 2, v0
	s_delay_alu instid0(VALU_DEP_2) | instskip(SKIP_1) | instid1(VALU_DEP_2)
	v_cndmask_b32_e32 v110, v110, v36, vcc_lo
	v_cmp_eq_u32_e32 vcc_lo, 3, v0
	v_cndmask_b32_e32 v110, v110, v37, vcc_lo
	v_cmp_eq_u32_e32 vcc_lo, 4, v0
	s_delay_alu instid0(VALU_DEP_2) | instskip(SKIP_1) | instid1(VALU_DEP_2)
	v_cndmask_b32_e32 v110, v110, v38, vcc_lo
	v_cmp_eq_u32_e32 vcc_lo, 5, v0
	;; [unrolled: 5-line block ×10, first 2 shown]
	v_cndmask_b32_e32 v110, v110, v55, vcc_lo
	s_wait_dscnt 0x0
	s_delay_alu instid0(VALU_DEP_1)
	v_mul_f32_e32 v114, v110, v111
	s_cbranch_execz .LBB21_309
	s_branch .LBB21_310
.LBB21_308:
                                        ; implicit-def: $vgpr114
.LBB21_309:
	ds_load_b32 v114, v113
.LBB21_310:
	s_and_saveexec_b32 s4, s1
	s_cbranch_execz .LBB21_320
; %bb.311:
	v_dual_add_nc_u32 v110, -2, v0 :: v_dual_add_nc_u32 v111, -1, v0
	s_delay_alu instid0(VALU_DEP_1)
	v_cmp_lt_u32_e32 vcc_lo, 6, v110
	v_mov_b32_e32 v110, 1
	s_and_saveexec_b32 s5, vcc_lo
	s_cbranch_execz .LBB21_315
; %bb.312:
	v_and_b32_e32 v110, -8, v111
	s_mov_b32 s6, 0
	s_mov_b64 s[0:1], 8
	s_movk_i32 s7, 0x64
	s_delay_alu instid0(VALU_DEP_1)
	v_sub_nc_u32_e32 v112, 0, v110
.LBB21_313:                             ; =>This Inner Loop Header: Depth=1
	s_add_co_i32 m0, s0, -7
	v_movrels_b32_e32 v115, v34
	v_mov_b32_e32 v110, s7
	s_add_co_i32 m0, s0, -6
	s_add_co_i32 s7, s7, 32
	v_movrels_b32_e32 v124, v34
	ds_load_2addr_b32 v[116:117], v110 offset1:1
	ds_load_2addr_b32 v[118:119], v110 offset0:2 offset1:3
	s_add_co_i32 m0, s0, -5
	s_wait_dscnt 0x1
	v_fmac_f32_e32 v114, v115, v116
	ds_load_2addr_b32 v[120:121], v110 offset0:4 offset1:5
	ds_load_2addr_b32 v[122:123], v110 offset0:6 offset1:7
	v_movrels_b32_e32 v110, v34
	s_add_co_i32 m0, s0, -4
	v_fmac_f32_e32 v114, v124, v117
	v_movrels_b32_e32 v115, v34
	s_add_co_i32 m0, s0, -3
	s_wait_dscnt 0x2
	s_delay_alu instid0(VALU_DEP_2) | instskip(SKIP_2) | instid1(VALU_DEP_2)
	v_fmac_f32_e32 v114, v110, v118
	v_movrels_b32_e32 v110, v34
	s_add_co_i32 m0, s0, -2
	v_fmac_f32_e32 v114, v115, v119
	v_movrels_b32_e32 v115, v34
	s_add_co_i32 m0, s0, -1
	s_wait_dscnt 0x1
	s_delay_alu instid0(VALU_DEP_2)
	v_fmac_f32_e32 v114, v110, v120
	v_movrels_b32_e32 v110, v34
	s_mov_b32 m0, s0
	s_add_nc_u64 s[0:1], s[0:1], 8
	v_movrels_b32_e32 v116, v34
	v_dual_fmac_f32 v114, v115, v121 :: v_dual_add_nc_u32 v115, s0, v112
	s_add_co_i32 s8, s0, -7
	s_wait_dscnt 0x0
	s_delay_alu instid0(VALU_DEP_1) | instskip(NEXT) | instid1(VALU_DEP_2)
	v_fmac_f32_e32 v114, v110, v122
	v_cmp_eq_u32_e32 vcc_lo, 8, v115
	s_delay_alu instid0(VALU_DEP_2) | instskip(SKIP_1) | instid1(SALU_CYCLE_1)
	v_dual_mov_b32 v110, s8 :: v_dual_fmac_f32 v114, v116, v123
	s_or_b32 s6, vcc_lo, s6
	s_and_not1_b32 exec_lo, exec_lo, s6
	s_cbranch_execnz .LBB21_313
; %bb.314:
	s_or_b32 exec_lo, exec_lo, s6
.LBB21_315:
	s_delay_alu instid0(SALU_CYCLE_1) | instskip(SKIP_3) | instid1(VALU_DEP_1)
	s_or_b32 exec_lo, exec_lo, s5
	v_and_b32_e32 v56, 7, v111
	s_mov_b32 s1, 0
	s_mov_b32 s0, exec_lo
	v_cmpx_ne_u32_e32 0, v56
	s_cbranch_execz .LBB21_319
; %bb.316:
	v_lshl_add_u32 v57, v110, 2, 0x60
	v_mov_b32_e32 v111, 0
.LBB21_317:                             ; =>This Inner Loop Header: Depth=1
	v_cmp_eq_u32_e32 vcc_lo, 1, v110
	ds_load_b32 v59, v57
	v_dual_add_nc_u32 v56, -1, v56 :: v_dual_add_nc_u32 v57, 4, v57
	v_cndmask_b32_e32 v58, v34, v35, vcc_lo
	v_cmp_eq_u32_e32 vcc_lo, 2, v110
	s_delay_alu instid0(VALU_DEP_2) | instskip(SKIP_1) | instid1(VALU_DEP_2)
	v_cndmask_b32_e32 v58, v58, v36, vcc_lo
	v_cmp_eq_u32_e32 vcc_lo, 3, v110
	v_cndmask_b32_e32 v58, v58, v37, vcc_lo
	v_cmp_eq_u32_e32 vcc_lo, 4, v110
	s_delay_alu instid0(VALU_DEP_2) | instskip(SKIP_1) | instid1(VALU_DEP_2)
	v_cndmask_b32_e32 v58, v58, v38, vcc_lo
	v_cmp_eq_u32_e32 vcc_lo, 5, v110
	;; [unrolled: 5-line block ×9, first 2 shown]
	v_cndmask_b32_e32 v58, v58, v53, vcc_lo
	v_cmp_eq_u32_e32 vcc_lo, 20, v110
	s_delay_alu instid0(VALU_DEP_2) | instskip(SKIP_2) | instid1(VALU_DEP_3)
	v_cndmask_b32_e32 v58, v58, v54, vcc_lo
	v_cmp_eq_u32_e32 vcc_lo, 21, v110
	v_add_nc_u64_e32 v[110:111], 1, v[110:111]
	v_cndmask_b32_e32 v58, v58, v55, vcc_lo
	v_cmp_eq_u32_e32 vcc_lo, 0, v56
	s_wait_dscnt 0x0
	s_delay_alu instid0(VALU_DEP_2) | instskip(SKIP_1) | instid1(SALU_CYCLE_1)
	v_fmac_f32_e32 v114, v58, v59
	s_or_b32 s1, vcc_lo, s1
	s_and_not1_b32 exec_lo, exec_lo, s1
	s_cbranch_execnz .LBB21_317
; %bb.318:
	s_or_b32 exec_lo, exec_lo, s1
.LBB21_319:
	s_delay_alu instid0(SALU_CYCLE_1)
	s_or_b32 exec_lo, exec_lo, s0
.LBB21_320:
	s_delay_alu instid0(SALU_CYCLE_1)
	s_or_b32 exec_lo, exec_lo, s4
	v_mov_b32_e32 v34, 0
	ds_load_b32 v34, v34
	s_wait_dscnt 0x0
	v_mul_f32_e32 v34, v114, v34
.LBB21_321:
	s_or_b32 exec_lo, exec_lo, s3
	s_delay_alu instid0(SALU_CYCLE_1)
	s_and_b32 vcc_lo, exec_lo, s2
	s_cbranch_vccz .LBB21_535
.LBB21_322:
	v_cmp_eq_u32_e64 s0, 0, v0
	s_wait_loadcnt 0x15
	ds_store_b32 v113, v3
	s_wait_loadcnt_dscnt 0x0
	s_barrier_signal -1
	s_barrier_wait -1
	s_and_saveexec_b32 s1, s0
	s_cbranch_execz .LBB21_328
; %bb.323:
	s_and_b32 vcc_lo, exec_lo, s26
	s_cbranch_vccz .LBB21_325
; %bb.324:
	v_cmp_eq_u32_e32 vcc_lo, 1, v0
	ds_load_b32 v24, v113
	v_cndmask_b32_e32 v3, v2, v3, vcc_lo
	v_cmp_eq_u32_e32 vcc_lo, 2, v0
	s_delay_alu instid0(VALU_DEP_2) | instskip(SKIP_1) | instid1(VALU_DEP_2)
	v_cndmask_b32_e32 v3, v3, v4, vcc_lo
	v_cmp_eq_u32_e32 vcc_lo, 3, v0
	v_cndmask_b32_e32 v3, v3, v5, vcc_lo
	v_cmp_eq_u32_e32 vcc_lo, 4, v0
	s_delay_alu instid0(VALU_DEP_2) | instskip(SKIP_1) | instid1(VALU_DEP_2)
	v_cndmask_b32_e32 v3, v3, v6, vcc_lo
	v_cmp_eq_u32_e32 vcc_lo, 5, v0
	;; [unrolled: 5-line block ×10, first 2 shown]
	v_cndmask_b32_e32 v3, v3, v23, vcc_lo
	s_wait_dscnt 0x0
	s_delay_alu instid0(VALU_DEP_1)
	v_mul_f32_e32 v3, v3, v24
	s_cbranch_execz .LBB21_326
	s_branch .LBB21_327
.LBB21_325:
                                        ; implicit-def: $vgpr3
.LBB21_326:
	ds_load_b32 v3, v113
.LBB21_327:
	v_mov_b32_e32 v24, 0
	ds_load_b32 v24, v24 offset:4
	s_wait_dscnt 0x0
	v_mul_f32_e32 v3, v3, v24
.LBB21_328:
	s_or_b32 exec_lo, exec_lo, s1
	v_cndmask_b32_e64 v34, 0, 1, s26
	s_mov_b32 s1, exec_lo
	ds_store_b32 v113, v4
	s_wait_dscnt 0x0
	s_barrier_signal -1
	s_barrier_wait -1
	v_cmpx_gt_u32_e32 2, v0
	s_cbranch_execz .LBB21_334
; %bb.329:
	s_and_not1_b32 vcc_lo, exec_lo, s26
	s_cbranch_vccnz .LBB21_331
; %bb.330:
	v_cmp_eq_u32_e32 vcc_lo, 1, v0
	v_cndmask_b32_e32 v24, v2, v3, vcc_lo
	v_cmp_eq_u32_e32 vcc_lo, 2, v0
	s_delay_alu instid0(VALU_DEP_2) | instskip(SKIP_4) | instid1(VALU_DEP_2)
	v_cndmask_b32_e32 v4, v24, v4, vcc_lo
	v_cmp_eq_u32_e32 vcc_lo, 3, v0
	ds_load_b32 v24, v113
	v_cndmask_b32_e32 v4, v4, v5, vcc_lo
	v_cmp_eq_u32_e32 vcc_lo, 4, v0
	v_cndmask_b32_e32 v4, v4, v6, vcc_lo
	v_cmp_eq_u32_e32 vcc_lo, 5, v0
	s_delay_alu instid0(VALU_DEP_2) | instskip(SKIP_1) | instid1(VALU_DEP_2)
	v_cndmask_b32_e32 v4, v4, v7, vcc_lo
	v_cmp_eq_u32_e32 vcc_lo, 6, v0
	v_cndmask_b32_e32 v4, v4, v8, vcc_lo
	v_cmp_eq_u32_e32 vcc_lo, 7, v0
	s_delay_alu instid0(VALU_DEP_2) | instskip(SKIP_1) | instid1(VALU_DEP_2)
	v_cndmask_b32_e32 v4, v4, v9, vcc_lo
	v_cmp_eq_u32_e32 vcc_lo, 8, v0
	v_cndmask_b32_e32 v4, v4, v10, vcc_lo
	v_cmp_eq_u32_e32 vcc_lo, 9, v0
	s_delay_alu instid0(VALU_DEP_2) | instskip(SKIP_1) | instid1(VALU_DEP_2)
	v_cndmask_b32_e32 v4, v4, v11, vcc_lo
	v_cmp_eq_u32_e32 vcc_lo, 10, v0
	v_cndmask_b32_e32 v4, v4, v12, vcc_lo
	v_cmp_eq_u32_e32 vcc_lo, 11, v0
	s_delay_alu instid0(VALU_DEP_2) | instskip(SKIP_1) | instid1(VALU_DEP_2)
	v_cndmask_b32_e32 v4, v4, v13, vcc_lo
	v_cmp_eq_u32_e32 vcc_lo, 12, v0
	v_cndmask_b32_e32 v4, v4, v14, vcc_lo
	v_cmp_eq_u32_e32 vcc_lo, 13, v0
	s_delay_alu instid0(VALU_DEP_2) | instskip(SKIP_1) | instid1(VALU_DEP_2)
	v_cndmask_b32_e32 v4, v4, v15, vcc_lo
	v_cmp_eq_u32_e32 vcc_lo, 14, v0
	v_cndmask_b32_e32 v4, v4, v16, vcc_lo
	v_cmp_eq_u32_e32 vcc_lo, 15, v0
	s_delay_alu instid0(VALU_DEP_2) | instskip(SKIP_1) | instid1(VALU_DEP_2)
	v_cndmask_b32_e32 v4, v4, v17, vcc_lo
	v_cmp_eq_u32_e32 vcc_lo, 16, v0
	v_cndmask_b32_e32 v4, v4, v18, vcc_lo
	v_cmp_eq_u32_e32 vcc_lo, 17, v0
	s_delay_alu instid0(VALU_DEP_2) | instskip(SKIP_1) | instid1(VALU_DEP_2)
	v_cndmask_b32_e32 v4, v4, v19, vcc_lo
	v_cmp_eq_u32_e32 vcc_lo, 18, v0
	v_cndmask_b32_e32 v4, v4, v20, vcc_lo
	v_cmp_eq_u32_e32 vcc_lo, 19, v0
	s_delay_alu instid0(VALU_DEP_2) | instskip(SKIP_1) | instid1(VALU_DEP_2)
	v_cndmask_b32_e32 v4, v4, v21, vcc_lo
	v_cmp_eq_u32_e32 vcc_lo, 20, v0
	v_cndmask_b32_e32 v4, v4, v22, vcc_lo
	v_cmp_eq_u32_e32 vcc_lo, 21, v0
	s_delay_alu instid0(VALU_DEP_2) | instskip(SKIP_1) | instid1(VALU_DEP_1)
	v_cndmask_b32_e32 v4, v4, v23, vcc_lo
	s_wait_dscnt 0x0
	v_mul_f32_e32 v4, v4, v24
	s_cbranch_execz .LBB21_332
	s_branch .LBB21_333
.LBB21_331:
                                        ; implicit-def: $vgpr4
.LBB21_332:
	ds_load_b32 v4, v113
.LBB21_333:
	v_mov_b32_e32 v24, 0
	ds_load_2addr_b32 v[24:25], v24 offset0:2 offset1:25
	s_wait_dscnt 0x0
	v_fma_f32 v25, v3, v25, v4
	s_delay_alu instid0(VALU_DEP_1) | instskip(NEXT) | instid1(VALU_DEP_1)
	v_cndmask_b32_e64 v4, v4, v25, s0
	v_mul_f32_e32 v4, v4, v24
.LBB21_334:
	s_or_b32 exec_lo, exec_lo, s1
	v_add_nc_u32_e32 v35, 1, v0
	v_cmp_gt_u32_e64 s1, 3, v0
	ds_store_b32 v113, v5
	s_wait_dscnt 0x0
	s_barrier_signal -1
	s_barrier_wait -1
	s_and_saveexec_b32 s2, s1
	s_cbranch_execz .LBB21_342
; %bb.335:
	v_cmp_ne_u32_e32 vcc_lo, 1, v34
	s_cbranch_vccnz .LBB21_337
; %bb.336:
	v_cmp_eq_u32_e32 vcc_lo, 1, v0
	ds_load_b32 v25, v113
	v_cndmask_b32_e32 v24, v2, v3, vcc_lo
	v_cmp_eq_u32_e32 vcc_lo, 2, v0
	s_delay_alu instid0(VALU_DEP_2) | instskip(SKIP_1) | instid1(VALU_DEP_2)
	v_cndmask_b32_e32 v24, v24, v4, vcc_lo
	v_cmp_eq_u32_e32 vcc_lo, 3, v0
	v_cndmask_b32_e32 v24, v24, v5, vcc_lo
	v_cmp_eq_u32_e32 vcc_lo, 4, v0
	s_delay_alu instid0(VALU_DEP_2) | instskip(SKIP_1) | instid1(VALU_DEP_2)
	v_cndmask_b32_e32 v24, v24, v6, vcc_lo
	v_cmp_eq_u32_e32 vcc_lo, 5, v0
	;; [unrolled: 5-line block ×10, first 2 shown]
	v_cndmask_b32_e32 v24, v24, v23, vcc_lo
	s_wait_dscnt 0x0
	s_delay_alu instid0(VALU_DEP_1)
	v_mul_f32_e32 v24, v24, v25
	s_cbranch_execz .LBB21_338
	s_branch .LBB21_339
.LBB21_337:
                                        ; implicit-def: $vgpr24
.LBB21_338:
	ds_load_b32 v24, v113
.LBB21_339:
	s_mov_b32 s3, exec_lo
	v_cmpx_ne_u32_e32 2, v0
	s_cbranch_execz .LBB21_341
; %bb.340:
	v_cmp_eq_u32_e32 vcc_lo, 1, v35
	v_dual_mov_b32 v26, 0 :: v_dual_cndmask_b32 v25, v2, v3
	v_cmp_eq_u32_e32 vcc_lo, 2, v35
	ds_load_b32 v26, v26 offset:104
	v_cndmask_b32_e32 v25, v25, v4, vcc_lo
	v_cmp_eq_u32_e32 vcc_lo, 3, v35
	s_delay_alu instid0(VALU_DEP_2) | instskip(SKIP_4) | instid1(VALU_DEP_2)
	v_cndmask_b32_e32 v5, v25, v5, vcc_lo
	v_cmp_eq_u32_e32 vcc_lo, 4, v35
	ds_load_b32 v25, v113 offset:4
	v_cndmask_b32_e32 v5, v5, v6, vcc_lo
	v_cmp_eq_u32_e32 vcc_lo, 5, v35
	v_cndmask_b32_e32 v5, v5, v7, vcc_lo
	v_cmp_eq_u32_e32 vcc_lo, 6, v35
	s_delay_alu instid0(VALU_DEP_2) | instskip(SKIP_1) | instid1(VALU_DEP_2)
	v_cndmask_b32_e32 v5, v5, v8, vcc_lo
	v_cmp_eq_u32_e32 vcc_lo, 7, v35
	v_cndmask_b32_e32 v5, v5, v9, vcc_lo
	v_cmp_eq_u32_e32 vcc_lo, 8, v35
	s_delay_alu instid0(VALU_DEP_2) | instskip(SKIP_1) | instid1(VALU_DEP_2)
	;; [unrolled: 5-line block ×8, first 2 shown]
	v_cndmask_b32_e32 v5, v5, v22, vcc_lo
	v_cmp_eq_u32_e32 vcc_lo, 21, v35
	v_cndmask_b32_e32 v5, v5, v23, vcc_lo
	s_wait_dscnt 0x0
	s_delay_alu instid0(VALU_DEP_1) | instskip(NEXT) | instid1(VALU_DEP_1)
	v_fmac_f32_e32 v24, v5, v25
	v_fma_f32 v5, v4, v26, v24
	s_delay_alu instid0(VALU_DEP_1)
	v_cndmask_b32_e64 v24, v24, v5, s0
.LBB21_341:
	s_or_b32 exec_lo, exec_lo, s3
	v_mov_b32_e32 v5, 0
	ds_load_b32 v5, v5 offset:12
	s_wait_dscnt 0x0
	v_mul_f32_e32 v5, v24, v5
.LBB21_342:
	s_or_b32 exec_lo, exec_lo, s2
	s_delay_alu instid0(SALU_CYCLE_1)
	s_mov_b32 s2, exec_lo
	ds_store_b32 v113, v6
	s_wait_dscnt 0x0
	s_barrier_signal -1
	s_barrier_wait -1
	v_cmpx_gt_u32_e32 4, v0
	s_cbranch_execz .LBB21_352
; %bb.343:
	v_cmp_ne_u32_e32 vcc_lo, 1, v34
	s_cbranch_vccnz .LBB21_345
; %bb.344:
	v_cmp_eq_u32_e32 vcc_lo, 1, v0
	ds_load_b32 v25, v113
	v_cndmask_b32_e32 v24, v2, v3, vcc_lo
	v_cmp_eq_u32_e32 vcc_lo, 2, v0
	s_delay_alu instid0(VALU_DEP_2) | instskip(SKIP_1) | instid1(VALU_DEP_2)
	v_cndmask_b32_e32 v24, v24, v4, vcc_lo
	v_cmp_eq_u32_e32 vcc_lo, 3, v0
	v_cndmask_b32_e32 v24, v24, v5, vcc_lo
	v_cmp_eq_u32_e32 vcc_lo, 4, v0
	s_delay_alu instid0(VALU_DEP_2) | instskip(SKIP_1) | instid1(VALU_DEP_2)
	v_cndmask_b32_e32 v24, v24, v6, vcc_lo
	v_cmp_eq_u32_e32 vcc_lo, 5, v0
	v_cndmask_b32_e32 v24, v24, v7, vcc_lo
	v_cmp_eq_u32_e32 vcc_lo, 6, v0
	s_delay_alu instid0(VALU_DEP_2) | instskip(SKIP_1) | instid1(VALU_DEP_2)
	v_cndmask_b32_e32 v24, v24, v8, vcc_lo
	v_cmp_eq_u32_e32 vcc_lo, 7, v0
	v_cndmask_b32_e32 v24, v24, v9, vcc_lo
	v_cmp_eq_u32_e32 vcc_lo, 8, v0
	s_delay_alu instid0(VALU_DEP_2) | instskip(SKIP_1) | instid1(VALU_DEP_2)
	v_cndmask_b32_e32 v24, v24, v10, vcc_lo
	v_cmp_eq_u32_e32 vcc_lo, 9, v0
	v_cndmask_b32_e32 v24, v24, v11, vcc_lo
	v_cmp_eq_u32_e32 vcc_lo, 10, v0
	s_delay_alu instid0(VALU_DEP_2) | instskip(SKIP_1) | instid1(VALU_DEP_2)
	v_cndmask_b32_e32 v24, v24, v12, vcc_lo
	v_cmp_eq_u32_e32 vcc_lo, 11, v0
	v_cndmask_b32_e32 v24, v24, v13, vcc_lo
	v_cmp_eq_u32_e32 vcc_lo, 12, v0
	s_delay_alu instid0(VALU_DEP_2) | instskip(SKIP_1) | instid1(VALU_DEP_2)
	v_cndmask_b32_e32 v24, v24, v14, vcc_lo
	v_cmp_eq_u32_e32 vcc_lo, 13, v0
	v_cndmask_b32_e32 v24, v24, v15, vcc_lo
	v_cmp_eq_u32_e32 vcc_lo, 14, v0
	s_delay_alu instid0(VALU_DEP_2) | instskip(SKIP_1) | instid1(VALU_DEP_2)
	v_cndmask_b32_e32 v24, v24, v16, vcc_lo
	v_cmp_eq_u32_e32 vcc_lo, 15, v0
	v_cndmask_b32_e32 v24, v24, v17, vcc_lo
	v_cmp_eq_u32_e32 vcc_lo, 16, v0
	s_delay_alu instid0(VALU_DEP_2) | instskip(SKIP_1) | instid1(VALU_DEP_2)
	v_cndmask_b32_e32 v24, v24, v18, vcc_lo
	v_cmp_eq_u32_e32 vcc_lo, 17, v0
	v_cndmask_b32_e32 v24, v24, v19, vcc_lo
	v_cmp_eq_u32_e32 vcc_lo, 18, v0
	s_delay_alu instid0(VALU_DEP_2) | instskip(SKIP_1) | instid1(VALU_DEP_2)
	v_cndmask_b32_e32 v24, v24, v20, vcc_lo
	v_cmp_eq_u32_e32 vcc_lo, 19, v0
	v_cndmask_b32_e32 v24, v24, v21, vcc_lo
	v_cmp_eq_u32_e32 vcc_lo, 20, v0
	s_delay_alu instid0(VALU_DEP_2) | instskip(SKIP_1) | instid1(VALU_DEP_2)
	v_cndmask_b32_e32 v24, v24, v22, vcc_lo
	v_cmp_eq_u32_e32 vcc_lo, 21, v0
	v_cndmask_b32_e32 v24, v24, v23, vcc_lo
	s_wait_dscnt 0x0
	s_delay_alu instid0(VALU_DEP_1)
	v_mul_f32_e32 v26, v24, v25
	s_cbranch_execz .LBB21_346
	s_branch .LBB21_347
.LBB21_345:
                                        ; implicit-def: $vgpr26
.LBB21_346:
	ds_load_b32 v26, v113
.LBB21_347:
	s_mov_b32 s3, exec_lo
	v_cmpx_ne_u32_e32 3, v0
	s_cbranch_execz .LBB21_351
; %bb.348:
	v_mov_b64_e32 v[24:25], v[0:1]
	v_lshl_add_u32 v27, v0, 2, 0x64
	s_mov_b32 s4, 0
.LBB21_349:                             ; =>This Inner Loop Header: Depth=1
	s_delay_alu instid0(VALU_DEP_2)
	v_add_nc_u64_e32 v[24:25], 1, v[24:25]
	ds_load_b32 v29, v27
	v_add_nc_u32_e32 v27, 4, v27
	v_cmp_eq_u32_e32 vcc_lo, 1, v24
	v_cndmask_b32_e32 v28, v2, v3, vcc_lo
	v_cmp_eq_u32_e32 vcc_lo, 2, v24
	s_delay_alu instid0(VALU_DEP_2) | instskip(SKIP_1) | instid1(VALU_DEP_2)
	v_cndmask_b32_e32 v28, v28, v4, vcc_lo
	v_cmp_eq_u32_e32 vcc_lo, 3, v24
	v_cndmask_b32_e32 v28, v28, v5, vcc_lo
	v_cmp_eq_u32_e32 vcc_lo, 4, v24
	s_delay_alu instid0(VALU_DEP_2) | instskip(SKIP_1) | instid1(VALU_DEP_2)
	v_cndmask_b32_e32 v28, v28, v6, vcc_lo
	;; [unrolled: 5-line block ×10, first 2 shown]
	v_cmp_eq_u32_e32 vcc_lo, 21, v24
	v_cndmask_b32_e32 v28, v28, v23, vcc_lo
	v_cmp_lt_u32_e32 vcc_lo, 2, v24
	s_wait_dscnt 0x0
	s_delay_alu instid0(VALU_DEP_2) | instskip(SKIP_1) | instid1(SALU_CYCLE_1)
	v_fmac_f32_e32 v26, v28, v29
	s_or_b32 s4, vcc_lo, s4
	s_and_not1_b32 exec_lo, exec_lo, s4
	s_cbranch_execnz .LBB21_349
; %bb.350:
	s_or_b32 exec_lo, exec_lo, s4
.LBB21_351:
	s_delay_alu instid0(SALU_CYCLE_1)
	s_or_b32 exec_lo, exec_lo, s3
	v_mov_b32_e32 v6, 0
	ds_load_b32 v6, v6 offset:16
	s_wait_dscnt 0x0
	v_mul_f32_e32 v6, v26, v6
.LBB21_352:
	s_or_b32 exec_lo, exec_lo, s2
	v_cmp_gt_u32_e64 s2, 5, v0
	ds_store_b32 v113, v7
	s_wait_dscnt 0x0
	s_barrier_signal -1
	s_barrier_wait -1
	s_and_saveexec_b32 s3, s2
	s_cbranch_execz .LBB21_362
; %bb.353:
	v_cmp_ne_u32_e32 vcc_lo, 1, v34
	s_cbranch_vccnz .LBB21_355
; %bb.354:
	v_cmp_eq_u32_e32 vcc_lo, 1, v0
	ds_load_b32 v25, v113
	v_cndmask_b32_e32 v24, v2, v3, vcc_lo
	v_cmp_eq_u32_e32 vcc_lo, 2, v0
	s_delay_alu instid0(VALU_DEP_2) | instskip(SKIP_1) | instid1(VALU_DEP_2)
	v_cndmask_b32_e32 v24, v24, v4, vcc_lo
	v_cmp_eq_u32_e32 vcc_lo, 3, v0
	v_cndmask_b32_e32 v24, v24, v5, vcc_lo
	v_cmp_eq_u32_e32 vcc_lo, 4, v0
	s_delay_alu instid0(VALU_DEP_2) | instskip(SKIP_1) | instid1(VALU_DEP_2)
	v_cndmask_b32_e32 v24, v24, v6, vcc_lo
	v_cmp_eq_u32_e32 vcc_lo, 5, v0
	;; [unrolled: 5-line block ×10, first 2 shown]
	v_cndmask_b32_e32 v24, v24, v23, vcc_lo
	s_wait_dscnt 0x0
	s_delay_alu instid0(VALU_DEP_1)
	v_mul_f32_e32 v26, v24, v25
	s_cbranch_execz .LBB21_356
	s_branch .LBB21_357
.LBB21_355:
                                        ; implicit-def: $vgpr26
.LBB21_356:
	ds_load_b32 v26, v113
.LBB21_357:
	s_mov_b32 s4, exec_lo
	v_cmpx_ne_u32_e32 4, v0
	s_cbranch_execz .LBB21_361
; %bb.358:
	v_mov_b64_e32 v[24:25], v[0:1]
	v_lshl_add_u32 v27, v0, 2, 0x64
	s_mov_b32 s5, 0
.LBB21_359:                             ; =>This Inner Loop Header: Depth=1
	s_delay_alu instid0(VALU_DEP_2)
	v_add_nc_u64_e32 v[24:25], 1, v[24:25]
	ds_load_b32 v29, v27
	v_add_nc_u32_e32 v27, 4, v27
	v_cmp_eq_u32_e32 vcc_lo, 1, v24
	v_cndmask_b32_e32 v28, v2, v3, vcc_lo
	v_cmp_eq_u32_e32 vcc_lo, 2, v24
	s_delay_alu instid0(VALU_DEP_2) | instskip(SKIP_1) | instid1(VALU_DEP_2)
	v_cndmask_b32_e32 v28, v28, v4, vcc_lo
	v_cmp_eq_u32_e32 vcc_lo, 3, v24
	v_cndmask_b32_e32 v28, v28, v5, vcc_lo
	v_cmp_eq_u32_e32 vcc_lo, 4, v24
	s_delay_alu instid0(VALU_DEP_2) | instskip(SKIP_1) | instid1(VALU_DEP_2)
	v_cndmask_b32_e32 v28, v28, v6, vcc_lo
	;; [unrolled: 5-line block ×10, first 2 shown]
	v_cmp_eq_u32_e32 vcc_lo, 21, v24
	v_cndmask_b32_e32 v28, v28, v23, vcc_lo
	v_cmp_lt_u32_e32 vcc_lo, 3, v24
	s_wait_dscnt 0x0
	s_delay_alu instid0(VALU_DEP_2) | instskip(SKIP_1) | instid1(SALU_CYCLE_1)
	v_fmac_f32_e32 v26, v28, v29
	s_or_b32 s5, vcc_lo, s5
	s_and_not1_b32 exec_lo, exec_lo, s5
	s_cbranch_execnz .LBB21_359
; %bb.360:
	s_or_b32 exec_lo, exec_lo, s5
.LBB21_361:
	s_delay_alu instid0(SALU_CYCLE_1)
	s_or_b32 exec_lo, exec_lo, s4
	v_mov_b32_e32 v7, 0
	ds_load_b32 v7, v7 offset:20
	s_wait_dscnt 0x0
	v_mul_f32_e32 v7, v26, v7
.LBB21_362:
	s_or_b32 exec_lo, exec_lo, s3
	s_delay_alu instid0(SALU_CYCLE_1)
	s_mov_b32 s3, exec_lo
	ds_store_b32 v113, v8
	s_wait_dscnt 0x0
	s_barrier_signal -1
	s_barrier_wait -1
	v_cmpx_gt_u32_e32 6, v0
	s_cbranch_execz .LBB21_372
; %bb.363:
	v_cmp_ne_u32_e32 vcc_lo, 1, v34
	s_cbranch_vccnz .LBB21_365
; %bb.364:
	v_cmp_eq_u32_e32 vcc_lo, 1, v0
	ds_load_b32 v25, v113
	v_cndmask_b32_e32 v24, v2, v3, vcc_lo
	v_cmp_eq_u32_e32 vcc_lo, 2, v0
	s_delay_alu instid0(VALU_DEP_2) | instskip(SKIP_1) | instid1(VALU_DEP_2)
	v_cndmask_b32_e32 v24, v24, v4, vcc_lo
	v_cmp_eq_u32_e32 vcc_lo, 3, v0
	v_cndmask_b32_e32 v24, v24, v5, vcc_lo
	v_cmp_eq_u32_e32 vcc_lo, 4, v0
	s_delay_alu instid0(VALU_DEP_2) | instskip(SKIP_1) | instid1(VALU_DEP_2)
	v_cndmask_b32_e32 v24, v24, v6, vcc_lo
	v_cmp_eq_u32_e32 vcc_lo, 5, v0
	;; [unrolled: 5-line block ×10, first 2 shown]
	v_cndmask_b32_e32 v24, v24, v23, vcc_lo
	s_wait_dscnt 0x0
	s_delay_alu instid0(VALU_DEP_1)
	v_mul_f32_e32 v26, v24, v25
	s_cbranch_execz .LBB21_366
	s_branch .LBB21_367
.LBB21_365:
                                        ; implicit-def: $vgpr26
.LBB21_366:
	ds_load_b32 v26, v113
.LBB21_367:
	s_mov_b32 s4, exec_lo
	v_cmpx_ne_u32_e32 5, v0
	s_cbranch_execz .LBB21_371
; %bb.368:
	v_mov_b64_e32 v[24:25], v[0:1]
	v_lshl_add_u32 v27, v0, 2, 0x64
	s_mov_b32 s5, 0
.LBB21_369:                             ; =>This Inner Loop Header: Depth=1
	s_delay_alu instid0(VALU_DEP_2)
	v_add_nc_u64_e32 v[24:25], 1, v[24:25]
	ds_load_b32 v29, v27
	v_add_nc_u32_e32 v27, 4, v27
	v_cmp_eq_u32_e32 vcc_lo, 1, v24
	v_cndmask_b32_e32 v28, v2, v3, vcc_lo
	v_cmp_eq_u32_e32 vcc_lo, 2, v24
	s_delay_alu instid0(VALU_DEP_2) | instskip(SKIP_1) | instid1(VALU_DEP_2)
	v_cndmask_b32_e32 v28, v28, v4, vcc_lo
	v_cmp_eq_u32_e32 vcc_lo, 3, v24
	v_cndmask_b32_e32 v28, v28, v5, vcc_lo
	v_cmp_eq_u32_e32 vcc_lo, 4, v24
	s_delay_alu instid0(VALU_DEP_2) | instskip(SKIP_1) | instid1(VALU_DEP_2)
	v_cndmask_b32_e32 v28, v28, v6, vcc_lo
	;; [unrolled: 5-line block ×10, first 2 shown]
	v_cmp_eq_u32_e32 vcc_lo, 21, v24
	v_cndmask_b32_e32 v28, v28, v23, vcc_lo
	v_cmp_lt_u32_e32 vcc_lo, 4, v24
	s_wait_dscnt 0x0
	s_delay_alu instid0(VALU_DEP_2) | instskip(SKIP_1) | instid1(SALU_CYCLE_1)
	v_fmac_f32_e32 v26, v28, v29
	s_or_b32 s5, vcc_lo, s5
	s_and_not1_b32 exec_lo, exec_lo, s5
	s_cbranch_execnz .LBB21_369
; %bb.370:
	s_or_b32 exec_lo, exec_lo, s5
.LBB21_371:
	s_delay_alu instid0(SALU_CYCLE_1)
	s_or_b32 exec_lo, exec_lo, s4
	v_mov_b32_e32 v8, 0
	ds_load_b32 v8, v8 offset:24
	s_wait_dscnt 0x0
	v_mul_f32_e32 v8, v26, v8
.LBB21_372:
	s_or_b32 exec_lo, exec_lo, s3
	v_cmp_gt_u32_e64 s3, 7, v0
	ds_store_b32 v113, v9
	s_wait_dscnt 0x0
	s_barrier_signal -1
	s_barrier_wait -1
	s_and_saveexec_b32 s4, s3
	s_cbranch_execz .LBB21_382
; %bb.373:
	v_cmp_ne_u32_e32 vcc_lo, 1, v34
	s_cbranch_vccnz .LBB21_375
; %bb.374:
	v_cmp_eq_u32_e32 vcc_lo, 1, v0
	ds_load_b32 v25, v113
	v_cndmask_b32_e32 v24, v2, v3, vcc_lo
	v_cmp_eq_u32_e32 vcc_lo, 2, v0
	s_delay_alu instid0(VALU_DEP_2) | instskip(SKIP_1) | instid1(VALU_DEP_2)
	v_cndmask_b32_e32 v24, v24, v4, vcc_lo
	v_cmp_eq_u32_e32 vcc_lo, 3, v0
	v_cndmask_b32_e32 v24, v24, v5, vcc_lo
	v_cmp_eq_u32_e32 vcc_lo, 4, v0
	s_delay_alu instid0(VALU_DEP_2) | instskip(SKIP_1) | instid1(VALU_DEP_2)
	v_cndmask_b32_e32 v24, v24, v6, vcc_lo
	v_cmp_eq_u32_e32 vcc_lo, 5, v0
	;; [unrolled: 5-line block ×10, first 2 shown]
	v_cndmask_b32_e32 v24, v24, v23, vcc_lo
	s_wait_dscnt 0x0
	s_delay_alu instid0(VALU_DEP_1)
	v_mul_f32_e32 v26, v24, v25
	s_cbranch_execz .LBB21_376
	s_branch .LBB21_377
.LBB21_375:
                                        ; implicit-def: $vgpr26
.LBB21_376:
	ds_load_b32 v26, v113
.LBB21_377:
	s_mov_b32 s5, exec_lo
	v_cmpx_ne_u32_e32 6, v0
	s_cbranch_execz .LBB21_381
; %bb.378:
	v_mov_b64_e32 v[24:25], v[0:1]
	v_lshl_add_u32 v27, v0, 2, 0x64
	s_mov_b32 s6, 0
.LBB21_379:                             ; =>This Inner Loop Header: Depth=1
	s_delay_alu instid0(VALU_DEP_2)
	v_add_nc_u64_e32 v[24:25], 1, v[24:25]
	ds_load_b32 v29, v27
	v_add_nc_u32_e32 v27, 4, v27
	v_cmp_eq_u32_e32 vcc_lo, 1, v24
	v_cndmask_b32_e32 v28, v2, v3, vcc_lo
	v_cmp_eq_u32_e32 vcc_lo, 2, v24
	s_delay_alu instid0(VALU_DEP_2) | instskip(SKIP_1) | instid1(VALU_DEP_2)
	v_cndmask_b32_e32 v28, v28, v4, vcc_lo
	v_cmp_eq_u32_e32 vcc_lo, 3, v24
	v_cndmask_b32_e32 v28, v28, v5, vcc_lo
	v_cmp_eq_u32_e32 vcc_lo, 4, v24
	s_delay_alu instid0(VALU_DEP_2) | instskip(SKIP_1) | instid1(VALU_DEP_2)
	v_cndmask_b32_e32 v28, v28, v6, vcc_lo
	;; [unrolled: 5-line block ×10, first 2 shown]
	v_cmp_eq_u32_e32 vcc_lo, 21, v24
	v_cndmask_b32_e32 v28, v28, v23, vcc_lo
	v_cmp_lt_u32_e32 vcc_lo, 5, v24
	s_wait_dscnt 0x0
	s_delay_alu instid0(VALU_DEP_2) | instskip(SKIP_1) | instid1(SALU_CYCLE_1)
	v_fmac_f32_e32 v26, v28, v29
	s_or_b32 s6, vcc_lo, s6
	s_and_not1_b32 exec_lo, exec_lo, s6
	s_cbranch_execnz .LBB21_379
; %bb.380:
	s_or_b32 exec_lo, exec_lo, s6
.LBB21_381:
	s_delay_alu instid0(SALU_CYCLE_1)
	s_or_b32 exec_lo, exec_lo, s5
	v_mov_b32_e32 v9, 0
	ds_load_b32 v9, v9 offset:28
	s_wait_dscnt 0x0
	v_mul_f32_e32 v9, v26, v9
.LBB21_382:
	s_or_b32 exec_lo, exec_lo, s4
	s_delay_alu instid0(SALU_CYCLE_1)
	s_mov_b32 s4, exec_lo
	ds_store_b32 v113, v10
	s_wait_dscnt 0x0
	s_barrier_signal -1
	s_barrier_wait -1
	v_cmpx_gt_u32_e32 8, v0
	s_cbranch_execz .LBB21_392
; %bb.383:
	v_cmp_ne_u32_e32 vcc_lo, 1, v34
	s_cbranch_vccnz .LBB21_385
; %bb.384:
	v_cmp_eq_u32_e32 vcc_lo, 1, v0
	ds_load_b32 v25, v113
	v_cndmask_b32_e32 v24, v2, v3, vcc_lo
	v_cmp_eq_u32_e32 vcc_lo, 2, v0
	s_delay_alu instid0(VALU_DEP_2) | instskip(SKIP_1) | instid1(VALU_DEP_2)
	v_cndmask_b32_e32 v24, v24, v4, vcc_lo
	v_cmp_eq_u32_e32 vcc_lo, 3, v0
	v_cndmask_b32_e32 v24, v24, v5, vcc_lo
	v_cmp_eq_u32_e32 vcc_lo, 4, v0
	s_delay_alu instid0(VALU_DEP_2) | instskip(SKIP_1) | instid1(VALU_DEP_2)
	v_cndmask_b32_e32 v24, v24, v6, vcc_lo
	v_cmp_eq_u32_e32 vcc_lo, 5, v0
	;; [unrolled: 5-line block ×10, first 2 shown]
	v_cndmask_b32_e32 v24, v24, v23, vcc_lo
	s_wait_dscnt 0x0
	s_delay_alu instid0(VALU_DEP_1)
	v_mul_f32_e32 v26, v24, v25
	s_cbranch_execz .LBB21_386
	s_branch .LBB21_387
.LBB21_385:
                                        ; implicit-def: $vgpr26
.LBB21_386:
	ds_load_b32 v26, v113
.LBB21_387:
	s_mov_b32 s5, exec_lo
	v_cmpx_ne_u32_e32 7, v0
	s_cbranch_execz .LBB21_391
; %bb.388:
	v_mov_b64_e32 v[24:25], v[0:1]
	v_lshl_add_u32 v27, v0, 2, 0x64
	s_mov_b32 s6, 0
.LBB21_389:                             ; =>This Inner Loop Header: Depth=1
	s_delay_alu instid0(VALU_DEP_2)
	v_add_nc_u64_e32 v[24:25], 1, v[24:25]
	ds_load_b32 v29, v27
	v_add_nc_u32_e32 v27, 4, v27
	v_cmp_eq_u32_e32 vcc_lo, 1, v24
	v_cndmask_b32_e32 v28, v2, v3, vcc_lo
	v_cmp_eq_u32_e32 vcc_lo, 2, v24
	s_delay_alu instid0(VALU_DEP_2) | instskip(SKIP_1) | instid1(VALU_DEP_2)
	v_cndmask_b32_e32 v28, v28, v4, vcc_lo
	v_cmp_eq_u32_e32 vcc_lo, 3, v24
	v_cndmask_b32_e32 v28, v28, v5, vcc_lo
	v_cmp_eq_u32_e32 vcc_lo, 4, v24
	s_delay_alu instid0(VALU_DEP_2) | instskip(SKIP_1) | instid1(VALU_DEP_2)
	v_cndmask_b32_e32 v28, v28, v6, vcc_lo
	;; [unrolled: 5-line block ×10, first 2 shown]
	v_cmp_eq_u32_e32 vcc_lo, 21, v24
	v_cndmask_b32_e32 v28, v28, v23, vcc_lo
	v_cmp_lt_u32_e32 vcc_lo, 6, v24
	s_wait_dscnt 0x0
	s_delay_alu instid0(VALU_DEP_2) | instskip(SKIP_1) | instid1(SALU_CYCLE_1)
	v_fmac_f32_e32 v26, v28, v29
	s_or_b32 s6, vcc_lo, s6
	s_and_not1_b32 exec_lo, exec_lo, s6
	s_cbranch_execnz .LBB21_389
; %bb.390:
	s_or_b32 exec_lo, exec_lo, s6
.LBB21_391:
	s_delay_alu instid0(SALU_CYCLE_1)
	s_or_b32 exec_lo, exec_lo, s5
	v_mov_b32_e32 v10, 0
	ds_load_b32 v10, v10 offset:32
	s_wait_dscnt 0x0
	v_mul_f32_e32 v10, v26, v10
.LBB21_392:
	s_or_b32 exec_lo, exec_lo, s4
	s_delay_alu instid0(SALU_CYCLE_1)
	s_mov_b32 s4, exec_lo
	ds_store_b32 v113, v11
	s_wait_dscnt 0x0
	s_barrier_signal -1
	s_barrier_wait -1
	v_cmpx_gt_u32_e32 9, v0
	s_cbranch_execz .LBB21_414
; %bb.393:
	v_cmp_ne_u32_e32 vcc_lo, 1, v34
	s_cbranch_vccnz .LBB21_395
; %bb.394:
	v_cmp_eq_u32_e32 vcc_lo, 1, v0
	ds_load_b32 v25, v113
	v_cndmask_b32_e32 v24, v2, v3, vcc_lo
	v_cmp_eq_u32_e32 vcc_lo, 2, v0
	s_delay_alu instid0(VALU_DEP_2) | instskip(SKIP_1) | instid1(VALU_DEP_2)
	v_cndmask_b32_e32 v24, v24, v4, vcc_lo
	v_cmp_eq_u32_e32 vcc_lo, 3, v0
	v_cndmask_b32_e32 v24, v24, v5, vcc_lo
	v_cmp_eq_u32_e32 vcc_lo, 4, v0
	s_delay_alu instid0(VALU_DEP_2) | instskip(SKIP_1) | instid1(VALU_DEP_2)
	v_cndmask_b32_e32 v24, v24, v6, vcc_lo
	v_cmp_eq_u32_e32 vcc_lo, 5, v0
	v_cndmask_b32_e32 v24, v24, v7, vcc_lo
	v_cmp_eq_u32_e32 vcc_lo, 6, v0
	s_delay_alu instid0(VALU_DEP_2) | instskip(SKIP_1) | instid1(VALU_DEP_2)
	v_cndmask_b32_e32 v24, v24, v8, vcc_lo
	v_cmp_eq_u32_e32 vcc_lo, 7, v0
	v_cndmask_b32_e32 v24, v24, v9, vcc_lo
	v_cmp_eq_u32_e32 vcc_lo, 8, v0
	s_delay_alu instid0(VALU_DEP_2) | instskip(SKIP_1) | instid1(VALU_DEP_2)
	v_cndmask_b32_e32 v24, v24, v10, vcc_lo
	v_cmp_eq_u32_e32 vcc_lo, 9, v0
	v_cndmask_b32_e32 v24, v24, v11, vcc_lo
	v_cmp_eq_u32_e32 vcc_lo, 10, v0
	s_delay_alu instid0(VALU_DEP_2) | instskip(SKIP_1) | instid1(VALU_DEP_2)
	v_cndmask_b32_e32 v24, v24, v12, vcc_lo
	v_cmp_eq_u32_e32 vcc_lo, 11, v0
	v_cndmask_b32_e32 v24, v24, v13, vcc_lo
	v_cmp_eq_u32_e32 vcc_lo, 12, v0
	s_delay_alu instid0(VALU_DEP_2) | instskip(SKIP_1) | instid1(VALU_DEP_2)
	v_cndmask_b32_e32 v24, v24, v14, vcc_lo
	v_cmp_eq_u32_e32 vcc_lo, 13, v0
	v_cndmask_b32_e32 v24, v24, v15, vcc_lo
	v_cmp_eq_u32_e32 vcc_lo, 14, v0
	s_delay_alu instid0(VALU_DEP_2) | instskip(SKIP_1) | instid1(VALU_DEP_2)
	v_cndmask_b32_e32 v24, v24, v16, vcc_lo
	v_cmp_eq_u32_e32 vcc_lo, 15, v0
	v_cndmask_b32_e32 v24, v24, v17, vcc_lo
	v_cmp_eq_u32_e32 vcc_lo, 16, v0
	s_delay_alu instid0(VALU_DEP_2) | instskip(SKIP_1) | instid1(VALU_DEP_2)
	v_cndmask_b32_e32 v24, v24, v18, vcc_lo
	v_cmp_eq_u32_e32 vcc_lo, 17, v0
	v_cndmask_b32_e32 v24, v24, v19, vcc_lo
	v_cmp_eq_u32_e32 vcc_lo, 18, v0
	s_delay_alu instid0(VALU_DEP_2) | instskip(SKIP_1) | instid1(VALU_DEP_2)
	v_cndmask_b32_e32 v24, v24, v20, vcc_lo
	v_cmp_eq_u32_e32 vcc_lo, 19, v0
	v_cndmask_b32_e32 v24, v24, v21, vcc_lo
	v_cmp_eq_u32_e32 vcc_lo, 20, v0
	s_delay_alu instid0(VALU_DEP_2) | instskip(SKIP_1) | instid1(VALU_DEP_2)
	v_cndmask_b32_e32 v24, v24, v22, vcc_lo
	v_cmp_eq_u32_e32 vcc_lo, 21, v0
	v_cndmask_b32_e32 v24, v24, v23, vcc_lo
	s_wait_dscnt 0x0
	s_delay_alu instid0(VALU_DEP_1)
	v_mul_f32_e32 v24, v24, v25
	s_cbranch_execz .LBB21_396
	s_branch .LBB21_397
.LBB21_395:
                                        ; implicit-def: $vgpr24
.LBB21_396:
	ds_load_b32 v24, v113
.LBB21_397:
	s_mov_b32 s5, exec_lo
	v_cmpx_ne_u32_e32 8, v0
	s_cbranch_execz .LBB21_413
; %bb.398:
	v_cmp_eq_u32_e32 vcc_lo, 1, v35
	ds_load_b32 v26, v113 offset:4
	v_cndmask_b32_e32 v25, v2, v3, vcc_lo
	v_cmp_eq_u32_e32 vcc_lo, 2, v35
	s_delay_alu instid0(VALU_DEP_2) | instskip(SKIP_1) | instid1(VALU_DEP_2)
	v_cndmask_b32_e32 v25, v25, v4, vcc_lo
	v_cmp_eq_u32_e32 vcc_lo, 3, v35
	v_cndmask_b32_e32 v25, v25, v5, vcc_lo
	v_cmp_eq_u32_e32 vcc_lo, 4, v35
	s_delay_alu instid0(VALU_DEP_2) | instskip(SKIP_1) | instid1(VALU_DEP_2)
	v_cndmask_b32_e32 v25, v25, v6, vcc_lo
	v_cmp_eq_u32_e32 vcc_lo, 5, v35
	;; [unrolled: 5-line block ×10, first 2 shown]
	v_cndmask_b32_e32 v25, v25, v23, vcc_lo
	s_wait_dscnt 0x0
	s_delay_alu instid0(VALU_DEP_1)
	v_fmac_f32_e32 v24, v25, v26
	s_and_saveexec_b32 s6, s3
	s_cbranch_execz .LBB21_412
; %bb.399:
	v_add_nc_u32_e32 v25, 2, v0
	ds_load_b32 v27, v113 offset:8
	s_mov_b32 s3, exec_lo
	v_cmp_eq_u32_e32 vcc_lo, 1, v25
	v_cndmask_b32_e32 v26, v2, v3, vcc_lo
	v_cmp_eq_u32_e32 vcc_lo, 2, v25
	s_delay_alu instid0(VALU_DEP_2) | instskip(SKIP_1) | instid1(VALU_DEP_2)
	v_cndmask_b32_e32 v26, v26, v4, vcc_lo
	v_cmp_eq_u32_e32 vcc_lo, 3, v25
	v_cndmask_b32_e32 v26, v26, v5, vcc_lo
	v_cmp_eq_u32_e32 vcc_lo, 4, v25
	s_delay_alu instid0(VALU_DEP_2) | instskip(SKIP_1) | instid1(VALU_DEP_2)
	v_cndmask_b32_e32 v26, v26, v6, vcc_lo
	;; [unrolled: 5-line block ×10, first 2 shown]
	v_cmp_eq_u32_e32 vcc_lo, 21, v25
	v_cndmask_b32_e32 v25, v26, v23, vcc_lo
	s_wait_dscnt 0x0
	s_delay_alu instid0(VALU_DEP_1)
	v_fmac_f32_e32 v24, v25, v27
	v_cmpx_ne_u32_e32 6, v0
	s_cbranch_execz .LBB21_411
; %bb.400:
	v_add_nc_u32_e32 v25, 3, v0
	ds_load_b32 v27, v113 offset:12
	v_cmp_eq_u32_e32 vcc_lo, 1, v25
	v_cndmask_b32_e32 v26, v2, v3, vcc_lo
	v_cmp_eq_u32_e32 vcc_lo, 2, v25
	s_delay_alu instid0(VALU_DEP_2) | instskip(SKIP_1) | instid1(VALU_DEP_2)
	v_cndmask_b32_e32 v26, v26, v4, vcc_lo
	v_cmp_eq_u32_e32 vcc_lo, 3, v25
	v_cndmask_b32_e32 v26, v26, v5, vcc_lo
	v_cmp_eq_u32_e32 vcc_lo, 4, v25
	s_delay_alu instid0(VALU_DEP_2) | instskip(SKIP_1) | instid1(VALU_DEP_2)
	v_cndmask_b32_e32 v26, v26, v6, vcc_lo
	v_cmp_eq_u32_e32 vcc_lo, 5, v25
	v_cndmask_b32_e32 v26, v26, v7, vcc_lo
	v_cmp_eq_u32_e32 vcc_lo, 6, v25
	s_delay_alu instid0(VALU_DEP_2) | instskip(SKIP_1) | instid1(VALU_DEP_2)
	v_cndmask_b32_e32 v26, v26, v8, vcc_lo
	v_cmp_eq_u32_e32 vcc_lo, 7, v25
	v_cndmask_b32_e32 v26, v26, v9, vcc_lo
	v_cmp_eq_u32_e32 vcc_lo, 8, v25
	s_delay_alu instid0(VALU_DEP_2) | instskip(SKIP_1) | instid1(VALU_DEP_2)
	v_cndmask_b32_e32 v26, v26, v10, vcc_lo
	v_cmp_eq_u32_e32 vcc_lo, 9, v25
	v_cndmask_b32_e32 v26, v26, v11, vcc_lo
	v_cmp_eq_u32_e32 vcc_lo, 10, v25
	s_delay_alu instid0(VALU_DEP_2) | instskip(SKIP_1) | instid1(VALU_DEP_2)
	v_cndmask_b32_e32 v26, v26, v12, vcc_lo
	v_cmp_eq_u32_e32 vcc_lo, 11, v25
	v_cndmask_b32_e32 v26, v26, v13, vcc_lo
	v_cmp_eq_u32_e32 vcc_lo, 12, v25
	s_delay_alu instid0(VALU_DEP_2) | instskip(SKIP_1) | instid1(VALU_DEP_2)
	v_cndmask_b32_e32 v26, v26, v14, vcc_lo
	v_cmp_eq_u32_e32 vcc_lo, 13, v25
	v_cndmask_b32_e32 v26, v26, v15, vcc_lo
	v_cmp_eq_u32_e32 vcc_lo, 14, v25
	s_delay_alu instid0(VALU_DEP_2) | instskip(SKIP_1) | instid1(VALU_DEP_2)
	v_cndmask_b32_e32 v26, v26, v16, vcc_lo
	v_cmp_eq_u32_e32 vcc_lo, 15, v25
	v_cndmask_b32_e32 v26, v26, v17, vcc_lo
	v_cmp_eq_u32_e32 vcc_lo, 16, v25
	s_delay_alu instid0(VALU_DEP_2) | instskip(SKIP_1) | instid1(VALU_DEP_2)
	v_cndmask_b32_e32 v26, v26, v18, vcc_lo
	v_cmp_eq_u32_e32 vcc_lo, 17, v25
	v_cndmask_b32_e32 v26, v26, v19, vcc_lo
	v_cmp_eq_u32_e32 vcc_lo, 18, v25
	s_delay_alu instid0(VALU_DEP_2) | instskip(SKIP_1) | instid1(VALU_DEP_2)
	v_cndmask_b32_e32 v26, v26, v20, vcc_lo
	v_cmp_eq_u32_e32 vcc_lo, 19, v25
	v_cndmask_b32_e32 v26, v26, v21, vcc_lo
	v_cmp_eq_u32_e32 vcc_lo, 20, v25
	s_delay_alu instid0(VALU_DEP_2) | instskip(SKIP_1) | instid1(VALU_DEP_2)
	v_cndmask_b32_e32 v26, v26, v22, vcc_lo
	v_cmp_eq_u32_e32 vcc_lo, 21, v25
	v_cndmask_b32_e32 v25, v26, v23, vcc_lo
	s_wait_dscnt 0x0
	s_delay_alu instid0(VALU_DEP_1)
	v_fmac_f32_e32 v24, v25, v27
	s_and_saveexec_b32 s7, s2
	s_cbranch_execz .LBB21_410
; %bb.401:
	v_add_nc_u32_e32 v25, 4, v0
	ds_load_b32 v27, v113 offset:16
	s_mov_b32 s2, exec_lo
	v_cmp_eq_u32_e32 vcc_lo, 1, v25
	v_cndmask_b32_e32 v26, v2, v3, vcc_lo
	v_cmp_eq_u32_e32 vcc_lo, 2, v25
	s_delay_alu instid0(VALU_DEP_2) | instskip(SKIP_1) | instid1(VALU_DEP_2)
	v_cndmask_b32_e32 v26, v26, v4, vcc_lo
	v_cmp_eq_u32_e32 vcc_lo, 3, v25
	v_cndmask_b32_e32 v26, v26, v5, vcc_lo
	v_cmp_eq_u32_e32 vcc_lo, 4, v25
	s_delay_alu instid0(VALU_DEP_2) | instskip(SKIP_1) | instid1(VALU_DEP_2)
	v_cndmask_b32_e32 v26, v26, v6, vcc_lo
	;; [unrolled: 5-line block ×10, first 2 shown]
	v_cmp_eq_u32_e32 vcc_lo, 21, v25
	v_cndmask_b32_e32 v25, v26, v23, vcc_lo
	s_wait_dscnt 0x0
	s_delay_alu instid0(VALU_DEP_1)
	v_fmac_f32_e32 v24, v25, v27
	v_cmpx_ne_u32_e32 4, v0
	s_cbranch_execz .LBB21_409
; %bb.402:
	v_add_nc_u32_e32 v25, 5, v0
	ds_load_b32 v27, v113 offset:20
	v_cmp_eq_u32_e32 vcc_lo, 1, v25
	v_cndmask_b32_e32 v26, v2, v3, vcc_lo
	v_cmp_eq_u32_e32 vcc_lo, 2, v25
	s_delay_alu instid0(VALU_DEP_2) | instskip(SKIP_1) | instid1(VALU_DEP_2)
	v_cndmask_b32_e32 v26, v26, v4, vcc_lo
	v_cmp_eq_u32_e32 vcc_lo, 3, v25
	v_cndmask_b32_e32 v26, v26, v5, vcc_lo
	v_cmp_eq_u32_e32 vcc_lo, 4, v25
	s_delay_alu instid0(VALU_DEP_2) | instskip(SKIP_1) | instid1(VALU_DEP_2)
	v_cndmask_b32_e32 v26, v26, v6, vcc_lo
	;; [unrolled: 5-line block ×10, first 2 shown]
	v_cmp_eq_u32_e32 vcc_lo, 21, v25
	v_cndmask_b32_e32 v25, v26, v23, vcc_lo
	s_wait_dscnt 0x0
	s_delay_alu instid0(VALU_DEP_1)
	v_fmac_f32_e32 v24, v25, v27
	s_and_saveexec_b32 s8, s1
	s_cbranch_execz .LBB21_408
; %bb.403:
	v_add_nc_u32_e32 v25, 6, v0
	ds_load_b32 v27, v113 offset:24
	s_mov_b32 s1, exec_lo
	v_cmp_eq_u32_e32 vcc_lo, 1, v25
	v_cndmask_b32_e32 v26, v2, v3, vcc_lo
	v_cmp_eq_u32_e32 vcc_lo, 2, v25
	s_delay_alu instid0(VALU_DEP_2) | instskip(SKIP_1) | instid1(VALU_DEP_2)
	v_cndmask_b32_e32 v26, v26, v4, vcc_lo
	v_cmp_eq_u32_e32 vcc_lo, 3, v25
	v_cndmask_b32_e32 v26, v26, v5, vcc_lo
	v_cmp_eq_u32_e32 vcc_lo, 4, v25
	s_delay_alu instid0(VALU_DEP_2) | instskip(SKIP_1) | instid1(VALU_DEP_2)
	v_cndmask_b32_e32 v26, v26, v6, vcc_lo
	;; [unrolled: 5-line block ×10, first 2 shown]
	v_cmp_eq_u32_e32 vcc_lo, 21, v25
	v_cndmask_b32_e32 v25, v26, v23, vcc_lo
	s_wait_dscnt 0x0
	s_delay_alu instid0(VALU_DEP_1)
	v_fmac_f32_e32 v24, v25, v27
	v_cmpx_ne_u32_e32 2, v0
	s_cbranch_execz .LBB21_407
; %bb.404:
	v_add_nc_u32_e32 v25, 7, v0
	s_delay_alu instid0(VALU_DEP_1) | instskip(SKIP_2) | instid1(VALU_DEP_2)
	v_cmp_eq_u32_e32 vcc_lo, 1, v25
	v_cndmask_b32_e32 v26, v2, v3, vcc_lo
	v_cmp_eq_u32_e32 vcc_lo, 2, v25
	v_cndmask_b32_e32 v26, v26, v4, vcc_lo
	v_cmp_eq_u32_e32 vcc_lo, 3, v25
	s_delay_alu instid0(VALU_DEP_2) | instskip(SKIP_1) | instid1(VALU_DEP_2)
	v_cndmask_b32_e32 v26, v26, v5, vcc_lo
	v_cmp_eq_u32_e32 vcc_lo, 4, v25
	v_cndmask_b32_e32 v26, v26, v6, vcc_lo
	v_cmp_eq_u32_e32 vcc_lo, 5, v25
	s_delay_alu instid0(VALU_DEP_2) | instskip(SKIP_1) | instid1(VALU_DEP_2)
	;; [unrolled: 5-line block ×3, first 2 shown]
	v_cndmask_b32_e32 v26, v26, v9, vcc_lo
	v_cmp_eq_u32_e32 vcc_lo, 8, v25
	v_cndmask_b32_e32 v26, v26, v10, vcc_lo
	v_cmp_eq_u32_e32 vcc_lo, 9, v25
	s_delay_alu instid0(VALU_DEP_2) | instskip(SKIP_4) | instid1(VALU_DEP_2)
	v_cndmask_b32_e32 v11, v26, v11, vcc_lo
	v_cmp_eq_u32_e32 vcc_lo, 10, v25
	ds_load_b32 v26, v113 offset:28
	v_cndmask_b32_e32 v11, v11, v12, vcc_lo
	v_cmp_eq_u32_e32 vcc_lo, 11, v25
	v_cndmask_b32_e32 v11, v11, v13, vcc_lo
	v_cmp_eq_u32_e32 vcc_lo, 12, v25
	s_delay_alu instid0(VALU_DEP_2) | instskip(SKIP_1) | instid1(VALU_DEP_2)
	v_cndmask_b32_e32 v11, v11, v14, vcc_lo
	v_cmp_eq_u32_e32 vcc_lo, 13, v25
	v_cndmask_b32_e32 v11, v11, v15, vcc_lo
	v_cmp_eq_u32_e32 vcc_lo, 14, v25
	s_delay_alu instid0(VALU_DEP_2) | instskip(SKIP_1) | instid1(VALU_DEP_2)
	;; [unrolled: 5-line block ×5, first 2 shown]
	v_cndmask_b32_e32 v11, v11, v22, vcc_lo
	v_cmp_eq_u32_e32 vcc_lo, 21, v25
	v_cndmask_b32_e32 v11, v11, v23, vcc_lo
	s_wait_dscnt 0x0
	s_delay_alu instid0(VALU_DEP_1)
	v_fmac_f32_e32 v24, v11, v26
	s_and_saveexec_b32 s9, s0
	s_cbranch_execz .LBB21_406
; %bb.405:
	ds_load_b32 v11, v113 offset:32
	s_wait_dscnt 0x0
	v_fmac_f32_e32 v24, v10, v11
.LBB21_406:
	s_or_b32 exec_lo, exec_lo, s9
.LBB21_407:
	s_delay_alu instid0(SALU_CYCLE_1)
	s_or_b32 exec_lo, exec_lo, s1
.LBB21_408:
	s_delay_alu instid0(SALU_CYCLE_1)
	s_or_b32 exec_lo, exec_lo, s8
.LBB21_409:
	s_delay_alu instid0(SALU_CYCLE_1)
	s_or_b32 exec_lo, exec_lo, s2
.LBB21_410:
	s_delay_alu instid0(SALU_CYCLE_1)
	s_or_b32 exec_lo, exec_lo, s7
.LBB21_411:
	s_delay_alu instid0(SALU_CYCLE_1)
	s_or_b32 exec_lo, exec_lo, s3
.LBB21_412:
	s_delay_alu instid0(SALU_CYCLE_1)
	s_or_b32 exec_lo, exec_lo, s6
.LBB21_413:
	s_delay_alu instid0(SALU_CYCLE_1)
	s_or_b32 exec_lo, exec_lo, s5
	v_mov_b32_e32 v11, 0
	ds_load_b32 v11, v11 offset:36
	s_wait_dscnt 0x0
	v_mul_f32_e32 v11, v24, v11
.LBB21_414:
	s_or_b32 exec_lo, exec_lo, s4
	s_delay_alu instid0(SALU_CYCLE_1)
	s_mov_b32 s0, exec_lo
	ds_store_b32 v113, v12
	s_wait_dscnt 0x0
	s_barrier_signal -1
	s_barrier_wait -1
	v_cmpx_gt_u32_e32 10, v0
	s_cbranch_execz .LBB21_424
; %bb.415:
	v_cmp_ne_u32_e32 vcc_lo, 1, v34
	s_cbranch_vccnz .LBB21_417
; %bb.416:
	v_cmp_eq_u32_e32 vcc_lo, 1, v0
	ds_load_b32 v25, v113
	v_cndmask_b32_e32 v24, v2, v3, vcc_lo
	v_cmp_eq_u32_e32 vcc_lo, 2, v0
	s_delay_alu instid0(VALU_DEP_2) | instskip(SKIP_1) | instid1(VALU_DEP_2)
	v_cndmask_b32_e32 v24, v24, v4, vcc_lo
	v_cmp_eq_u32_e32 vcc_lo, 3, v0
	v_cndmask_b32_e32 v24, v24, v5, vcc_lo
	v_cmp_eq_u32_e32 vcc_lo, 4, v0
	s_delay_alu instid0(VALU_DEP_2) | instskip(SKIP_1) | instid1(VALU_DEP_2)
	v_cndmask_b32_e32 v24, v24, v6, vcc_lo
	v_cmp_eq_u32_e32 vcc_lo, 5, v0
	;; [unrolled: 5-line block ×10, first 2 shown]
	v_cndmask_b32_e32 v24, v24, v23, vcc_lo
	s_wait_dscnt 0x0
	s_delay_alu instid0(VALU_DEP_1)
	v_mul_f32_e32 v26, v24, v25
	s_cbranch_execz .LBB21_418
	s_branch .LBB21_419
.LBB21_417:
                                        ; implicit-def: $vgpr26
.LBB21_418:
	ds_load_b32 v26, v113
.LBB21_419:
	s_mov_b32 s1, exec_lo
	v_cmpx_ne_u32_e32 9, v0
	s_cbranch_execz .LBB21_423
; %bb.420:
	v_mov_b64_e32 v[24:25], v[0:1]
	v_lshl_add_u32 v27, v0, 2, 0x64
	s_mov_b32 s2, 0
.LBB21_421:                             ; =>This Inner Loop Header: Depth=1
	s_delay_alu instid0(VALU_DEP_2)
	v_add_nc_u64_e32 v[24:25], 1, v[24:25]
	ds_load_b32 v29, v27
	v_add_nc_u32_e32 v27, 4, v27
	v_cmp_eq_u32_e32 vcc_lo, 1, v24
	v_cndmask_b32_e32 v28, v2, v3, vcc_lo
	v_cmp_eq_u32_e32 vcc_lo, 2, v24
	s_delay_alu instid0(VALU_DEP_2) | instskip(SKIP_1) | instid1(VALU_DEP_2)
	v_cndmask_b32_e32 v28, v28, v4, vcc_lo
	v_cmp_eq_u32_e32 vcc_lo, 3, v24
	v_cndmask_b32_e32 v28, v28, v5, vcc_lo
	v_cmp_eq_u32_e32 vcc_lo, 4, v24
	s_delay_alu instid0(VALU_DEP_2) | instskip(SKIP_1) | instid1(VALU_DEP_2)
	v_cndmask_b32_e32 v28, v28, v6, vcc_lo
	;; [unrolled: 5-line block ×10, first 2 shown]
	v_cmp_eq_u32_e32 vcc_lo, 21, v24
	v_cndmask_b32_e32 v28, v28, v23, vcc_lo
	v_cmp_lt_u32_e32 vcc_lo, 8, v24
	s_wait_dscnt 0x0
	s_delay_alu instid0(VALU_DEP_2) | instskip(SKIP_1) | instid1(SALU_CYCLE_1)
	v_fmac_f32_e32 v26, v28, v29
	s_or_b32 s2, vcc_lo, s2
	s_and_not1_b32 exec_lo, exec_lo, s2
	s_cbranch_execnz .LBB21_421
; %bb.422:
	s_or_b32 exec_lo, exec_lo, s2
.LBB21_423:
	s_delay_alu instid0(SALU_CYCLE_1)
	s_or_b32 exec_lo, exec_lo, s1
	v_mov_b32_e32 v12, 0
	ds_load_b32 v12, v12 offset:40
	s_wait_dscnt 0x0
	v_mul_f32_e32 v12, v26, v12
.LBB21_424:
	s_or_b32 exec_lo, exec_lo, s0
	s_delay_alu instid0(SALU_CYCLE_1)
	s_mov_b32 s0, exec_lo
	ds_store_b32 v113, v13
	s_wait_dscnt 0x0
	s_barrier_signal -1
	s_barrier_wait -1
	v_cmpx_gt_u32_e32 11, v0
	s_cbranch_execz .LBB21_434
; %bb.425:
	v_cmp_ne_u32_e32 vcc_lo, 1, v34
	s_cbranch_vccnz .LBB21_427
; %bb.426:
	v_cmp_eq_u32_e32 vcc_lo, 1, v0
	ds_load_b32 v25, v113
	v_cndmask_b32_e32 v24, v2, v3, vcc_lo
	v_cmp_eq_u32_e32 vcc_lo, 2, v0
	s_delay_alu instid0(VALU_DEP_2) | instskip(SKIP_1) | instid1(VALU_DEP_2)
	v_cndmask_b32_e32 v24, v24, v4, vcc_lo
	v_cmp_eq_u32_e32 vcc_lo, 3, v0
	v_cndmask_b32_e32 v24, v24, v5, vcc_lo
	v_cmp_eq_u32_e32 vcc_lo, 4, v0
	s_delay_alu instid0(VALU_DEP_2) | instskip(SKIP_1) | instid1(VALU_DEP_2)
	v_cndmask_b32_e32 v24, v24, v6, vcc_lo
	v_cmp_eq_u32_e32 vcc_lo, 5, v0
	;; [unrolled: 5-line block ×10, first 2 shown]
	v_cndmask_b32_e32 v24, v24, v23, vcc_lo
	s_wait_dscnt 0x0
	s_delay_alu instid0(VALU_DEP_1)
	v_mul_f32_e32 v26, v24, v25
	s_cbranch_execz .LBB21_428
	s_branch .LBB21_429
.LBB21_427:
                                        ; implicit-def: $vgpr26
.LBB21_428:
	ds_load_b32 v26, v113
.LBB21_429:
	s_mov_b32 s1, exec_lo
	v_cmpx_ne_u32_e32 10, v0
	s_cbranch_execz .LBB21_433
; %bb.430:
	v_mov_b64_e32 v[24:25], v[0:1]
	v_lshl_add_u32 v27, v0, 2, 0x64
	s_mov_b32 s2, 0
.LBB21_431:                             ; =>This Inner Loop Header: Depth=1
	s_delay_alu instid0(VALU_DEP_2)
	v_add_nc_u64_e32 v[24:25], 1, v[24:25]
	ds_load_b32 v29, v27
	v_add_nc_u32_e32 v27, 4, v27
	v_cmp_eq_u32_e32 vcc_lo, 1, v24
	v_cndmask_b32_e32 v28, v2, v3, vcc_lo
	v_cmp_eq_u32_e32 vcc_lo, 2, v24
	s_delay_alu instid0(VALU_DEP_2) | instskip(SKIP_1) | instid1(VALU_DEP_2)
	v_cndmask_b32_e32 v28, v28, v4, vcc_lo
	v_cmp_eq_u32_e32 vcc_lo, 3, v24
	v_cndmask_b32_e32 v28, v28, v5, vcc_lo
	v_cmp_eq_u32_e32 vcc_lo, 4, v24
	s_delay_alu instid0(VALU_DEP_2) | instskip(SKIP_1) | instid1(VALU_DEP_2)
	v_cndmask_b32_e32 v28, v28, v6, vcc_lo
	;; [unrolled: 5-line block ×10, first 2 shown]
	v_cmp_eq_u32_e32 vcc_lo, 21, v24
	v_cndmask_b32_e32 v28, v28, v23, vcc_lo
	v_cmp_lt_u32_e32 vcc_lo, 9, v24
	s_wait_dscnt 0x0
	s_delay_alu instid0(VALU_DEP_2) | instskip(SKIP_1) | instid1(SALU_CYCLE_1)
	v_fmac_f32_e32 v26, v28, v29
	s_or_b32 s2, vcc_lo, s2
	s_and_not1_b32 exec_lo, exec_lo, s2
	s_cbranch_execnz .LBB21_431
; %bb.432:
	s_or_b32 exec_lo, exec_lo, s2
.LBB21_433:
	s_delay_alu instid0(SALU_CYCLE_1)
	s_or_b32 exec_lo, exec_lo, s1
	v_mov_b32_e32 v13, 0
	ds_load_b32 v13, v13 offset:44
	s_wait_dscnt 0x0
	v_mul_f32_e32 v13, v26, v13
.LBB21_434:
	s_or_b32 exec_lo, exec_lo, s0
	s_delay_alu instid0(SALU_CYCLE_1)
	s_mov_b32 s0, exec_lo
	ds_store_b32 v113, v14
	s_wait_dscnt 0x0
	s_barrier_signal -1
	s_barrier_wait -1
	v_cmpx_gt_u32_e32 12, v0
	s_cbranch_execz .LBB21_444
; %bb.435:
	v_cmp_ne_u32_e32 vcc_lo, 1, v34
	s_cbranch_vccnz .LBB21_437
; %bb.436:
	v_cmp_eq_u32_e32 vcc_lo, 1, v0
	ds_load_b32 v25, v113
	v_cndmask_b32_e32 v24, v2, v3, vcc_lo
	v_cmp_eq_u32_e32 vcc_lo, 2, v0
	s_delay_alu instid0(VALU_DEP_2) | instskip(SKIP_1) | instid1(VALU_DEP_2)
	v_cndmask_b32_e32 v24, v24, v4, vcc_lo
	v_cmp_eq_u32_e32 vcc_lo, 3, v0
	v_cndmask_b32_e32 v24, v24, v5, vcc_lo
	v_cmp_eq_u32_e32 vcc_lo, 4, v0
	s_delay_alu instid0(VALU_DEP_2) | instskip(SKIP_1) | instid1(VALU_DEP_2)
	v_cndmask_b32_e32 v24, v24, v6, vcc_lo
	v_cmp_eq_u32_e32 vcc_lo, 5, v0
	;; [unrolled: 5-line block ×10, first 2 shown]
	v_cndmask_b32_e32 v24, v24, v23, vcc_lo
	s_wait_dscnt 0x0
	s_delay_alu instid0(VALU_DEP_1)
	v_mul_f32_e32 v26, v24, v25
	s_cbranch_execz .LBB21_438
	s_branch .LBB21_439
.LBB21_437:
                                        ; implicit-def: $vgpr26
.LBB21_438:
	ds_load_b32 v26, v113
.LBB21_439:
	s_mov_b32 s1, exec_lo
	v_cmpx_ne_u32_e32 11, v0
	s_cbranch_execz .LBB21_443
; %bb.440:
	v_mov_b64_e32 v[24:25], v[0:1]
	v_lshl_add_u32 v27, v0, 2, 0x64
	s_mov_b32 s2, 0
.LBB21_441:                             ; =>This Inner Loop Header: Depth=1
	s_delay_alu instid0(VALU_DEP_2)
	v_add_nc_u64_e32 v[24:25], 1, v[24:25]
	ds_load_b32 v29, v27
	v_add_nc_u32_e32 v27, 4, v27
	v_cmp_eq_u32_e32 vcc_lo, 1, v24
	v_cndmask_b32_e32 v28, v2, v3, vcc_lo
	v_cmp_eq_u32_e32 vcc_lo, 2, v24
	s_delay_alu instid0(VALU_DEP_2) | instskip(SKIP_1) | instid1(VALU_DEP_2)
	v_cndmask_b32_e32 v28, v28, v4, vcc_lo
	v_cmp_eq_u32_e32 vcc_lo, 3, v24
	v_cndmask_b32_e32 v28, v28, v5, vcc_lo
	v_cmp_eq_u32_e32 vcc_lo, 4, v24
	s_delay_alu instid0(VALU_DEP_2) | instskip(SKIP_1) | instid1(VALU_DEP_2)
	v_cndmask_b32_e32 v28, v28, v6, vcc_lo
	;; [unrolled: 5-line block ×10, first 2 shown]
	v_cmp_eq_u32_e32 vcc_lo, 21, v24
	v_cndmask_b32_e32 v28, v28, v23, vcc_lo
	v_cmp_lt_u32_e32 vcc_lo, 10, v24
	s_wait_dscnt 0x0
	s_delay_alu instid0(VALU_DEP_2) | instskip(SKIP_1) | instid1(SALU_CYCLE_1)
	v_fmac_f32_e32 v26, v28, v29
	s_or_b32 s2, vcc_lo, s2
	s_and_not1_b32 exec_lo, exec_lo, s2
	s_cbranch_execnz .LBB21_441
; %bb.442:
	s_or_b32 exec_lo, exec_lo, s2
.LBB21_443:
	s_delay_alu instid0(SALU_CYCLE_1)
	s_or_b32 exec_lo, exec_lo, s1
	v_mov_b32_e32 v14, 0
	ds_load_b32 v14, v14 offset:48
	s_wait_dscnt 0x0
	v_mul_f32_e32 v14, v26, v14
.LBB21_444:
	s_or_b32 exec_lo, exec_lo, s0
	s_delay_alu instid0(SALU_CYCLE_1)
	s_mov_b32 s0, exec_lo
	ds_store_b32 v113, v15
	s_wait_dscnt 0x0
	s_barrier_signal -1
	s_barrier_wait -1
	v_cmpx_gt_u32_e32 13, v0
	s_cbranch_execz .LBB21_454
; %bb.445:
	v_cmp_ne_u32_e32 vcc_lo, 1, v34
	s_cbranch_vccnz .LBB21_447
; %bb.446:
	v_cmp_eq_u32_e32 vcc_lo, 1, v0
	ds_load_b32 v25, v113
	v_cndmask_b32_e32 v24, v2, v3, vcc_lo
	v_cmp_eq_u32_e32 vcc_lo, 2, v0
	s_delay_alu instid0(VALU_DEP_2) | instskip(SKIP_1) | instid1(VALU_DEP_2)
	v_cndmask_b32_e32 v24, v24, v4, vcc_lo
	v_cmp_eq_u32_e32 vcc_lo, 3, v0
	v_cndmask_b32_e32 v24, v24, v5, vcc_lo
	v_cmp_eq_u32_e32 vcc_lo, 4, v0
	s_delay_alu instid0(VALU_DEP_2) | instskip(SKIP_1) | instid1(VALU_DEP_2)
	v_cndmask_b32_e32 v24, v24, v6, vcc_lo
	v_cmp_eq_u32_e32 vcc_lo, 5, v0
	;; [unrolled: 5-line block ×10, first 2 shown]
	v_cndmask_b32_e32 v24, v24, v23, vcc_lo
	s_wait_dscnt 0x0
	s_delay_alu instid0(VALU_DEP_1)
	v_mul_f32_e32 v26, v24, v25
	s_cbranch_execz .LBB21_448
	s_branch .LBB21_449
.LBB21_447:
                                        ; implicit-def: $vgpr26
.LBB21_448:
	ds_load_b32 v26, v113
.LBB21_449:
	s_mov_b32 s1, exec_lo
	v_cmpx_ne_u32_e32 12, v0
	s_cbranch_execz .LBB21_453
; %bb.450:
	v_mov_b64_e32 v[24:25], v[0:1]
	v_lshl_add_u32 v27, v0, 2, 0x64
	s_mov_b32 s2, 0
.LBB21_451:                             ; =>This Inner Loop Header: Depth=1
	s_delay_alu instid0(VALU_DEP_2)
	v_add_nc_u64_e32 v[24:25], 1, v[24:25]
	ds_load_b32 v29, v27
	v_add_nc_u32_e32 v27, 4, v27
	v_cmp_eq_u32_e32 vcc_lo, 1, v24
	v_cndmask_b32_e32 v28, v2, v3, vcc_lo
	v_cmp_eq_u32_e32 vcc_lo, 2, v24
	s_delay_alu instid0(VALU_DEP_2) | instskip(SKIP_1) | instid1(VALU_DEP_2)
	v_cndmask_b32_e32 v28, v28, v4, vcc_lo
	v_cmp_eq_u32_e32 vcc_lo, 3, v24
	v_cndmask_b32_e32 v28, v28, v5, vcc_lo
	v_cmp_eq_u32_e32 vcc_lo, 4, v24
	s_delay_alu instid0(VALU_DEP_2) | instskip(SKIP_1) | instid1(VALU_DEP_2)
	v_cndmask_b32_e32 v28, v28, v6, vcc_lo
	;; [unrolled: 5-line block ×10, first 2 shown]
	v_cmp_eq_u32_e32 vcc_lo, 21, v24
	v_cndmask_b32_e32 v28, v28, v23, vcc_lo
	v_cmp_lt_u32_e32 vcc_lo, 11, v24
	s_wait_dscnt 0x0
	s_delay_alu instid0(VALU_DEP_2) | instskip(SKIP_1) | instid1(SALU_CYCLE_1)
	v_fmac_f32_e32 v26, v28, v29
	s_or_b32 s2, vcc_lo, s2
	s_and_not1_b32 exec_lo, exec_lo, s2
	s_cbranch_execnz .LBB21_451
; %bb.452:
	s_or_b32 exec_lo, exec_lo, s2
.LBB21_453:
	s_delay_alu instid0(SALU_CYCLE_1)
	s_or_b32 exec_lo, exec_lo, s1
	v_mov_b32_e32 v15, 0
	ds_load_b32 v15, v15 offset:52
	s_wait_dscnt 0x0
	v_mul_f32_e32 v15, v26, v15
.LBB21_454:
	s_or_b32 exec_lo, exec_lo, s0
	s_delay_alu instid0(SALU_CYCLE_1)
	s_mov_b32 s0, exec_lo
	ds_store_b32 v113, v16
	s_wait_dscnt 0x0
	s_barrier_signal -1
	s_barrier_wait -1
	v_cmpx_gt_u32_e32 14, v0
	s_cbranch_execz .LBB21_464
; %bb.455:
	v_cmp_ne_u32_e32 vcc_lo, 1, v34
	s_cbranch_vccnz .LBB21_457
; %bb.456:
	v_cmp_eq_u32_e32 vcc_lo, 1, v0
	ds_load_b32 v25, v113
	v_cndmask_b32_e32 v24, v2, v3, vcc_lo
	v_cmp_eq_u32_e32 vcc_lo, 2, v0
	s_delay_alu instid0(VALU_DEP_2) | instskip(SKIP_1) | instid1(VALU_DEP_2)
	v_cndmask_b32_e32 v24, v24, v4, vcc_lo
	v_cmp_eq_u32_e32 vcc_lo, 3, v0
	v_cndmask_b32_e32 v24, v24, v5, vcc_lo
	v_cmp_eq_u32_e32 vcc_lo, 4, v0
	s_delay_alu instid0(VALU_DEP_2) | instskip(SKIP_1) | instid1(VALU_DEP_2)
	v_cndmask_b32_e32 v24, v24, v6, vcc_lo
	v_cmp_eq_u32_e32 vcc_lo, 5, v0
	;; [unrolled: 5-line block ×10, first 2 shown]
	v_cndmask_b32_e32 v24, v24, v23, vcc_lo
	s_wait_dscnt 0x0
	s_delay_alu instid0(VALU_DEP_1)
	v_mul_f32_e32 v26, v24, v25
	s_cbranch_execz .LBB21_458
	s_branch .LBB21_459
.LBB21_457:
                                        ; implicit-def: $vgpr26
.LBB21_458:
	ds_load_b32 v26, v113
.LBB21_459:
	s_mov_b32 s1, exec_lo
	v_cmpx_ne_u32_e32 13, v0
	s_cbranch_execz .LBB21_463
; %bb.460:
	v_mov_b64_e32 v[24:25], v[0:1]
	v_lshl_add_u32 v27, v0, 2, 0x64
	s_mov_b32 s2, 0
.LBB21_461:                             ; =>This Inner Loop Header: Depth=1
	s_delay_alu instid0(VALU_DEP_2)
	v_add_nc_u64_e32 v[24:25], 1, v[24:25]
	ds_load_b32 v29, v27
	v_add_nc_u32_e32 v27, 4, v27
	v_cmp_eq_u32_e32 vcc_lo, 1, v24
	v_cndmask_b32_e32 v28, v2, v3, vcc_lo
	v_cmp_eq_u32_e32 vcc_lo, 2, v24
	s_delay_alu instid0(VALU_DEP_2) | instskip(SKIP_1) | instid1(VALU_DEP_2)
	v_cndmask_b32_e32 v28, v28, v4, vcc_lo
	v_cmp_eq_u32_e32 vcc_lo, 3, v24
	v_cndmask_b32_e32 v28, v28, v5, vcc_lo
	v_cmp_eq_u32_e32 vcc_lo, 4, v24
	s_delay_alu instid0(VALU_DEP_2) | instskip(SKIP_1) | instid1(VALU_DEP_2)
	v_cndmask_b32_e32 v28, v28, v6, vcc_lo
	;; [unrolled: 5-line block ×10, first 2 shown]
	v_cmp_eq_u32_e32 vcc_lo, 21, v24
	v_cndmask_b32_e32 v28, v28, v23, vcc_lo
	v_cmp_lt_u32_e32 vcc_lo, 12, v24
	s_wait_dscnt 0x0
	s_delay_alu instid0(VALU_DEP_2) | instskip(SKIP_1) | instid1(SALU_CYCLE_1)
	v_fmac_f32_e32 v26, v28, v29
	s_or_b32 s2, vcc_lo, s2
	s_and_not1_b32 exec_lo, exec_lo, s2
	s_cbranch_execnz .LBB21_461
; %bb.462:
	s_or_b32 exec_lo, exec_lo, s2
.LBB21_463:
	s_delay_alu instid0(SALU_CYCLE_1)
	s_or_b32 exec_lo, exec_lo, s1
	v_mov_b32_e32 v16, 0
	ds_load_b32 v16, v16 offset:56
	s_wait_dscnt 0x0
	v_mul_f32_e32 v16, v26, v16
.LBB21_464:
	s_or_b32 exec_lo, exec_lo, s0
	s_delay_alu instid0(SALU_CYCLE_1)
	s_mov_b32 s0, exec_lo
	ds_store_b32 v113, v17
	s_wait_dscnt 0x0
	s_barrier_signal -1
	s_barrier_wait -1
	v_cmpx_gt_u32_e32 15, v0
	s_cbranch_execz .LBB21_474
; %bb.465:
	v_cmp_ne_u32_e32 vcc_lo, 1, v34
	s_cbranch_vccnz .LBB21_467
; %bb.466:
	v_cmp_eq_u32_e32 vcc_lo, 1, v0
	ds_load_b32 v25, v113
	v_cndmask_b32_e32 v24, v2, v3, vcc_lo
	v_cmp_eq_u32_e32 vcc_lo, 2, v0
	s_delay_alu instid0(VALU_DEP_2) | instskip(SKIP_1) | instid1(VALU_DEP_2)
	v_cndmask_b32_e32 v24, v24, v4, vcc_lo
	v_cmp_eq_u32_e32 vcc_lo, 3, v0
	v_cndmask_b32_e32 v24, v24, v5, vcc_lo
	v_cmp_eq_u32_e32 vcc_lo, 4, v0
	s_delay_alu instid0(VALU_DEP_2) | instskip(SKIP_1) | instid1(VALU_DEP_2)
	v_cndmask_b32_e32 v24, v24, v6, vcc_lo
	v_cmp_eq_u32_e32 vcc_lo, 5, v0
	v_cndmask_b32_e32 v24, v24, v7, vcc_lo
	v_cmp_eq_u32_e32 vcc_lo, 6, v0
	s_delay_alu instid0(VALU_DEP_2) | instskip(SKIP_1) | instid1(VALU_DEP_2)
	v_cndmask_b32_e32 v24, v24, v8, vcc_lo
	v_cmp_eq_u32_e32 vcc_lo, 7, v0
	v_cndmask_b32_e32 v24, v24, v9, vcc_lo
	v_cmp_eq_u32_e32 vcc_lo, 8, v0
	s_delay_alu instid0(VALU_DEP_2) | instskip(SKIP_1) | instid1(VALU_DEP_2)
	v_cndmask_b32_e32 v24, v24, v10, vcc_lo
	v_cmp_eq_u32_e32 vcc_lo, 9, v0
	v_cndmask_b32_e32 v24, v24, v11, vcc_lo
	v_cmp_eq_u32_e32 vcc_lo, 10, v0
	s_delay_alu instid0(VALU_DEP_2) | instskip(SKIP_1) | instid1(VALU_DEP_2)
	v_cndmask_b32_e32 v24, v24, v12, vcc_lo
	v_cmp_eq_u32_e32 vcc_lo, 11, v0
	v_cndmask_b32_e32 v24, v24, v13, vcc_lo
	v_cmp_eq_u32_e32 vcc_lo, 12, v0
	s_delay_alu instid0(VALU_DEP_2) | instskip(SKIP_1) | instid1(VALU_DEP_2)
	v_cndmask_b32_e32 v24, v24, v14, vcc_lo
	v_cmp_eq_u32_e32 vcc_lo, 13, v0
	v_cndmask_b32_e32 v24, v24, v15, vcc_lo
	v_cmp_eq_u32_e32 vcc_lo, 14, v0
	s_delay_alu instid0(VALU_DEP_2) | instskip(SKIP_1) | instid1(VALU_DEP_2)
	v_cndmask_b32_e32 v24, v24, v16, vcc_lo
	v_cmp_eq_u32_e32 vcc_lo, 15, v0
	v_cndmask_b32_e32 v24, v24, v17, vcc_lo
	v_cmp_eq_u32_e32 vcc_lo, 16, v0
	s_delay_alu instid0(VALU_DEP_2) | instskip(SKIP_1) | instid1(VALU_DEP_2)
	v_cndmask_b32_e32 v24, v24, v18, vcc_lo
	v_cmp_eq_u32_e32 vcc_lo, 17, v0
	v_cndmask_b32_e32 v24, v24, v19, vcc_lo
	v_cmp_eq_u32_e32 vcc_lo, 18, v0
	s_delay_alu instid0(VALU_DEP_2) | instskip(SKIP_1) | instid1(VALU_DEP_2)
	v_cndmask_b32_e32 v24, v24, v20, vcc_lo
	v_cmp_eq_u32_e32 vcc_lo, 19, v0
	v_cndmask_b32_e32 v24, v24, v21, vcc_lo
	v_cmp_eq_u32_e32 vcc_lo, 20, v0
	s_delay_alu instid0(VALU_DEP_2) | instskip(SKIP_1) | instid1(VALU_DEP_2)
	v_cndmask_b32_e32 v24, v24, v22, vcc_lo
	v_cmp_eq_u32_e32 vcc_lo, 21, v0
	v_cndmask_b32_e32 v24, v24, v23, vcc_lo
	s_wait_dscnt 0x0
	s_delay_alu instid0(VALU_DEP_1)
	v_mul_f32_e32 v26, v24, v25
	s_cbranch_execz .LBB21_468
	s_branch .LBB21_469
.LBB21_467:
                                        ; implicit-def: $vgpr26
.LBB21_468:
	ds_load_b32 v26, v113
.LBB21_469:
	s_mov_b32 s1, exec_lo
	v_cmpx_ne_u32_e32 14, v0
	s_cbranch_execz .LBB21_473
; %bb.470:
	v_mov_b64_e32 v[24:25], v[0:1]
	v_lshl_add_u32 v27, v0, 2, 0x64
	s_mov_b32 s2, 0
.LBB21_471:                             ; =>This Inner Loop Header: Depth=1
	s_delay_alu instid0(VALU_DEP_2)
	v_add_nc_u64_e32 v[24:25], 1, v[24:25]
	ds_load_b32 v29, v27
	v_add_nc_u32_e32 v27, 4, v27
	v_cmp_eq_u32_e32 vcc_lo, 1, v24
	v_cndmask_b32_e32 v28, v2, v3, vcc_lo
	v_cmp_eq_u32_e32 vcc_lo, 2, v24
	s_delay_alu instid0(VALU_DEP_2) | instskip(SKIP_1) | instid1(VALU_DEP_2)
	v_cndmask_b32_e32 v28, v28, v4, vcc_lo
	v_cmp_eq_u32_e32 vcc_lo, 3, v24
	v_cndmask_b32_e32 v28, v28, v5, vcc_lo
	v_cmp_eq_u32_e32 vcc_lo, 4, v24
	s_delay_alu instid0(VALU_DEP_2) | instskip(SKIP_1) | instid1(VALU_DEP_2)
	v_cndmask_b32_e32 v28, v28, v6, vcc_lo
	;; [unrolled: 5-line block ×10, first 2 shown]
	v_cmp_eq_u32_e32 vcc_lo, 21, v24
	v_cndmask_b32_e32 v28, v28, v23, vcc_lo
	v_cmp_lt_u32_e32 vcc_lo, 13, v24
	s_wait_dscnt 0x0
	s_delay_alu instid0(VALU_DEP_2) | instskip(SKIP_1) | instid1(SALU_CYCLE_1)
	v_fmac_f32_e32 v26, v28, v29
	s_or_b32 s2, vcc_lo, s2
	s_and_not1_b32 exec_lo, exec_lo, s2
	s_cbranch_execnz .LBB21_471
; %bb.472:
	s_or_b32 exec_lo, exec_lo, s2
.LBB21_473:
	s_delay_alu instid0(SALU_CYCLE_1)
	s_or_b32 exec_lo, exec_lo, s1
	v_mov_b32_e32 v17, 0
	ds_load_b32 v17, v17 offset:60
	s_wait_dscnt 0x0
	v_mul_f32_e32 v17, v26, v17
.LBB21_474:
	s_or_b32 exec_lo, exec_lo, s0
	s_delay_alu instid0(SALU_CYCLE_1)
	s_mov_b32 s0, exec_lo
	ds_store_b32 v113, v18
	s_wait_dscnt 0x0
	s_barrier_signal -1
	s_barrier_wait -1
	v_cmpx_gt_u32_e32 16, v0
	s_cbranch_execz .LBB21_484
; %bb.475:
	v_cmp_ne_u32_e32 vcc_lo, 1, v34
	s_cbranch_vccnz .LBB21_477
; %bb.476:
	v_cmp_eq_u32_e32 vcc_lo, 1, v0
	ds_load_b32 v25, v113
	v_cndmask_b32_e32 v24, v2, v3, vcc_lo
	v_cmp_eq_u32_e32 vcc_lo, 2, v0
	s_delay_alu instid0(VALU_DEP_2) | instskip(SKIP_1) | instid1(VALU_DEP_2)
	v_cndmask_b32_e32 v24, v24, v4, vcc_lo
	v_cmp_eq_u32_e32 vcc_lo, 3, v0
	v_cndmask_b32_e32 v24, v24, v5, vcc_lo
	v_cmp_eq_u32_e32 vcc_lo, 4, v0
	s_delay_alu instid0(VALU_DEP_2) | instskip(SKIP_1) | instid1(VALU_DEP_2)
	v_cndmask_b32_e32 v24, v24, v6, vcc_lo
	v_cmp_eq_u32_e32 vcc_lo, 5, v0
	;; [unrolled: 5-line block ×10, first 2 shown]
	v_cndmask_b32_e32 v24, v24, v23, vcc_lo
	s_wait_dscnt 0x0
	s_delay_alu instid0(VALU_DEP_1)
	v_mul_f32_e32 v26, v24, v25
	s_cbranch_execz .LBB21_478
	s_branch .LBB21_479
.LBB21_477:
                                        ; implicit-def: $vgpr26
.LBB21_478:
	ds_load_b32 v26, v113
.LBB21_479:
	s_mov_b32 s1, exec_lo
	v_cmpx_ne_u32_e32 15, v0
	s_cbranch_execz .LBB21_483
; %bb.480:
	v_mov_b64_e32 v[24:25], v[0:1]
	v_lshl_add_u32 v27, v0, 2, 0x64
	s_mov_b32 s2, 0
.LBB21_481:                             ; =>This Inner Loop Header: Depth=1
	s_delay_alu instid0(VALU_DEP_2)
	v_add_nc_u64_e32 v[24:25], 1, v[24:25]
	ds_load_b32 v29, v27
	v_add_nc_u32_e32 v27, 4, v27
	v_cmp_eq_u32_e32 vcc_lo, 1, v24
	v_cndmask_b32_e32 v28, v2, v3, vcc_lo
	v_cmp_eq_u32_e32 vcc_lo, 2, v24
	s_delay_alu instid0(VALU_DEP_2) | instskip(SKIP_1) | instid1(VALU_DEP_2)
	v_cndmask_b32_e32 v28, v28, v4, vcc_lo
	v_cmp_eq_u32_e32 vcc_lo, 3, v24
	v_cndmask_b32_e32 v28, v28, v5, vcc_lo
	v_cmp_eq_u32_e32 vcc_lo, 4, v24
	s_delay_alu instid0(VALU_DEP_2) | instskip(SKIP_1) | instid1(VALU_DEP_2)
	v_cndmask_b32_e32 v28, v28, v6, vcc_lo
	;; [unrolled: 5-line block ×10, first 2 shown]
	v_cmp_eq_u32_e32 vcc_lo, 21, v24
	v_cndmask_b32_e32 v28, v28, v23, vcc_lo
	v_cmp_lt_u32_e32 vcc_lo, 14, v24
	s_wait_dscnt 0x0
	s_delay_alu instid0(VALU_DEP_2) | instskip(SKIP_1) | instid1(SALU_CYCLE_1)
	v_fmac_f32_e32 v26, v28, v29
	s_or_b32 s2, vcc_lo, s2
	s_and_not1_b32 exec_lo, exec_lo, s2
	s_cbranch_execnz .LBB21_481
; %bb.482:
	s_or_b32 exec_lo, exec_lo, s2
.LBB21_483:
	s_delay_alu instid0(SALU_CYCLE_1)
	s_or_b32 exec_lo, exec_lo, s1
	v_mov_b32_e32 v18, 0
	ds_load_b32 v18, v18 offset:64
	s_wait_dscnt 0x0
	v_mul_f32_e32 v18, v26, v18
.LBB21_484:
	s_or_b32 exec_lo, exec_lo, s0
	s_delay_alu instid0(SALU_CYCLE_1)
	s_mov_b32 s0, exec_lo
	ds_store_b32 v113, v19
	s_wait_dscnt 0x0
	s_barrier_signal -1
	s_barrier_wait -1
	v_cmpx_gt_u32_e32 17, v0
	s_cbranch_execz .LBB21_494
; %bb.485:
	v_cmp_ne_u32_e32 vcc_lo, 1, v34
	s_cbranch_vccnz .LBB21_487
; %bb.486:
	v_cmp_eq_u32_e32 vcc_lo, 1, v0
	ds_load_b32 v25, v113
	v_cndmask_b32_e32 v24, v2, v3, vcc_lo
	v_cmp_eq_u32_e32 vcc_lo, 2, v0
	s_delay_alu instid0(VALU_DEP_2) | instskip(SKIP_1) | instid1(VALU_DEP_2)
	v_cndmask_b32_e32 v24, v24, v4, vcc_lo
	v_cmp_eq_u32_e32 vcc_lo, 3, v0
	v_cndmask_b32_e32 v24, v24, v5, vcc_lo
	v_cmp_eq_u32_e32 vcc_lo, 4, v0
	s_delay_alu instid0(VALU_DEP_2) | instskip(SKIP_1) | instid1(VALU_DEP_2)
	v_cndmask_b32_e32 v24, v24, v6, vcc_lo
	v_cmp_eq_u32_e32 vcc_lo, 5, v0
	;; [unrolled: 5-line block ×10, first 2 shown]
	v_cndmask_b32_e32 v24, v24, v23, vcc_lo
	s_wait_dscnt 0x0
	s_delay_alu instid0(VALU_DEP_1)
	v_mul_f32_e32 v26, v24, v25
	s_cbranch_execz .LBB21_488
	s_branch .LBB21_489
.LBB21_487:
                                        ; implicit-def: $vgpr26
.LBB21_488:
	ds_load_b32 v26, v113
.LBB21_489:
	s_mov_b32 s1, exec_lo
	v_cmpx_ne_u32_e32 16, v0
	s_cbranch_execz .LBB21_493
; %bb.490:
	v_mov_b64_e32 v[24:25], v[0:1]
	v_lshl_add_u32 v27, v0, 2, 0x64
	s_mov_b32 s2, 0
.LBB21_491:                             ; =>This Inner Loop Header: Depth=1
	s_delay_alu instid0(VALU_DEP_2)
	v_add_nc_u64_e32 v[24:25], 1, v[24:25]
	ds_load_b32 v29, v27
	v_add_nc_u32_e32 v27, 4, v27
	v_cmp_eq_u32_e32 vcc_lo, 1, v24
	v_cndmask_b32_e32 v28, v2, v3, vcc_lo
	v_cmp_eq_u32_e32 vcc_lo, 2, v24
	s_delay_alu instid0(VALU_DEP_2) | instskip(SKIP_1) | instid1(VALU_DEP_2)
	v_cndmask_b32_e32 v28, v28, v4, vcc_lo
	v_cmp_eq_u32_e32 vcc_lo, 3, v24
	v_cndmask_b32_e32 v28, v28, v5, vcc_lo
	v_cmp_eq_u32_e32 vcc_lo, 4, v24
	s_delay_alu instid0(VALU_DEP_2) | instskip(SKIP_1) | instid1(VALU_DEP_2)
	v_cndmask_b32_e32 v28, v28, v6, vcc_lo
	;; [unrolled: 5-line block ×10, first 2 shown]
	v_cmp_eq_u32_e32 vcc_lo, 21, v24
	v_cndmask_b32_e32 v28, v28, v23, vcc_lo
	v_cmp_lt_u32_e32 vcc_lo, 15, v24
	s_wait_dscnt 0x0
	s_delay_alu instid0(VALU_DEP_2) | instskip(SKIP_1) | instid1(SALU_CYCLE_1)
	v_fmac_f32_e32 v26, v28, v29
	s_or_b32 s2, vcc_lo, s2
	s_and_not1_b32 exec_lo, exec_lo, s2
	s_cbranch_execnz .LBB21_491
; %bb.492:
	s_or_b32 exec_lo, exec_lo, s2
.LBB21_493:
	s_delay_alu instid0(SALU_CYCLE_1)
	s_or_b32 exec_lo, exec_lo, s1
	v_mov_b32_e32 v19, 0
	ds_load_b32 v19, v19 offset:68
	s_wait_dscnt 0x0
	v_mul_f32_e32 v19, v26, v19
.LBB21_494:
	s_or_b32 exec_lo, exec_lo, s0
	s_delay_alu instid0(SALU_CYCLE_1)
	s_mov_b32 s0, exec_lo
	ds_store_b32 v113, v20
	s_wait_dscnt 0x0
	s_barrier_signal -1
	s_barrier_wait -1
	v_cmpx_gt_u32_e32 18, v0
	s_cbranch_execz .LBB21_504
; %bb.495:
	v_cmp_ne_u32_e32 vcc_lo, 1, v34
	s_cbranch_vccnz .LBB21_497
; %bb.496:
	v_cmp_eq_u32_e32 vcc_lo, 1, v0
	ds_load_b32 v25, v113
	v_cndmask_b32_e32 v24, v2, v3, vcc_lo
	v_cmp_eq_u32_e32 vcc_lo, 2, v0
	s_delay_alu instid0(VALU_DEP_2) | instskip(SKIP_1) | instid1(VALU_DEP_2)
	v_cndmask_b32_e32 v24, v24, v4, vcc_lo
	v_cmp_eq_u32_e32 vcc_lo, 3, v0
	v_cndmask_b32_e32 v24, v24, v5, vcc_lo
	v_cmp_eq_u32_e32 vcc_lo, 4, v0
	s_delay_alu instid0(VALU_DEP_2) | instskip(SKIP_1) | instid1(VALU_DEP_2)
	v_cndmask_b32_e32 v24, v24, v6, vcc_lo
	v_cmp_eq_u32_e32 vcc_lo, 5, v0
	;; [unrolled: 5-line block ×10, first 2 shown]
	v_cndmask_b32_e32 v24, v24, v23, vcc_lo
	s_wait_dscnt 0x0
	s_delay_alu instid0(VALU_DEP_1)
	v_mul_f32_e32 v26, v24, v25
	s_cbranch_execz .LBB21_498
	s_branch .LBB21_499
.LBB21_497:
                                        ; implicit-def: $vgpr26
.LBB21_498:
	ds_load_b32 v26, v113
.LBB21_499:
	s_mov_b32 s1, exec_lo
	v_cmpx_ne_u32_e32 17, v0
	s_cbranch_execz .LBB21_503
; %bb.500:
	v_mov_b64_e32 v[24:25], v[0:1]
	v_lshl_add_u32 v27, v0, 2, 0x64
	s_mov_b32 s2, 0
.LBB21_501:                             ; =>This Inner Loop Header: Depth=1
	s_delay_alu instid0(VALU_DEP_2)
	v_add_nc_u64_e32 v[24:25], 1, v[24:25]
	ds_load_b32 v29, v27
	v_add_nc_u32_e32 v27, 4, v27
	v_cmp_eq_u32_e32 vcc_lo, 1, v24
	v_cndmask_b32_e32 v28, v2, v3, vcc_lo
	v_cmp_eq_u32_e32 vcc_lo, 2, v24
	s_delay_alu instid0(VALU_DEP_2) | instskip(SKIP_1) | instid1(VALU_DEP_2)
	v_cndmask_b32_e32 v28, v28, v4, vcc_lo
	v_cmp_eq_u32_e32 vcc_lo, 3, v24
	v_cndmask_b32_e32 v28, v28, v5, vcc_lo
	v_cmp_eq_u32_e32 vcc_lo, 4, v24
	s_delay_alu instid0(VALU_DEP_2) | instskip(SKIP_1) | instid1(VALU_DEP_2)
	v_cndmask_b32_e32 v28, v28, v6, vcc_lo
	;; [unrolled: 5-line block ×10, first 2 shown]
	v_cmp_eq_u32_e32 vcc_lo, 21, v24
	v_cndmask_b32_e32 v28, v28, v23, vcc_lo
	v_cmp_lt_u32_e32 vcc_lo, 16, v24
	s_wait_dscnt 0x0
	s_delay_alu instid0(VALU_DEP_2) | instskip(SKIP_1) | instid1(SALU_CYCLE_1)
	v_fmac_f32_e32 v26, v28, v29
	s_or_b32 s2, vcc_lo, s2
	s_and_not1_b32 exec_lo, exec_lo, s2
	s_cbranch_execnz .LBB21_501
; %bb.502:
	s_or_b32 exec_lo, exec_lo, s2
.LBB21_503:
	s_delay_alu instid0(SALU_CYCLE_1)
	s_or_b32 exec_lo, exec_lo, s1
	v_mov_b32_e32 v20, 0
	ds_load_b32 v20, v20 offset:72
	s_wait_dscnt 0x0
	v_mul_f32_e32 v20, v26, v20
.LBB21_504:
	s_or_b32 exec_lo, exec_lo, s0
	s_delay_alu instid0(SALU_CYCLE_1)
	s_mov_b32 s0, exec_lo
	ds_store_b32 v113, v21
	s_wait_dscnt 0x0
	s_barrier_signal -1
	s_barrier_wait -1
	v_cmpx_gt_u32_e32 19, v0
	s_cbranch_execz .LBB21_514
; %bb.505:
	v_cmp_ne_u32_e32 vcc_lo, 1, v34
	s_cbranch_vccnz .LBB21_507
; %bb.506:
	v_cmp_eq_u32_e32 vcc_lo, 1, v0
	ds_load_b32 v25, v113
	v_cndmask_b32_e32 v24, v2, v3, vcc_lo
	v_cmp_eq_u32_e32 vcc_lo, 2, v0
	s_delay_alu instid0(VALU_DEP_2) | instskip(SKIP_1) | instid1(VALU_DEP_2)
	v_cndmask_b32_e32 v24, v24, v4, vcc_lo
	v_cmp_eq_u32_e32 vcc_lo, 3, v0
	v_cndmask_b32_e32 v24, v24, v5, vcc_lo
	v_cmp_eq_u32_e32 vcc_lo, 4, v0
	s_delay_alu instid0(VALU_DEP_2) | instskip(SKIP_1) | instid1(VALU_DEP_2)
	v_cndmask_b32_e32 v24, v24, v6, vcc_lo
	v_cmp_eq_u32_e32 vcc_lo, 5, v0
	v_cndmask_b32_e32 v24, v24, v7, vcc_lo
	v_cmp_eq_u32_e32 vcc_lo, 6, v0
	s_delay_alu instid0(VALU_DEP_2) | instskip(SKIP_1) | instid1(VALU_DEP_2)
	v_cndmask_b32_e32 v24, v24, v8, vcc_lo
	v_cmp_eq_u32_e32 vcc_lo, 7, v0
	v_cndmask_b32_e32 v24, v24, v9, vcc_lo
	v_cmp_eq_u32_e32 vcc_lo, 8, v0
	s_delay_alu instid0(VALU_DEP_2) | instskip(SKIP_1) | instid1(VALU_DEP_2)
	v_cndmask_b32_e32 v24, v24, v10, vcc_lo
	v_cmp_eq_u32_e32 vcc_lo, 9, v0
	v_cndmask_b32_e32 v24, v24, v11, vcc_lo
	v_cmp_eq_u32_e32 vcc_lo, 10, v0
	s_delay_alu instid0(VALU_DEP_2) | instskip(SKIP_1) | instid1(VALU_DEP_2)
	v_cndmask_b32_e32 v24, v24, v12, vcc_lo
	v_cmp_eq_u32_e32 vcc_lo, 11, v0
	v_cndmask_b32_e32 v24, v24, v13, vcc_lo
	v_cmp_eq_u32_e32 vcc_lo, 12, v0
	s_delay_alu instid0(VALU_DEP_2) | instskip(SKIP_1) | instid1(VALU_DEP_2)
	v_cndmask_b32_e32 v24, v24, v14, vcc_lo
	v_cmp_eq_u32_e32 vcc_lo, 13, v0
	v_cndmask_b32_e32 v24, v24, v15, vcc_lo
	v_cmp_eq_u32_e32 vcc_lo, 14, v0
	s_delay_alu instid0(VALU_DEP_2) | instskip(SKIP_1) | instid1(VALU_DEP_2)
	v_cndmask_b32_e32 v24, v24, v16, vcc_lo
	v_cmp_eq_u32_e32 vcc_lo, 15, v0
	v_cndmask_b32_e32 v24, v24, v17, vcc_lo
	v_cmp_eq_u32_e32 vcc_lo, 16, v0
	s_delay_alu instid0(VALU_DEP_2) | instskip(SKIP_1) | instid1(VALU_DEP_2)
	v_cndmask_b32_e32 v24, v24, v18, vcc_lo
	v_cmp_eq_u32_e32 vcc_lo, 17, v0
	v_cndmask_b32_e32 v24, v24, v19, vcc_lo
	v_cmp_eq_u32_e32 vcc_lo, 18, v0
	s_delay_alu instid0(VALU_DEP_2) | instskip(SKIP_1) | instid1(VALU_DEP_2)
	v_cndmask_b32_e32 v24, v24, v20, vcc_lo
	v_cmp_eq_u32_e32 vcc_lo, 19, v0
	v_cndmask_b32_e32 v24, v24, v21, vcc_lo
	v_cmp_eq_u32_e32 vcc_lo, 20, v0
	s_delay_alu instid0(VALU_DEP_2) | instskip(SKIP_1) | instid1(VALU_DEP_2)
	v_cndmask_b32_e32 v24, v24, v22, vcc_lo
	v_cmp_eq_u32_e32 vcc_lo, 21, v0
	v_cndmask_b32_e32 v24, v24, v23, vcc_lo
	s_wait_dscnt 0x0
	s_delay_alu instid0(VALU_DEP_1)
	v_mul_f32_e32 v26, v24, v25
	s_cbranch_execz .LBB21_508
	s_branch .LBB21_509
.LBB21_507:
                                        ; implicit-def: $vgpr26
.LBB21_508:
	ds_load_b32 v26, v113
.LBB21_509:
	s_mov_b32 s1, exec_lo
	v_cmpx_ne_u32_e32 18, v0
	s_cbranch_execz .LBB21_513
; %bb.510:
	v_mov_b64_e32 v[24:25], v[0:1]
	v_lshl_add_u32 v27, v0, 2, 0x64
	s_mov_b32 s2, 0
.LBB21_511:                             ; =>This Inner Loop Header: Depth=1
	s_delay_alu instid0(VALU_DEP_2)
	v_add_nc_u64_e32 v[24:25], 1, v[24:25]
	ds_load_b32 v29, v27
	v_add_nc_u32_e32 v27, 4, v27
	v_cmp_eq_u32_e32 vcc_lo, 1, v24
	v_cndmask_b32_e32 v28, v2, v3, vcc_lo
	v_cmp_eq_u32_e32 vcc_lo, 2, v24
	s_delay_alu instid0(VALU_DEP_2) | instskip(SKIP_1) | instid1(VALU_DEP_2)
	v_cndmask_b32_e32 v28, v28, v4, vcc_lo
	v_cmp_eq_u32_e32 vcc_lo, 3, v24
	v_cndmask_b32_e32 v28, v28, v5, vcc_lo
	v_cmp_eq_u32_e32 vcc_lo, 4, v24
	s_delay_alu instid0(VALU_DEP_2) | instskip(SKIP_1) | instid1(VALU_DEP_2)
	v_cndmask_b32_e32 v28, v28, v6, vcc_lo
	;; [unrolled: 5-line block ×10, first 2 shown]
	v_cmp_eq_u32_e32 vcc_lo, 21, v24
	v_cndmask_b32_e32 v28, v28, v23, vcc_lo
	v_cmp_lt_u32_e32 vcc_lo, 17, v24
	s_wait_dscnt 0x0
	s_delay_alu instid0(VALU_DEP_2) | instskip(SKIP_1) | instid1(SALU_CYCLE_1)
	v_fmac_f32_e32 v26, v28, v29
	s_or_b32 s2, vcc_lo, s2
	s_and_not1_b32 exec_lo, exec_lo, s2
	s_cbranch_execnz .LBB21_511
; %bb.512:
	s_or_b32 exec_lo, exec_lo, s2
.LBB21_513:
	s_delay_alu instid0(SALU_CYCLE_1)
	s_or_b32 exec_lo, exec_lo, s1
	v_mov_b32_e32 v21, 0
	ds_load_b32 v21, v21 offset:76
	s_wait_dscnt 0x0
	v_mul_f32_e32 v21, v26, v21
.LBB21_514:
	s_or_b32 exec_lo, exec_lo, s0
	v_cmp_gt_u32_e64 s0, 20, v0
	ds_store_b32 v113, v22
	s_wait_dscnt 0x0
	s_barrier_signal -1
	s_barrier_wait -1
	s_and_saveexec_b32 s1, s0
	s_cbranch_execz .LBB21_524
; %bb.515:
	v_cmp_ne_u32_e32 vcc_lo, 1, v34
	s_cbranch_vccnz .LBB21_517
; %bb.516:
	v_cmp_eq_u32_e32 vcc_lo, 1, v0
	ds_load_b32 v25, v113
	v_cndmask_b32_e32 v24, v2, v3, vcc_lo
	v_cmp_eq_u32_e32 vcc_lo, 2, v0
	s_delay_alu instid0(VALU_DEP_2) | instskip(SKIP_1) | instid1(VALU_DEP_2)
	v_cndmask_b32_e32 v24, v24, v4, vcc_lo
	v_cmp_eq_u32_e32 vcc_lo, 3, v0
	v_cndmask_b32_e32 v24, v24, v5, vcc_lo
	v_cmp_eq_u32_e32 vcc_lo, 4, v0
	s_delay_alu instid0(VALU_DEP_2) | instskip(SKIP_1) | instid1(VALU_DEP_2)
	v_cndmask_b32_e32 v24, v24, v6, vcc_lo
	v_cmp_eq_u32_e32 vcc_lo, 5, v0
	v_cndmask_b32_e32 v24, v24, v7, vcc_lo
	v_cmp_eq_u32_e32 vcc_lo, 6, v0
	s_delay_alu instid0(VALU_DEP_2) | instskip(SKIP_1) | instid1(VALU_DEP_2)
	v_cndmask_b32_e32 v24, v24, v8, vcc_lo
	v_cmp_eq_u32_e32 vcc_lo, 7, v0
	v_cndmask_b32_e32 v24, v24, v9, vcc_lo
	v_cmp_eq_u32_e32 vcc_lo, 8, v0
	s_delay_alu instid0(VALU_DEP_2) | instskip(SKIP_1) | instid1(VALU_DEP_2)
	v_cndmask_b32_e32 v24, v24, v10, vcc_lo
	v_cmp_eq_u32_e32 vcc_lo, 9, v0
	v_cndmask_b32_e32 v24, v24, v11, vcc_lo
	v_cmp_eq_u32_e32 vcc_lo, 10, v0
	s_delay_alu instid0(VALU_DEP_2) | instskip(SKIP_1) | instid1(VALU_DEP_2)
	v_cndmask_b32_e32 v24, v24, v12, vcc_lo
	v_cmp_eq_u32_e32 vcc_lo, 11, v0
	v_cndmask_b32_e32 v24, v24, v13, vcc_lo
	v_cmp_eq_u32_e32 vcc_lo, 12, v0
	s_delay_alu instid0(VALU_DEP_2) | instskip(SKIP_1) | instid1(VALU_DEP_2)
	v_cndmask_b32_e32 v24, v24, v14, vcc_lo
	v_cmp_eq_u32_e32 vcc_lo, 13, v0
	v_cndmask_b32_e32 v24, v24, v15, vcc_lo
	v_cmp_eq_u32_e32 vcc_lo, 14, v0
	s_delay_alu instid0(VALU_DEP_2) | instskip(SKIP_1) | instid1(VALU_DEP_2)
	v_cndmask_b32_e32 v24, v24, v16, vcc_lo
	v_cmp_eq_u32_e32 vcc_lo, 15, v0
	v_cndmask_b32_e32 v24, v24, v17, vcc_lo
	v_cmp_eq_u32_e32 vcc_lo, 16, v0
	s_delay_alu instid0(VALU_DEP_2) | instskip(SKIP_1) | instid1(VALU_DEP_2)
	v_cndmask_b32_e32 v24, v24, v18, vcc_lo
	v_cmp_eq_u32_e32 vcc_lo, 17, v0
	v_cndmask_b32_e32 v24, v24, v19, vcc_lo
	v_cmp_eq_u32_e32 vcc_lo, 18, v0
	s_delay_alu instid0(VALU_DEP_2) | instskip(SKIP_1) | instid1(VALU_DEP_2)
	v_cndmask_b32_e32 v24, v24, v20, vcc_lo
	v_cmp_eq_u32_e32 vcc_lo, 19, v0
	v_cndmask_b32_e32 v24, v24, v21, vcc_lo
	v_cmp_eq_u32_e32 vcc_lo, 20, v0
	s_delay_alu instid0(VALU_DEP_2) | instskip(SKIP_1) | instid1(VALU_DEP_2)
	v_cndmask_b32_e32 v24, v24, v22, vcc_lo
	v_cmp_eq_u32_e32 vcc_lo, 21, v0
	v_cndmask_b32_e32 v24, v24, v23, vcc_lo
	s_wait_dscnt 0x0
	s_delay_alu instid0(VALU_DEP_1)
	v_mul_f32_e32 v26, v24, v25
	s_cbranch_execz .LBB21_518
	s_branch .LBB21_519
.LBB21_517:
                                        ; implicit-def: $vgpr26
.LBB21_518:
	ds_load_b32 v26, v113
.LBB21_519:
	s_mov_b32 s2, exec_lo
	v_cmpx_ne_u32_e32 19, v0
	s_cbranch_execz .LBB21_523
; %bb.520:
	v_mov_b64_e32 v[24:25], v[0:1]
	v_lshl_add_u32 v27, v0, 2, 0x64
	s_mov_b32 s3, 0
.LBB21_521:                             ; =>This Inner Loop Header: Depth=1
	s_delay_alu instid0(VALU_DEP_2)
	v_add_nc_u64_e32 v[24:25], 1, v[24:25]
	ds_load_b32 v29, v27
	v_add_nc_u32_e32 v27, 4, v27
	v_cmp_eq_u32_e32 vcc_lo, 1, v24
	v_cndmask_b32_e32 v28, v2, v3, vcc_lo
	v_cmp_eq_u32_e32 vcc_lo, 2, v24
	s_delay_alu instid0(VALU_DEP_2) | instskip(SKIP_1) | instid1(VALU_DEP_2)
	v_cndmask_b32_e32 v28, v28, v4, vcc_lo
	v_cmp_eq_u32_e32 vcc_lo, 3, v24
	v_cndmask_b32_e32 v28, v28, v5, vcc_lo
	v_cmp_eq_u32_e32 vcc_lo, 4, v24
	s_delay_alu instid0(VALU_DEP_2) | instskip(SKIP_1) | instid1(VALU_DEP_2)
	v_cndmask_b32_e32 v28, v28, v6, vcc_lo
	;; [unrolled: 5-line block ×10, first 2 shown]
	v_cmp_eq_u32_e32 vcc_lo, 21, v24
	v_cndmask_b32_e32 v28, v28, v23, vcc_lo
	v_cmp_lt_u32_e32 vcc_lo, 18, v24
	s_wait_dscnt 0x0
	s_delay_alu instid0(VALU_DEP_2) | instskip(SKIP_1) | instid1(SALU_CYCLE_1)
	v_fmac_f32_e32 v26, v28, v29
	s_or_b32 s3, vcc_lo, s3
	s_and_not1_b32 exec_lo, exec_lo, s3
	s_cbranch_execnz .LBB21_521
; %bb.522:
	s_or_b32 exec_lo, exec_lo, s3
.LBB21_523:
	s_delay_alu instid0(SALU_CYCLE_1)
	s_or_b32 exec_lo, exec_lo, s2
	v_mov_b32_e32 v22, 0
	ds_load_b32 v22, v22 offset:80
	s_wait_dscnt 0x0
	v_mul_f32_e32 v22, v26, v22
.LBB21_524:
	s_or_b32 exec_lo, exec_lo, s1
	s_delay_alu instid0(SALU_CYCLE_1)
	s_mov_b32 s1, exec_lo
	ds_store_b32 v113, v23
	s_wait_dscnt 0x0
	s_barrier_signal -1
	s_barrier_wait -1
	v_cmpx_ne_u32_e32 21, v0
	s_cbranch_execz .LBB21_534
; %bb.525:
	v_cmp_ne_u32_e32 vcc_lo, 1, v34
	s_cbranch_vccnz .LBB21_527
; %bb.526:
	v_cmp_eq_u32_e32 vcc_lo, 1, v0
	ds_load_b32 v25, v113
	v_cndmask_b32_e32 v24, v2, v3, vcc_lo
	v_cmp_eq_u32_e32 vcc_lo, 2, v0
	s_delay_alu instid0(VALU_DEP_2) | instskip(SKIP_1) | instid1(VALU_DEP_2)
	v_cndmask_b32_e32 v24, v24, v4, vcc_lo
	v_cmp_eq_u32_e32 vcc_lo, 3, v0
	v_cndmask_b32_e32 v24, v24, v5, vcc_lo
	v_cmp_eq_u32_e32 vcc_lo, 4, v0
	s_delay_alu instid0(VALU_DEP_2) | instskip(SKIP_1) | instid1(VALU_DEP_2)
	v_cndmask_b32_e32 v24, v24, v6, vcc_lo
	v_cmp_eq_u32_e32 vcc_lo, 5, v0
	;; [unrolled: 5-line block ×10, first 2 shown]
	v_cndmask_b32_e32 v24, v24, v23, vcc_lo
	s_wait_dscnt 0x0
	s_delay_alu instid0(VALU_DEP_1)
	v_mul_f32_e32 v24, v24, v25
	s_cbranch_execz .LBB21_528
	s_branch .LBB21_529
.LBB21_527:
                                        ; implicit-def: $vgpr24
.LBB21_528:
	ds_load_b32 v24, v113
.LBB21_529:
	s_and_saveexec_b32 s2, s0
	s_cbranch_execz .LBB21_533
; %bb.530:
	v_lshl_add_u32 v25, v0, 2, 0x64
	s_mov_b32 s0, 0
.LBB21_531:                             ; =>This Inner Loop Header: Depth=1
	v_add_nc_u64_e32 v[0:1], 1, v[0:1]
	ds_load_b32 v27, v25
	v_add_nc_u32_e32 v25, 4, v25
	v_cmp_eq_u32_e32 vcc_lo, 1, v0
	v_cndmask_b32_e32 v26, v2, v3, vcc_lo
	v_cmp_eq_u32_e32 vcc_lo, 2, v0
	s_delay_alu instid0(VALU_DEP_2) | instskip(SKIP_1) | instid1(VALU_DEP_2)
	v_cndmask_b32_e32 v26, v26, v4, vcc_lo
	v_cmp_eq_u32_e32 vcc_lo, 3, v0
	v_cndmask_b32_e32 v26, v26, v5, vcc_lo
	v_cmp_eq_u32_e32 vcc_lo, 4, v0
	s_delay_alu instid0(VALU_DEP_2) | instskip(SKIP_1) | instid1(VALU_DEP_2)
	v_cndmask_b32_e32 v26, v26, v6, vcc_lo
	;; [unrolled: 5-line block ×10, first 2 shown]
	v_cmp_eq_u32_e32 vcc_lo, 21, v0
	v_cndmask_b32_e32 v26, v26, v23, vcc_lo
	v_cmp_lt_u32_e32 vcc_lo, 19, v0
	s_wait_dscnt 0x0
	s_delay_alu instid0(VALU_DEP_2) | instskip(SKIP_1) | instid1(SALU_CYCLE_1)
	v_fmac_f32_e32 v24, v26, v27
	s_or_b32 s0, vcc_lo, s0
	s_and_not1_b32 exec_lo, exec_lo, s0
	s_cbranch_execnz .LBB21_531
; %bb.532:
	s_or_b32 exec_lo, exec_lo, s0
.LBB21_533:
	s_delay_alu instid0(SALU_CYCLE_1)
	s_or_b32 exec_lo, exec_lo, s2
	v_mov_b32_e32 v0, 0
	ds_load_b32 v0, v0 offset:84
	s_wait_dscnt 0x0
	v_mul_f32_e32 v23, v24, v0
.LBB21_534:
	s_or_b32 exec_lo, exec_lo, s1
	v_mov_b64_e32 v[64:65], v[32:33]
	s_delay_alu instid0(VALU_DEP_2)
	v_mov_b64_e32 v[54:55], v[22:23]
	v_mov_b64_e32 v[52:53], v[20:21]
	;; [unrolled: 1-line block ×15, first 2 shown]
.LBB21_535:
	s_wait_xcnt 0x5
	v_lshl_add_u64 v[0:1], v[66:67], 2, s[22:23]
	s_wait_loadcnt 0x5
	v_lshl_add_u64 v[2:3], v[68:69], 2, s[22:23]
	v_lshl_add_u64 v[4:5], v[70:71], 2, s[22:23]
	;; [unrolled: 1-line block ×8, first 2 shown]
	s_wait_loadcnt 0x4
	v_lshl_add_u64 v[18:19], v[84:85], 2, s[22:23]
	s_wait_loadcnt 0x2
	v_lshl_add_u64 v[20:21], v[86:87], 2, s[22:23]
	;; [unrolled: 2-line block ×3, first 2 shown]
	v_lshl_add_u64 v[24:25], v[90:91], 2, s[22:23]
	v_lshl_add_u64 v[26:27], v[94:95], 2, s[22:23]
	;; [unrolled: 1-line block ×8, first 2 shown]
	s_clause 0x15
	global_store_b32 v[92:93], v34, off
	global_store_b32 v[96:97], v35, off
	global_store_b32 v[0:1], v36, off
	global_store_b32 v[2:3], v37, off
	global_store_b32 v[4:5], v38, off
	global_store_b32 v[6:7], v39, off
	global_store_b32 v[8:9], v40, off
	global_store_b32 v[10:11], v41, off
	global_store_b32 v[12:13], v42, off
	global_store_b32 v[14:15], v43, off
	global_store_b32 v[16:17], v44, off
	global_store_b32 v[18:19], v45, off
	global_store_b32 v[20:21], v46, off
	global_store_b32 v[22:23], v47, off
	global_store_b32 v[24:25], v48, off
	global_store_b32 v[26:27], v49, off
	global_store_b32 v[28:29], v50, off
	global_store_b32 v[30:31], v51, off
	global_store_b32 v[32:33], v52, off
	global_store_b32 v[56:57], v53, off
	global_store_b32 v[58:59], v54, off
	global_store_b32 v[60:61], v55, off
.LBB21_536:
	s_sendmsg sendmsg(MSG_DEALLOC_VGPRS)
	s_endpgm
	.section	.rodata,"a",@progbits
	.p2align	6, 0x0
	.amdhsa_kernel _ZN9rocsolver6v33100L18trti2_kernel_smallILi22EfPfEEv13rocblas_fill_17rocblas_diagonal_T1_iil
		.amdhsa_group_segment_fixed_size 184
		.amdhsa_private_segment_fixed_size 0
		.amdhsa_kernarg_size 32
		.amdhsa_user_sgpr_count 2
		.amdhsa_user_sgpr_dispatch_ptr 0
		.amdhsa_user_sgpr_queue_ptr 0
		.amdhsa_user_sgpr_kernarg_segment_ptr 1
		.amdhsa_user_sgpr_dispatch_id 0
		.amdhsa_user_sgpr_kernarg_preload_length 0
		.amdhsa_user_sgpr_kernarg_preload_offset 0
		.amdhsa_user_sgpr_private_segment_size 0
		.amdhsa_wavefront_size32 1
		.amdhsa_uses_dynamic_stack 0
		.amdhsa_enable_private_segment 0
		.amdhsa_system_sgpr_workgroup_id_x 1
		.amdhsa_system_sgpr_workgroup_id_y 0
		.amdhsa_system_sgpr_workgroup_id_z 0
		.amdhsa_system_sgpr_workgroup_info 0
		.amdhsa_system_vgpr_workitem_id 0
		.amdhsa_next_free_vgpr 125
		.amdhsa_next_free_sgpr 32
		.amdhsa_named_barrier_count 0
		.amdhsa_reserve_vcc 1
		.amdhsa_float_round_mode_32 0
		.amdhsa_float_round_mode_16_64 0
		.amdhsa_float_denorm_mode_32 3
		.amdhsa_float_denorm_mode_16_64 3
		.amdhsa_fp16_overflow 0
		.amdhsa_memory_ordered 1
		.amdhsa_forward_progress 1
		.amdhsa_inst_pref_size 255
		.amdhsa_round_robin_scheduling 0
		.amdhsa_exception_fp_ieee_invalid_op 0
		.amdhsa_exception_fp_denorm_src 0
		.amdhsa_exception_fp_ieee_div_zero 0
		.amdhsa_exception_fp_ieee_overflow 0
		.amdhsa_exception_fp_ieee_underflow 0
		.amdhsa_exception_fp_ieee_inexact 0
		.amdhsa_exception_int_div_zero 0
	.end_amdhsa_kernel
	.section	.text._ZN9rocsolver6v33100L18trti2_kernel_smallILi22EfPfEEv13rocblas_fill_17rocblas_diagonal_T1_iil,"axG",@progbits,_ZN9rocsolver6v33100L18trti2_kernel_smallILi22EfPfEEv13rocblas_fill_17rocblas_diagonal_T1_iil,comdat
.Lfunc_end21:
	.size	_ZN9rocsolver6v33100L18trti2_kernel_smallILi22EfPfEEv13rocblas_fill_17rocblas_diagonal_T1_iil, .Lfunc_end21-_ZN9rocsolver6v33100L18trti2_kernel_smallILi22EfPfEEv13rocblas_fill_17rocblas_diagonal_T1_iil
                                        ; -- End function
	.set _ZN9rocsolver6v33100L18trti2_kernel_smallILi22EfPfEEv13rocblas_fill_17rocblas_diagonal_T1_iil.num_vgpr, 125
	.set _ZN9rocsolver6v33100L18trti2_kernel_smallILi22EfPfEEv13rocblas_fill_17rocblas_diagonal_T1_iil.num_agpr, 0
	.set _ZN9rocsolver6v33100L18trti2_kernel_smallILi22EfPfEEv13rocblas_fill_17rocblas_diagonal_T1_iil.numbered_sgpr, 32
	.set _ZN9rocsolver6v33100L18trti2_kernel_smallILi22EfPfEEv13rocblas_fill_17rocblas_diagonal_T1_iil.num_named_barrier, 0
	.set _ZN9rocsolver6v33100L18trti2_kernel_smallILi22EfPfEEv13rocblas_fill_17rocblas_diagonal_T1_iil.private_seg_size, 0
	.set _ZN9rocsolver6v33100L18trti2_kernel_smallILi22EfPfEEv13rocblas_fill_17rocblas_diagonal_T1_iil.uses_vcc, 1
	.set _ZN9rocsolver6v33100L18trti2_kernel_smallILi22EfPfEEv13rocblas_fill_17rocblas_diagonal_T1_iil.uses_flat_scratch, 0
	.set _ZN9rocsolver6v33100L18trti2_kernel_smallILi22EfPfEEv13rocblas_fill_17rocblas_diagonal_T1_iil.has_dyn_sized_stack, 0
	.set _ZN9rocsolver6v33100L18trti2_kernel_smallILi22EfPfEEv13rocblas_fill_17rocblas_diagonal_T1_iil.has_recursion, 0
	.set _ZN9rocsolver6v33100L18trti2_kernel_smallILi22EfPfEEv13rocblas_fill_17rocblas_diagonal_T1_iil.has_indirect_call, 0
	.section	.AMDGPU.csdata,"",@progbits
; Kernel info:
; codeLenInByte = 33492
; TotalNumSgprs: 34
; NumVgprs: 125
; ScratchSize: 0
; MemoryBound: 0
; FloatMode: 240
; IeeeMode: 1
; LDSByteSize: 184 bytes/workgroup (compile time only)
; SGPRBlocks: 0
; VGPRBlocks: 7
; NumSGPRsForWavesPerEU: 34
; NumVGPRsForWavesPerEU: 125
; NamedBarCnt: 0
; Occupancy: 8
; WaveLimiterHint : 0
; COMPUTE_PGM_RSRC2:SCRATCH_EN: 0
; COMPUTE_PGM_RSRC2:USER_SGPR: 2
; COMPUTE_PGM_RSRC2:TRAP_HANDLER: 0
; COMPUTE_PGM_RSRC2:TGID_X_EN: 1
; COMPUTE_PGM_RSRC2:TGID_Y_EN: 0
; COMPUTE_PGM_RSRC2:TGID_Z_EN: 0
; COMPUTE_PGM_RSRC2:TIDIG_COMP_CNT: 0
	.section	.text._ZN9rocsolver6v33100L18trti2_kernel_smallILi23EfPfEEv13rocblas_fill_17rocblas_diagonal_T1_iil,"axG",@progbits,_ZN9rocsolver6v33100L18trti2_kernel_smallILi23EfPfEEv13rocblas_fill_17rocblas_diagonal_T1_iil,comdat
	.globl	_ZN9rocsolver6v33100L18trti2_kernel_smallILi23EfPfEEv13rocblas_fill_17rocblas_diagonal_T1_iil ; -- Begin function _ZN9rocsolver6v33100L18trti2_kernel_smallILi23EfPfEEv13rocblas_fill_17rocblas_diagonal_T1_iil
	.p2align	8
	.type	_ZN9rocsolver6v33100L18trti2_kernel_smallILi23EfPfEEv13rocblas_fill_17rocblas_diagonal_T1_iil,@function
_ZN9rocsolver6v33100L18trti2_kernel_smallILi23EfPfEEv13rocblas_fill_17rocblas_diagonal_T1_iil: ; @_ZN9rocsolver6v33100L18trti2_kernel_smallILi23EfPfEEv13rocblas_fill_17rocblas_diagonal_T1_iil
; %bb.0:
	s_mov_b32 s2, exec_lo
	v_cmpx_gt_u32_e32 23, v0
	s_cbranch_execz .LBB22_562
; %bb.1:
	s_load_b256 s[24:31], s[0:1], 0x0
	s_wait_xcnt 0x0
	s_bfe_u32 s0, ttmp6, 0x4000c
	s_and_b32 s1, ttmp6, 15
	s_add_co_i32 s0, s0, 1
	s_getreg_b32 s2, hwreg(HW_REG_IB_STS2, 6, 4)
	s_mul_i32 s0, ttmp9, s0
	s_delay_alu instid0(SALU_CYCLE_1)
	s_add_co_i32 s0, s1, s0
	s_wait_kmcnt 0x0
	v_add3_u32 v66, s29, s29, v0
	s_ashr_i32 s1, s28, 31
	s_cmp_eq_u32 s2, 0
	s_cselect_b32 s2, ttmp9, s0
	s_delay_alu instid0(VALU_DEP_1)
	v_add_nc_u32_e32 v68, s29, v66
	s_ashr_i32 s3, s2, 31
	s_mov_b32 s0, s28
	s_mul_u64 s[2:3], s[30:31], s[2:3]
	s_lshl_b64 s[0:1], s[0:1], 2
	v_add_nc_u32_e32 v70, s29, v68
	s_lshl_b64 s[2:3], s[2:3], 2
	s_delay_alu instid0(SALU_CYCLE_1) | instskip(NEXT) | instid1(SALU_CYCLE_1)
	s_add_nc_u64 s[2:3], s[26:27], s[2:3]
	s_add_nc_u64 s[26:27], s[2:3], s[0:1]
	s_delay_alu instid0(VALU_DEP_1) | instskip(SKIP_3) | instid1(VALU_DEP_1)
	v_add_nc_u32_e32 v72, s29, v70
	s_mov_b32 s0, s29
	s_ashr_i32 s1, s29, 31
	s_cmp_lg_u32 s25, 0x84
	v_add_nc_u32_e32 v74, s29, v72
	s_cselect_b32 s23, -1, 0
	s_cmp_eq_u32 s25, 0x84
	s_delay_alu instid0(VALU_DEP_1) | instskip(NEXT) | instid1(VALU_DEP_1)
	v_add_nc_u32_e32 v76, s29, v74
	v_add_nc_u32_e32 v78, s29, v76
	s_delay_alu instid0(VALU_DEP_1) | instskip(NEXT) | instid1(VALU_DEP_1)
	v_add_nc_u32_e32 v80, s29, v78
	v_add_nc_u32_e32 v82, s29, v80
	;; [unrolled: 3-line block ×3, first 2 shown]
	s_delay_alu instid0(VALU_DEP_1) | instskip(NEXT) | instid1(VALU_DEP_1)
	v_add_nc_u32_e32 v88, s29, v86
	v_dual_mov_b32 v1, 0 :: v_dual_add_nc_u32 v90, s29, v88
	s_delay_alu instid0(VALU_DEP_1) | instskip(NEXT) | instid1(VALU_DEP_1)
	v_dual_add_nc_u32 v92, s29, v90 :: v_dual_lshlrev_b32 v34, 2, v0
	v_dual_mov_b32 v35, v1 :: v_dual_add_nc_u32 v96, s29, v92
	s_delay_alu instid0(VALU_DEP_1) | instskip(NEXT) | instid1(VALU_DEP_2)
	v_add_nc_u64_e32 v[94:95], s[26:27], v[34:35]
	v_dual_mov_b32 v35, -1.0 :: v_dual_add_nc_u32 v100, s29, v96
	s_delay_alu instid0(VALU_DEP_2) | instskip(NEXT) | instid1(VALU_DEP_2)
	v_lshl_add_u64 v[98:99], s[0:1], 2, v[94:95]
	v_add_nc_u32_e32 v102, s29, v100
	s_clause 0x7
	global_load_b32 v3, v[98:99], off
	global_load_b32 v4, v66, s[26:27] scale_offset
	global_load_b32 v5, v68, s[26:27] scale_offset
	;; [unrolled: 1-line block ×7, first 2 shown]
	v_add_nc_u32_e32 v104, s29, v102
	s_clause 0x7
	global_load_b32 v11, v80, s[26:27] scale_offset
	global_load_b32 v12, v82, s[26:27] scale_offset
	;; [unrolled: 1-line block ×8, first 2 shown]
	v_cmp_eq_u32_e64 s0, 0, v0
	v_add_nc_u32_e32 v106, s29, v104
	s_delay_alu instid0(VALU_DEP_1) | instskip(NEXT) | instid1(VALU_DEP_1)
	v_add_nc_u32_e32 v108, s29, v106
	v_add_nc_u32_e32 v110, s29, v108
	s_clause 0x6
	global_load_b32 v2, v0, s[26:27] scale_offset
	global_load_b32 v19, v100, s[26:27] scale_offset
	;; [unrolled: 1-line block ×7, first 2 shown]
	s_cbranch_scc1 .LBB22_3
; %bb.2:
	v_cmp_eq_u32_e64 s1, 1, v0
	v_cmp_eq_u32_e64 s2, 2, v0
	;; [unrolled: 1-line block ×5, first 2 shown]
	s_wait_loadcnt 0x6
	v_cndmask_b32_e64 v25, v2, v3, s1
	v_cmp_eq_u32_e64 s6, 6, v0
	v_cmp_eq_u32_e64 s7, 7, v0
	v_cmp_eq_u32_e64 s8, 8, v0
	v_cmp_eq_u32_e64 s9, 9, v0
	v_cndmask_b32_e64 v25, v25, v4, s2
	v_cmp_eq_u32_e64 s10, 10, v0
	v_cmp_eq_u32_e64 s11, 11, v0
	v_cmp_eq_u32_e64 s12, 12, v0
	v_cmp_eq_u32_e64 s13, 13, v0
	;; [unrolled: 5-line block ×4, first 2 shown]
	v_cndmask_b32_e64 v25, v25, v7, s5
	v_cmp_eq_u32_e64 s22, 22, v0
	s_delay_alu instid0(VALU_DEP_2) | instskip(NEXT) | instid1(VALU_DEP_1)
	v_cndmask_b32_e64 v25, v25, v8, s6
	v_cndmask_b32_e64 v25, v25, v9, s7
	s_delay_alu instid0(VALU_DEP_1) | instskip(NEXT) | instid1(VALU_DEP_1)
	v_cndmask_b32_e64 v25, v25, v10, s8
	v_cndmask_b32_e64 v25, v25, v11, s9
	s_delay_alu instid0(VALU_DEP_1) | instskip(NEXT) | instid1(VALU_DEP_1)
	;; [unrolled: 3-line block ×4, first 2 shown]
	v_cndmask_b32_e64 v25, v25, v16, s14
	v_cndmask_b32_e64 v25, v25, v17, s15
	s_delay_alu instid0(VALU_DEP_1) | instskip(SKIP_1) | instid1(VALU_DEP_1)
	v_cndmask_b32_e64 v25, v25, v18, s16
	s_wait_loadcnt 0x5
	v_cndmask_b32_e64 v25, v25, v19, s17
	s_wait_loadcnt 0x4
	s_delay_alu instid0(VALU_DEP_1) | instskip(SKIP_1) | instid1(VALU_DEP_1)
	v_cndmask_b32_e64 v25, v25, v20, s18
	s_wait_loadcnt 0x3
	v_cndmask_b32_e64 v25, v25, v21, s19
	s_wait_loadcnt 0x2
	;; [unrolled: 5-line block ×3, first 2 shown]
	s_delay_alu instid0(VALU_DEP_1) | instskip(NEXT) | instid1(VALU_DEP_1)
	v_cndmask_b32_e64 v25, v25, v24, s22
	v_div_scale_f32 v26, null, v25, v25, 1.0
	v_div_scale_f32 v29, vcc_lo, 1.0, v25, 1.0
	s_delay_alu instid0(VALU_DEP_2) | instskip(SKIP_1) | instid1(TRANS32_DEP_1)
	v_rcp_f32_e32 v27, v26
	v_nop
	v_fma_f32 v28, -v26, v27, 1.0
	s_delay_alu instid0(VALU_DEP_1) | instskip(NEXT) | instid1(VALU_DEP_1)
	v_fmac_f32_e32 v27, v28, v27
	v_mul_f32_e32 v28, v29, v27
	s_delay_alu instid0(VALU_DEP_1) | instskip(NEXT) | instid1(VALU_DEP_1)
	v_fma_f32 v30, -v26, v28, v29
	v_fmac_f32_e32 v28, v30, v27
	s_delay_alu instid0(VALU_DEP_1) | instskip(NEXT) | instid1(VALU_DEP_1)
	v_fma_f32 v26, -v26, v28, v29
	v_div_fmas_f32 v26, v26, v27, v28
	s_delay_alu instid0(VALU_DEP_1) | instskip(NEXT) | instid1(VALU_DEP_1)
	v_div_fixup_f32 v25, v26, v25, 1.0
	v_dual_cndmask_b32 v24, v24, v25, s22 :: v_dual_cndmask_b32 v23, v23, v25, s21
	v_dual_cndmask_b32 v22, v22, v25, s20 :: v_dual_cndmask_b32 v21, v21, v25, s19
	v_dual_cndmask_b32 v20, v20, v25, s18 :: v_dual_cndmask_b32 v19, v19, v25, s17
	v_dual_cndmask_b32 v18, v18, v25, s16 :: v_dual_cndmask_b32 v17, v17, v25, s15
	v_dual_cndmask_b32 v16, v16, v25, s14 :: v_dual_cndmask_b32 v15, v15, v25, s13
	v_dual_cndmask_b32 v14, v14, v25, s12 :: v_dual_cndmask_b32 v13, v13, v25, s11
	v_dual_cndmask_b32 v12, v12, v25, s10 :: v_dual_cndmask_b32 v11, v11, v25, s9
	v_dual_cndmask_b32 v10, v10, v25, s8 :: v_dual_cndmask_b32 v9, v9, v25, s7
	v_dual_cndmask_b32 v8, v8, v25, s6 :: v_dual_cndmask_b32 v7, v7, v25, s5
	v_dual_cndmask_b32 v6, v6, v25, s4 :: v_dual_cndmask_b32 v5, v5, v25, s3
	v_dual_cndmask_b32 v4, v4, v25, s2 :: v_dual_cndmask_b32 v3, v3, v25, s1
	v_cndmask_b32_e64 v2, v2, v25, s0
	v_xor_b32_e32 v35, 0x80000000, v25
.LBB22_3:
	v_dual_ashrrev_i32 v67, 31, v66 :: v_dual_ashrrev_i32 v69, 31, v68
	v_dual_ashrrev_i32 v71, 31, v70 :: v_dual_ashrrev_i32 v73, 31, v72
	;; [unrolled: 1-line block ×10, first 2 shown]
	v_ashrrev_i32_e32 v109, 31, v108
	v_add_nc_u32_e32 v115, 0x60, v34
	s_cmp_eq_u32 s24, 0x79
	ds_store_b32 v34, v35
	s_cbranch_scc1 .LBB22_7
; %bb.4:
	s_wait_loadcnt 0x0
	v_mov_b64_e32 v[64:65], v[32:33]
	v_mov_b64_e32 v[62:63], v[30:31]
	;; [unrolled: 1-line block ×16, first 2 shown]
	v_cmp_eq_u32_e64 s1, 22, v0
	ds_store_b32 v115, v23
	s_wait_dscnt 0x0
	s_barrier_signal -1
	s_barrier_wait -1
	s_and_saveexec_b32 s0, s1
	s_cbranch_execz .LBB22_11
; %bb.5:
	s_and_b32 vcc_lo, exec_lo, s23
	s_cbranch_vccz .LBB22_8
; %bb.6:
	v_cmp_eq_u32_e32 vcc_lo, 1, v0
	ds_load_b32 v35, v115
	v_cndmask_b32_e32 v34, v2, v3, vcc_lo
	v_cmp_eq_u32_e32 vcc_lo, 2, v0
	s_delay_alu instid0(VALU_DEP_2) | instskip(SKIP_1) | instid1(VALU_DEP_2)
	v_cndmask_b32_e32 v34, v34, v4, vcc_lo
	v_cmp_eq_u32_e32 vcc_lo, 3, v0
	v_cndmask_b32_e32 v34, v34, v5, vcc_lo
	v_cmp_eq_u32_e32 vcc_lo, 4, v0
	s_delay_alu instid0(VALU_DEP_2) | instskip(SKIP_1) | instid1(VALU_DEP_2)
	v_cndmask_b32_e32 v34, v34, v6, vcc_lo
	v_cmp_eq_u32_e32 vcc_lo, 5, v0
	;; [unrolled: 5-line block ×10, first 2 shown]
	v_cndmask_b32_e32 v34, v34, v23, vcc_lo
	v_cmp_eq_u32_e32 vcc_lo, 22, v0
	s_delay_alu instid0(VALU_DEP_2) | instskip(SKIP_1) | instid1(VALU_DEP_1)
	v_cndmask_b32_e32 v34, v34, v24, vcc_lo
	s_wait_dscnt 0x0
	v_mul_f32_e32 v55, v34, v35
	s_cbranch_execz .LBB22_9
	s_branch .LBB22_10
.LBB22_7:
                                        ; implicit-def: $vgpr34_vgpr35_vgpr36_vgpr37_vgpr38_vgpr39_vgpr40_vgpr41_vgpr42_vgpr43_vgpr44_vgpr45_vgpr46_vgpr47_vgpr48_vgpr49_vgpr50_vgpr51_vgpr52_vgpr53_vgpr54_vgpr55_vgpr56_vgpr57_vgpr58_vgpr59_vgpr60_vgpr61_vgpr62_vgpr63_vgpr64_vgpr65
	s_cbranch_execnz .LBB22_338
	s_branch .LBB22_561
.LBB22_8:
                                        ; implicit-def: $vgpr55
.LBB22_9:
	ds_load_b32 v55, v115
.LBB22_10:
	v_dual_mov_b32 v36, 0 :: v_dual_mov_b32 v34, v2
	v_dual_mov_b32 v35, v3 :: v_dual_mov_b32 v37, v5
	v_mov_b32_e32 v38, v6
	ds_load_b32 v56, v36 offset:84
	v_dual_mov_b32 v36, v4 :: v_dual_mov_b32 v39, v7
	v_dual_mov_b32 v40, v8 :: v_dual_mov_b32 v41, v9
	;; [unrolled: 1-line block ×8, first 2 shown]
	s_wait_dscnt 0x0
	v_dual_mov_b32 v54, v22 :: v_dual_mul_f32 v55, v55, v56
	v_mov_b32_e32 v56, v24
.LBB22_11:
	s_or_b32 exec_lo, exec_lo, s0
	v_cmp_lt_u32_e64 s0, 20, v0
	ds_store_b32 v115, v54
	s_wait_dscnt 0x0
	s_barrier_signal -1
	s_barrier_wait -1
	s_and_saveexec_b32 s2, s0
	s_cbranch_execz .LBB22_17
; %bb.12:
	s_and_not1_b32 vcc_lo, exec_lo, s23
	s_cbranch_vccnz .LBB22_14
; %bb.13:
	v_cmp_eq_u32_e32 vcc_lo, 1, v0
	ds_load_b32 v58, v115
	v_cndmask_b32_e32 v57, v34, v35, vcc_lo
	v_cmp_eq_u32_e32 vcc_lo, 2, v0
	s_delay_alu instid0(VALU_DEP_2) | instskip(SKIP_1) | instid1(VALU_DEP_2)
	v_cndmask_b32_e32 v57, v57, v36, vcc_lo
	v_cmp_eq_u32_e32 vcc_lo, 3, v0
	v_cndmask_b32_e32 v57, v57, v37, vcc_lo
	v_cmp_eq_u32_e32 vcc_lo, 4, v0
	s_delay_alu instid0(VALU_DEP_2) | instskip(SKIP_1) | instid1(VALU_DEP_2)
	v_cndmask_b32_e32 v57, v57, v38, vcc_lo
	v_cmp_eq_u32_e32 vcc_lo, 5, v0
	;; [unrolled: 5-line block ×10, first 2 shown]
	v_cndmask_b32_e32 v54, v54, v55, vcc_lo
	v_cmp_eq_u32_e32 vcc_lo, 22, v0
	s_delay_alu instid0(VALU_DEP_2) | instskip(SKIP_1) | instid1(VALU_DEP_1)
	v_cndmask_b32_e32 v54, v54, v56, vcc_lo
	s_wait_dscnt 0x0
	v_mul_f32_e32 v54, v54, v58
	s_cbranch_execz .LBB22_15
	s_branch .LBB22_16
.LBB22_14:
                                        ; implicit-def: $vgpr54
.LBB22_15:
	ds_load_b32 v54, v115
.LBB22_16:
	v_mov_b32_e32 v57, 0
	ds_load_2addr_b32 v[58:59], v57 offset0:20 offset1:45
	s_wait_dscnt 0x0
	v_fma_f32 v57, v55, v59, v54
	s_delay_alu instid0(VALU_DEP_1) | instskip(NEXT) | instid1(VALU_DEP_1)
	v_cndmask_b32_e64 v54, v54, v57, s1
	v_mul_f32_e32 v54, v54, v58
.LBB22_17:
	s_or_b32 exec_lo, exec_lo, s2
	v_cmp_lt_u32_e64 s1, 19, v0
	ds_store_b32 v115, v53
	s_wait_dscnt 0x0
	s_barrier_signal -1
	s_barrier_wait -1
	s_and_saveexec_b32 s4, s1
	s_cbranch_execz .LBB22_33
; %bb.18:
	s_and_not1_b32 vcc_lo, exec_lo, s23
	s_cbranch_vccnz .LBB22_20
; %bb.19:
	v_cmp_eq_u32_e32 vcc_lo, 1, v0
	ds_load_b32 v113, v115
	v_cndmask_b32_e32 v112, v34, v35, vcc_lo
	v_cmp_eq_u32_e32 vcc_lo, 2, v0
	s_delay_alu instid0(VALU_DEP_2) | instskip(SKIP_1) | instid1(VALU_DEP_2)
	v_cndmask_b32_e32 v112, v112, v36, vcc_lo
	v_cmp_eq_u32_e32 vcc_lo, 3, v0
	v_cndmask_b32_e32 v112, v112, v37, vcc_lo
	v_cmp_eq_u32_e32 vcc_lo, 4, v0
	s_delay_alu instid0(VALU_DEP_2) | instskip(SKIP_1) | instid1(VALU_DEP_2)
	v_cndmask_b32_e32 v112, v112, v38, vcc_lo
	v_cmp_eq_u32_e32 vcc_lo, 5, v0
	;; [unrolled: 5-line block ×10, first 2 shown]
	v_cndmask_b32_e32 v112, v112, v55, vcc_lo
	v_cmp_eq_u32_e32 vcc_lo, 22, v0
	s_delay_alu instid0(VALU_DEP_2) | instskip(SKIP_1) | instid1(VALU_DEP_1)
	v_cndmask_b32_e32 v112, v112, v56, vcc_lo
	s_wait_dscnt 0x0
	v_mul_f32_e32 v116, v112, v113
	s_cbranch_execz .LBB22_21
	s_branch .LBB22_22
.LBB22_20:
                                        ; implicit-def: $vgpr116
.LBB22_21:
	ds_load_b32 v116, v115
.LBB22_22:
	s_and_saveexec_b32 s5, s0
	s_cbranch_execz .LBB22_32
; %bb.23:
	v_subrev_nc_u32_e32 v114, 21, v0
	v_mov_b32_e32 v112, 20
	v_subrev_nc_u32_e32 v113, 20, v0
	s_mov_b32 s0, exec_lo
	s_delay_alu instid0(VALU_DEP_3)
	v_cmpx_lt_u32_e32 6, v114
	s_cbranch_execz .LBB22_27
; %bb.24:
	s_delay_alu instid0(VALU_DEP_2) | instskip(SKIP_3) | instid1(VALU_DEP_1)
	v_and_b32_e32 v112, -8, v113
	s_mov_b32 s6, 0
	s_mov_b64 s[2:3], 27
	s_movk_i32 s7, 0xb0
	v_sub_nc_u32_e32 v114, 0, v112
.LBB22_25:                              ; =>This Inner Loop Header: Depth=1
	s_add_co_i32 m0, s2, -7
	v_movrels_b32_e32 v117, v34
	v_mov_b32_e32 v112, s7
	s_add_co_i32 m0, s2, -6
	s_add_co_i32 s7, s7, 32
	v_movrels_b32_e32 v126, v34
	s_add_co_i32 m0, s2, -5
	ds_load_b128 v[118:121], v112
	ds_load_b128 v[122:125], v112 offset:16
	v_movrels_b32_e32 v112, v34
	s_add_co_i32 m0, s2, -4
	s_wait_dscnt 0x1
	v_fmac_f32_e32 v116, v117, v118
	v_movrels_b32_e32 v117, v34
	s_add_co_i32 m0, s2, -3
	s_delay_alu instid0(VALU_DEP_2) | instskip(NEXT) | instid1(VALU_DEP_1)
	v_fmac_f32_e32 v116, v126, v119
	v_fmac_f32_e32 v116, v112, v120
	v_movrels_b32_e32 v112, v34
	s_add_co_i32 m0, s2, -2
	s_delay_alu instid0(VALU_DEP_2) | instskip(SKIP_3) | instid1(VALU_DEP_2)
	v_fmac_f32_e32 v116, v117, v121
	v_movrels_b32_e32 v117, v34
	s_add_co_i32 m0, s2, -1
	s_wait_dscnt 0x0
	v_fmac_f32_e32 v116, v112, v122
	v_movrels_b32_e32 v112, v34
	s_mov_b32 m0, s2
	s_add_nc_u64 s[2:3], s[2:3], 8
	v_movrels_b32_e32 v118, v34
	v_dual_fmac_f32 v116, v117, v123 :: v_dual_add_nc_u32 v117, s2, v114
	s_add_co_i32 s8, s2, -7
	s_delay_alu instid0(VALU_DEP_1) | instskip(NEXT) | instid1(VALU_DEP_2)
	v_fmac_f32_e32 v116, v112, v124
	v_cmp_eq_u32_e32 vcc_lo, 27, v117
	s_delay_alu instid0(VALU_DEP_2) | instskip(SKIP_1) | instid1(SALU_CYCLE_1)
	v_dual_mov_b32 v112, s8 :: v_dual_fmac_f32 v116, v118, v125
	s_or_b32 s6, vcc_lo, s6
	s_and_not1_b32 exec_lo, exec_lo, s6
	s_cbranch_execnz .LBB22_25
; %bb.26:
	s_or_b32 exec_lo, exec_lo, s6
.LBB22_27:
	s_delay_alu instid0(SALU_CYCLE_1) | instskip(SKIP_3) | instid1(VALU_DEP_1)
	s_or_b32 exec_lo, exec_lo, s0
	v_and_b32_e32 v57, 7, v113
	s_mov_b32 s2, 0
	s_mov_b32 s0, exec_lo
	v_cmpx_ne_u32_e32 0, v57
	s_cbranch_execz .LBB22_31
; %bb.28:
	v_lshl_add_u32 v58, v112, 2, 0x60
	v_mov_b32_e32 v113, 0
.LBB22_29:                              ; =>This Inner Loop Header: Depth=1
	v_cmp_eq_u32_e32 vcc_lo, 1, v112
	ds_load_b32 v60, v58
	v_dual_add_nc_u32 v57, -1, v57 :: v_dual_add_nc_u32 v58, 4, v58
	v_cndmask_b32_e32 v59, v34, v35, vcc_lo
	v_cmp_eq_u32_e32 vcc_lo, 2, v112
	s_delay_alu instid0(VALU_DEP_2) | instskip(SKIP_1) | instid1(VALU_DEP_2)
	v_cndmask_b32_e32 v59, v59, v36, vcc_lo
	v_cmp_eq_u32_e32 vcc_lo, 3, v112
	v_cndmask_b32_e32 v59, v59, v37, vcc_lo
	v_cmp_eq_u32_e32 vcc_lo, 4, v112
	s_delay_alu instid0(VALU_DEP_2) | instskip(SKIP_1) | instid1(VALU_DEP_2)
	v_cndmask_b32_e32 v59, v59, v38, vcc_lo
	v_cmp_eq_u32_e32 vcc_lo, 5, v112
	;; [unrolled: 5-line block ×10, first 2 shown]
	v_cndmask_b32_e32 v59, v59, v55, vcc_lo
	v_cmp_eq_u32_e32 vcc_lo, 22, v112
	v_add_nc_u64_e32 v[112:113], 1, v[112:113]
	s_delay_alu instid0(VALU_DEP_3) | instskip(SKIP_2) | instid1(VALU_DEP_2)
	v_cndmask_b32_e32 v59, v59, v56, vcc_lo
	v_cmp_eq_u32_e32 vcc_lo, 0, v57
	s_wait_dscnt 0x0
	v_fmac_f32_e32 v116, v59, v60
	s_or_b32 s2, vcc_lo, s2
	s_delay_alu instid0(SALU_CYCLE_1)
	s_and_not1_b32 exec_lo, exec_lo, s2
	s_cbranch_execnz .LBB22_29
; %bb.30:
	s_or_b32 exec_lo, exec_lo, s2
.LBB22_31:
	s_delay_alu instid0(SALU_CYCLE_1)
	s_or_b32 exec_lo, exec_lo, s0
.LBB22_32:
	s_delay_alu instid0(SALU_CYCLE_1)
	s_or_b32 exec_lo, exec_lo, s5
	v_mov_b32_e32 v53, 0
	ds_load_b32 v53, v53 offset:76
	s_wait_dscnt 0x0
	v_mul_f32_e32 v53, v116, v53
.LBB22_33:
	s_or_b32 exec_lo, exec_lo, s4
	v_cmp_lt_u32_e64 s0, 18, v0
	ds_store_b32 v115, v52
	s_wait_dscnt 0x0
	s_barrier_signal -1
	s_barrier_wait -1
	s_and_saveexec_b32 s4, s0
	s_cbranch_execz .LBB22_49
; %bb.34:
	s_and_not1_b32 vcc_lo, exec_lo, s23
	s_cbranch_vccnz .LBB22_36
; %bb.35:
	v_cmp_eq_u32_e32 vcc_lo, 1, v0
	ds_load_b32 v113, v115
	v_cndmask_b32_e32 v112, v34, v35, vcc_lo
	v_cmp_eq_u32_e32 vcc_lo, 2, v0
	s_delay_alu instid0(VALU_DEP_2) | instskip(SKIP_1) | instid1(VALU_DEP_2)
	v_cndmask_b32_e32 v112, v112, v36, vcc_lo
	v_cmp_eq_u32_e32 vcc_lo, 3, v0
	v_cndmask_b32_e32 v112, v112, v37, vcc_lo
	v_cmp_eq_u32_e32 vcc_lo, 4, v0
	s_delay_alu instid0(VALU_DEP_2) | instskip(SKIP_1) | instid1(VALU_DEP_2)
	v_cndmask_b32_e32 v112, v112, v38, vcc_lo
	v_cmp_eq_u32_e32 vcc_lo, 5, v0
	;; [unrolled: 5-line block ×10, first 2 shown]
	v_cndmask_b32_e32 v112, v112, v55, vcc_lo
	v_cmp_eq_u32_e32 vcc_lo, 22, v0
	s_delay_alu instid0(VALU_DEP_2) | instskip(SKIP_1) | instid1(VALU_DEP_1)
	v_cndmask_b32_e32 v112, v112, v56, vcc_lo
	s_wait_dscnt 0x0
	v_mul_f32_e32 v116, v112, v113
	s_cbranch_execz .LBB22_37
	s_branch .LBB22_38
.LBB22_36:
                                        ; implicit-def: $vgpr116
.LBB22_37:
	ds_load_b32 v116, v115
.LBB22_38:
	s_and_saveexec_b32 s5, s1
	s_cbranch_execz .LBB22_48
; %bb.39:
	v_subrev_nc_u32_e32 v114, 20, v0
	v_mov_b32_e32 v112, 19
	v_subrev_nc_u32_e32 v113, 19, v0
	s_mov_b32 s1, exec_lo
	s_delay_alu instid0(VALU_DEP_3)
	v_cmpx_lt_u32_e32 6, v114
	s_cbranch_execz .LBB22_43
; %bb.40:
	s_delay_alu instid0(VALU_DEP_2) | instskip(SKIP_3) | instid1(VALU_DEP_1)
	v_and_b32_e32 v112, -8, v113
	s_mov_b32 s6, 0
	s_mov_b64 s[2:3], 26
	s_movk_i32 s7, 0xac
	v_sub_nc_u32_e32 v114, 0, v112
.LBB22_41:                              ; =>This Inner Loop Header: Depth=1
	s_add_co_i32 m0, s2, -7
	v_movrels_b32_e32 v117, v34
	v_mov_b32_e32 v112, s7
	s_add_co_i32 m0, s2, -6
	s_add_co_i32 s7, s7, 32
	v_movrels_b32_e32 v126, v34
	ds_load_2addr_b32 v[118:119], v112 offset1:1
	ds_load_2addr_b32 v[120:121], v112 offset0:2 offset1:3
	s_add_co_i32 m0, s2, -5
	s_wait_dscnt 0x1
	v_fmac_f32_e32 v116, v117, v118
	ds_load_2addr_b32 v[122:123], v112 offset0:4 offset1:5
	ds_load_2addr_b32 v[124:125], v112 offset0:6 offset1:7
	v_movrels_b32_e32 v112, v34
	s_add_co_i32 m0, s2, -4
	v_fmac_f32_e32 v116, v126, v119
	v_movrels_b32_e32 v117, v34
	s_add_co_i32 m0, s2, -3
	s_wait_dscnt 0x2
	s_delay_alu instid0(VALU_DEP_2) | instskip(SKIP_2) | instid1(VALU_DEP_2)
	v_fmac_f32_e32 v116, v112, v120
	v_movrels_b32_e32 v112, v34
	s_add_co_i32 m0, s2, -2
	v_fmac_f32_e32 v116, v117, v121
	v_movrels_b32_e32 v117, v34
	s_add_co_i32 m0, s2, -1
	s_wait_dscnt 0x1
	s_delay_alu instid0(VALU_DEP_2)
	v_fmac_f32_e32 v116, v112, v122
	v_movrels_b32_e32 v112, v34
	s_mov_b32 m0, s2
	s_add_nc_u64 s[2:3], s[2:3], 8
	v_movrels_b32_e32 v118, v34
	v_dual_fmac_f32 v116, v117, v123 :: v_dual_add_nc_u32 v117, s2, v114
	s_add_co_i32 s8, s2, -7
	s_wait_dscnt 0x0
	s_delay_alu instid0(VALU_DEP_1) | instskip(NEXT) | instid1(VALU_DEP_2)
	v_fmac_f32_e32 v116, v112, v124
	v_cmp_eq_u32_e32 vcc_lo, 26, v117
	s_delay_alu instid0(VALU_DEP_2) | instskip(SKIP_1) | instid1(SALU_CYCLE_1)
	v_dual_mov_b32 v112, s8 :: v_dual_fmac_f32 v116, v118, v125
	s_or_b32 s6, vcc_lo, s6
	s_and_not1_b32 exec_lo, exec_lo, s6
	s_cbranch_execnz .LBB22_41
; %bb.42:
	s_or_b32 exec_lo, exec_lo, s6
.LBB22_43:
	s_delay_alu instid0(SALU_CYCLE_1) | instskip(SKIP_3) | instid1(VALU_DEP_1)
	s_or_b32 exec_lo, exec_lo, s1
	v_and_b32_e32 v57, 7, v113
	s_mov_b32 s2, 0
	s_mov_b32 s1, exec_lo
	v_cmpx_ne_u32_e32 0, v57
	s_cbranch_execz .LBB22_47
; %bb.44:
	v_lshl_add_u32 v58, v112, 2, 0x60
	v_mov_b32_e32 v113, 0
.LBB22_45:                              ; =>This Inner Loop Header: Depth=1
	v_cmp_eq_u32_e32 vcc_lo, 1, v112
	ds_load_b32 v60, v58
	v_dual_add_nc_u32 v57, -1, v57 :: v_dual_add_nc_u32 v58, 4, v58
	v_cndmask_b32_e32 v59, v34, v35, vcc_lo
	v_cmp_eq_u32_e32 vcc_lo, 2, v112
	s_delay_alu instid0(VALU_DEP_2) | instskip(SKIP_1) | instid1(VALU_DEP_2)
	v_cndmask_b32_e32 v59, v59, v36, vcc_lo
	v_cmp_eq_u32_e32 vcc_lo, 3, v112
	v_cndmask_b32_e32 v59, v59, v37, vcc_lo
	v_cmp_eq_u32_e32 vcc_lo, 4, v112
	s_delay_alu instid0(VALU_DEP_2) | instskip(SKIP_1) | instid1(VALU_DEP_2)
	v_cndmask_b32_e32 v59, v59, v38, vcc_lo
	v_cmp_eq_u32_e32 vcc_lo, 5, v112
	;; [unrolled: 5-line block ×10, first 2 shown]
	v_cndmask_b32_e32 v59, v59, v55, vcc_lo
	v_cmp_eq_u32_e32 vcc_lo, 22, v112
	v_add_nc_u64_e32 v[112:113], 1, v[112:113]
	s_delay_alu instid0(VALU_DEP_3) | instskip(SKIP_2) | instid1(VALU_DEP_2)
	v_cndmask_b32_e32 v59, v59, v56, vcc_lo
	v_cmp_eq_u32_e32 vcc_lo, 0, v57
	s_wait_dscnt 0x0
	v_fmac_f32_e32 v116, v59, v60
	s_or_b32 s2, vcc_lo, s2
	s_delay_alu instid0(SALU_CYCLE_1)
	s_and_not1_b32 exec_lo, exec_lo, s2
	s_cbranch_execnz .LBB22_45
; %bb.46:
	s_or_b32 exec_lo, exec_lo, s2
.LBB22_47:
	s_delay_alu instid0(SALU_CYCLE_1)
	s_or_b32 exec_lo, exec_lo, s1
.LBB22_48:
	s_delay_alu instid0(SALU_CYCLE_1)
	s_or_b32 exec_lo, exec_lo, s5
	v_mov_b32_e32 v52, 0
	ds_load_b32 v52, v52 offset:72
	s_wait_dscnt 0x0
	v_mul_f32_e32 v52, v116, v52
.LBB22_49:
	s_or_b32 exec_lo, exec_lo, s4
	v_cmp_lt_u32_e64 s1, 17, v0
	ds_store_b32 v115, v51
	s_wait_dscnt 0x0
	s_barrier_signal -1
	s_barrier_wait -1
	s_and_saveexec_b32 s4, s1
	s_cbranch_execz .LBB22_65
; %bb.50:
	s_and_not1_b32 vcc_lo, exec_lo, s23
	s_cbranch_vccnz .LBB22_52
; %bb.51:
	v_cmp_eq_u32_e32 vcc_lo, 1, v0
	ds_load_b32 v113, v115
	v_cndmask_b32_e32 v112, v34, v35, vcc_lo
	v_cmp_eq_u32_e32 vcc_lo, 2, v0
	s_delay_alu instid0(VALU_DEP_2) | instskip(SKIP_1) | instid1(VALU_DEP_2)
	v_cndmask_b32_e32 v112, v112, v36, vcc_lo
	v_cmp_eq_u32_e32 vcc_lo, 3, v0
	v_cndmask_b32_e32 v112, v112, v37, vcc_lo
	v_cmp_eq_u32_e32 vcc_lo, 4, v0
	s_delay_alu instid0(VALU_DEP_2) | instskip(SKIP_1) | instid1(VALU_DEP_2)
	v_cndmask_b32_e32 v112, v112, v38, vcc_lo
	v_cmp_eq_u32_e32 vcc_lo, 5, v0
	;; [unrolled: 5-line block ×10, first 2 shown]
	v_cndmask_b32_e32 v112, v112, v55, vcc_lo
	v_cmp_eq_u32_e32 vcc_lo, 22, v0
	s_delay_alu instid0(VALU_DEP_2) | instskip(SKIP_1) | instid1(VALU_DEP_1)
	v_cndmask_b32_e32 v112, v112, v56, vcc_lo
	s_wait_dscnt 0x0
	v_mul_f32_e32 v116, v112, v113
	s_cbranch_execz .LBB22_53
	s_branch .LBB22_54
.LBB22_52:
                                        ; implicit-def: $vgpr116
.LBB22_53:
	ds_load_b32 v116, v115
.LBB22_54:
	s_and_saveexec_b32 s5, s0
	s_cbranch_execz .LBB22_64
; %bb.55:
	v_subrev_nc_u32_e32 v114, 19, v0
	v_mov_b32_e32 v112, 18
	v_subrev_nc_u32_e32 v113, 18, v0
	s_mov_b32 s0, exec_lo
	s_delay_alu instid0(VALU_DEP_3)
	v_cmpx_lt_u32_e32 6, v114
	s_cbranch_execz .LBB22_59
; %bb.56:
	s_delay_alu instid0(VALU_DEP_2) | instskip(SKIP_3) | instid1(VALU_DEP_1)
	v_and_b32_e32 v112, -8, v113
	s_mov_b32 s6, 0
	s_mov_b64 s[2:3], 25
	s_movk_i32 s7, 0xa8
	v_sub_nc_u32_e32 v114, 0, v112
.LBB22_57:                              ; =>This Inner Loop Header: Depth=1
	s_add_co_i32 m0, s2, -7
	v_movrels_b32_e32 v117, v34
	v_mov_b32_e32 v112, s7
	s_add_co_i32 m0, s2, -6
	s_add_co_i32 s7, s7, 32
	v_movrels_b32_e32 v126, v34
	s_add_co_i32 m0, s2, -5
	ds_load_2addr_b64 v[118:121], v112 offset1:1
	ds_load_2addr_b64 v[122:125], v112 offset0:2 offset1:3
	v_movrels_b32_e32 v112, v34
	s_add_co_i32 m0, s2, -4
	s_wait_dscnt 0x1
	v_fmac_f32_e32 v116, v117, v118
	v_movrels_b32_e32 v117, v34
	s_add_co_i32 m0, s2, -3
	s_delay_alu instid0(VALU_DEP_2) | instskip(NEXT) | instid1(VALU_DEP_1)
	v_fmac_f32_e32 v116, v126, v119
	v_fmac_f32_e32 v116, v112, v120
	v_movrels_b32_e32 v112, v34
	s_add_co_i32 m0, s2, -2
	s_delay_alu instid0(VALU_DEP_2) | instskip(SKIP_3) | instid1(VALU_DEP_2)
	v_fmac_f32_e32 v116, v117, v121
	v_movrels_b32_e32 v117, v34
	s_add_co_i32 m0, s2, -1
	s_wait_dscnt 0x0
	v_fmac_f32_e32 v116, v112, v122
	v_movrels_b32_e32 v112, v34
	s_mov_b32 m0, s2
	s_add_nc_u64 s[2:3], s[2:3], 8
	v_movrels_b32_e32 v118, v34
	v_dual_fmac_f32 v116, v117, v123 :: v_dual_add_nc_u32 v117, s2, v114
	s_add_co_i32 s8, s2, -7
	s_delay_alu instid0(VALU_DEP_1) | instskip(NEXT) | instid1(VALU_DEP_2)
	v_fmac_f32_e32 v116, v112, v124
	v_cmp_eq_u32_e32 vcc_lo, 25, v117
	s_delay_alu instid0(VALU_DEP_2) | instskip(SKIP_1) | instid1(SALU_CYCLE_1)
	v_dual_mov_b32 v112, s8 :: v_dual_fmac_f32 v116, v118, v125
	s_or_b32 s6, vcc_lo, s6
	s_and_not1_b32 exec_lo, exec_lo, s6
	s_cbranch_execnz .LBB22_57
; %bb.58:
	s_or_b32 exec_lo, exec_lo, s6
.LBB22_59:
	s_delay_alu instid0(SALU_CYCLE_1) | instskip(SKIP_3) | instid1(VALU_DEP_1)
	s_or_b32 exec_lo, exec_lo, s0
	v_and_b32_e32 v57, 7, v113
	s_mov_b32 s2, 0
	s_mov_b32 s0, exec_lo
	v_cmpx_ne_u32_e32 0, v57
	s_cbranch_execz .LBB22_63
; %bb.60:
	v_lshl_add_u32 v58, v112, 2, 0x60
	v_mov_b32_e32 v113, 0
.LBB22_61:                              ; =>This Inner Loop Header: Depth=1
	v_cmp_eq_u32_e32 vcc_lo, 1, v112
	ds_load_b32 v60, v58
	v_dual_add_nc_u32 v57, -1, v57 :: v_dual_add_nc_u32 v58, 4, v58
	v_cndmask_b32_e32 v59, v34, v35, vcc_lo
	v_cmp_eq_u32_e32 vcc_lo, 2, v112
	s_delay_alu instid0(VALU_DEP_2) | instskip(SKIP_1) | instid1(VALU_DEP_2)
	v_cndmask_b32_e32 v59, v59, v36, vcc_lo
	v_cmp_eq_u32_e32 vcc_lo, 3, v112
	v_cndmask_b32_e32 v59, v59, v37, vcc_lo
	v_cmp_eq_u32_e32 vcc_lo, 4, v112
	s_delay_alu instid0(VALU_DEP_2) | instskip(SKIP_1) | instid1(VALU_DEP_2)
	v_cndmask_b32_e32 v59, v59, v38, vcc_lo
	v_cmp_eq_u32_e32 vcc_lo, 5, v112
	;; [unrolled: 5-line block ×10, first 2 shown]
	v_cndmask_b32_e32 v59, v59, v55, vcc_lo
	v_cmp_eq_u32_e32 vcc_lo, 22, v112
	v_add_nc_u64_e32 v[112:113], 1, v[112:113]
	s_delay_alu instid0(VALU_DEP_3) | instskip(SKIP_2) | instid1(VALU_DEP_2)
	v_cndmask_b32_e32 v59, v59, v56, vcc_lo
	v_cmp_eq_u32_e32 vcc_lo, 0, v57
	s_wait_dscnt 0x0
	v_fmac_f32_e32 v116, v59, v60
	s_or_b32 s2, vcc_lo, s2
	s_delay_alu instid0(SALU_CYCLE_1)
	s_and_not1_b32 exec_lo, exec_lo, s2
	s_cbranch_execnz .LBB22_61
; %bb.62:
	s_or_b32 exec_lo, exec_lo, s2
.LBB22_63:
	s_delay_alu instid0(SALU_CYCLE_1)
	s_or_b32 exec_lo, exec_lo, s0
.LBB22_64:
	s_delay_alu instid0(SALU_CYCLE_1)
	s_or_b32 exec_lo, exec_lo, s5
	v_mov_b32_e32 v51, 0
	ds_load_b32 v51, v51 offset:68
	s_wait_dscnt 0x0
	v_mul_f32_e32 v51, v116, v51
.LBB22_65:
	s_or_b32 exec_lo, exec_lo, s4
	v_cmp_lt_u32_e64 s0, 16, v0
	ds_store_b32 v115, v50
	s_wait_dscnt 0x0
	s_barrier_signal -1
	s_barrier_wait -1
	s_and_saveexec_b32 s4, s0
	s_cbranch_execz .LBB22_81
; %bb.66:
	s_and_not1_b32 vcc_lo, exec_lo, s23
	s_cbranch_vccnz .LBB22_68
; %bb.67:
	v_cmp_eq_u32_e32 vcc_lo, 1, v0
	ds_load_b32 v113, v115
	v_cndmask_b32_e32 v112, v34, v35, vcc_lo
	v_cmp_eq_u32_e32 vcc_lo, 2, v0
	s_delay_alu instid0(VALU_DEP_2) | instskip(SKIP_1) | instid1(VALU_DEP_2)
	v_cndmask_b32_e32 v112, v112, v36, vcc_lo
	v_cmp_eq_u32_e32 vcc_lo, 3, v0
	v_cndmask_b32_e32 v112, v112, v37, vcc_lo
	v_cmp_eq_u32_e32 vcc_lo, 4, v0
	s_delay_alu instid0(VALU_DEP_2) | instskip(SKIP_1) | instid1(VALU_DEP_2)
	v_cndmask_b32_e32 v112, v112, v38, vcc_lo
	v_cmp_eq_u32_e32 vcc_lo, 5, v0
	;; [unrolled: 5-line block ×10, first 2 shown]
	v_cndmask_b32_e32 v112, v112, v55, vcc_lo
	v_cmp_eq_u32_e32 vcc_lo, 22, v0
	s_delay_alu instid0(VALU_DEP_2) | instskip(SKIP_1) | instid1(VALU_DEP_1)
	v_cndmask_b32_e32 v112, v112, v56, vcc_lo
	s_wait_dscnt 0x0
	v_mul_f32_e32 v116, v112, v113
	s_cbranch_execz .LBB22_69
	s_branch .LBB22_70
.LBB22_68:
                                        ; implicit-def: $vgpr116
.LBB22_69:
	ds_load_b32 v116, v115
.LBB22_70:
	s_and_saveexec_b32 s5, s1
	s_cbranch_execz .LBB22_80
; %bb.71:
	v_subrev_nc_u32_e32 v114, 18, v0
	v_mov_b32_e32 v112, 17
	v_subrev_nc_u32_e32 v113, 17, v0
	s_mov_b32 s1, exec_lo
	s_delay_alu instid0(VALU_DEP_3)
	v_cmpx_lt_u32_e32 6, v114
	s_cbranch_execz .LBB22_75
; %bb.72:
	s_delay_alu instid0(VALU_DEP_2) | instskip(SKIP_3) | instid1(VALU_DEP_1)
	v_and_b32_e32 v112, -8, v113
	s_mov_b32 s6, 0
	s_mov_b64 s[2:3], 24
	s_movk_i32 s7, 0xa4
	v_sub_nc_u32_e32 v114, 0, v112
.LBB22_73:                              ; =>This Inner Loop Header: Depth=1
	s_add_co_i32 m0, s2, -7
	v_movrels_b32_e32 v117, v34
	v_mov_b32_e32 v112, s7
	s_add_co_i32 m0, s2, -6
	s_add_co_i32 s7, s7, 32
	v_movrels_b32_e32 v126, v34
	ds_load_2addr_b32 v[118:119], v112 offset1:1
	ds_load_2addr_b32 v[120:121], v112 offset0:2 offset1:3
	s_add_co_i32 m0, s2, -5
	s_wait_dscnt 0x1
	v_fmac_f32_e32 v116, v117, v118
	ds_load_2addr_b32 v[122:123], v112 offset0:4 offset1:5
	ds_load_2addr_b32 v[124:125], v112 offset0:6 offset1:7
	v_movrels_b32_e32 v112, v34
	s_add_co_i32 m0, s2, -4
	v_fmac_f32_e32 v116, v126, v119
	v_movrels_b32_e32 v117, v34
	s_add_co_i32 m0, s2, -3
	s_wait_dscnt 0x2
	s_delay_alu instid0(VALU_DEP_2) | instskip(SKIP_2) | instid1(VALU_DEP_2)
	v_fmac_f32_e32 v116, v112, v120
	v_movrels_b32_e32 v112, v34
	s_add_co_i32 m0, s2, -2
	v_fmac_f32_e32 v116, v117, v121
	v_movrels_b32_e32 v117, v34
	s_add_co_i32 m0, s2, -1
	s_wait_dscnt 0x1
	s_delay_alu instid0(VALU_DEP_2)
	v_fmac_f32_e32 v116, v112, v122
	v_movrels_b32_e32 v112, v34
	s_mov_b32 m0, s2
	s_add_nc_u64 s[2:3], s[2:3], 8
	v_movrels_b32_e32 v118, v34
	v_dual_fmac_f32 v116, v117, v123 :: v_dual_add_nc_u32 v117, s2, v114
	s_add_co_i32 s8, s2, -7
	s_wait_dscnt 0x0
	s_delay_alu instid0(VALU_DEP_1) | instskip(NEXT) | instid1(VALU_DEP_2)
	v_fmac_f32_e32 v116, v112, v124
	v_cmp_eq_u32_e32 vcc_lo, 24, v117
	s_delay_alu instid0(VALU_DEP_2) | instskip(SKIP_1) | instid1(SALU_CYCLE_1)
	v_dual_mov_b32 v112, s8 :: v_dual_fmac_f32 v116, v118, v125
	s_or_b32 s6, vcc_lo, s6
	s_and_not1_b32 exec_lo, exec_lo, s6
	s_cbranch_execnz .LBB22_73
; %bb.74:
	s_or_b32 exec_lo, exec_lo, s6
.LBB22_75:
	s_delay_alu instid0(SALU_CYCLE_1) | instskip(SKIP_3) | instid1(VALU_DEP_1)
	s_or_b32 exec_lo, exec_lo, s1
	v_and_b32_e32 v57, 7, v113
	s_mov_b32 s2, 0
	s_mov_b32 s1, exec_lo
	v_cmpx_ne_u32_e32 0, v57
	s_cbranch_execz .LBB22_79
; %bb.76:
	v_lshl_add_u32 v58, v112, 2, 0x60
	v_mov_b32_e32 v113, 0
.LBB22_77:                              ; =>This Inner Loop Header: Depth=1
	v_cmp_eq_u32_e32 vcc_lo, 1, v112
	ds_load_b32 v60, v58
	v_dual_add_nc_u32 v57, -1, v57 :: v_dual_add_nc_u32 v58, 4, v58
	v_cndmask_b32_e32 v59, v34, v35, vcc_lo
	v_cmp_eq_u32_e32 vcc_lo, 2, v112
	s_delay_alu instid0(VALU_DEP_2) | instskip(SKIP_1) | instid1(VALU_DEP_2)
	v_cndmask_b32_e32 v59, v59, v36, vcc_lo
	v_cmp_eq_u32_e32 vcc_lo, 3, v112
	v_cndmask_b32_e32 v59, v59, v37, vcc_lo
	v_cmp_eq_u32_e32 vcc_lo, 4, v112
	s_delay_alu instid0(VALU_DEP_2) | instskip(SKIP_1) | instid1(VALU_DEP_2)
	v_cndmask_b32_e32 v59, v59, v38, vcc_lo
	v_cmp_eq_u32_e32 vcc_lo, 5, v112
	;; [unrolled: 5-line block ×10, first 2 shown]
	v_cndmask_b32_e32 v59, v59, v55, vcc_lo
	v_cmp_eq_u32_e32 vcc_lo, 22, v112
	v_add_nc_u64_e32 v[112:113], 1, v[112:113]
	s_delay_alu instid0(VALU_DEP_3) | instskip(SKIP_2) | instid1(VALU_DEP_2)
	v_cndmask_b32_e32 v59, v59, v56, vcc_lo
	v_cmp_eq_u32_e32 vcc_lo, 0, v57
	s_wait_dscnt 0x0
	v_fmac_f32_e32 v116, v59, v60
	s_or_b32 s2, vcc_lo, s2
	s_delay_alu instid0(SALU_CYCLE_1)
	s_and_not1_b32 exec_lo, exec_lo, s2
	s_cbranch_execnz .LBB22_77
; %bb.78:
	s_or_b32 exec_lo, exec_lo, s2
.LBB22_79:
	s_delay_alu instid0(SALU_CYCLE_1)
	s_or_b32 exec_lo, exec_lo, s1
.LBB22_80:
	s_delay_alu instid0(SALU_CYCLE_1)
	s_or_b32 exec_lo, exec_lo, s5
	v_mov_b32_e32 v50, 0
	ds_load_b32 v50, v50 offset:64
	s_wait_dscnt 0x0
	v_mul_f32_e32 v50, v116, v50
.LBB22_81:
	s_or_b32 exec_lo, exec_lo, s4
	v_cmp_lt_u32_e64 s1, 15, v0
	ds_store_b32 v115, v49
	s_wait_dscnt 0x0
	s_barrier_signal -1
	s_barrier_wait -1
	s_and_saveexec_b32 s4, s1
	s_cbranch_execz .LBB22_97
; %bb.82:
	s_and_not1_b32 vcc_lo, exec_lo, s23
	s_cbranch_vccnz .LBB22_84
; %bb.83:
	v_cmp_eq_u32_e32 vcc_lo, 1, v0
	ds_load_b32 v113, v115
	v_cndmask_b32_e32 v112, v34, v35, vcc_lo
	v_cmp_eq_u32_e32 vcc_lo, 2, v0
	s_delay_alu instid0(VALU_DEP_2) | instskip(SKIP_1) | instid1(VALU_DEP_2)
	v_cndmask_b32_e32 v112, v112, v36, vcc_lo
	v_cmp_eq_u32_e32 vcc_lo, 3, v0
	v_cndmask_b32_e32 v112, v112, v37, vcc_lo
	v_cmp_eq_u32_e32 vcc_lo, 4, v0
	s_delay_alu instid0(VALU_DEP_2) | instskip(SKIP_1) | instid1(VALU_DEP_2)
	v_cndmask_b32_e32 v112, v112, v38, vcc_lo
	v_cmp_eq_u32_e32 vcc_lo, 5, v0
	;; [unrolled: 5-line block ×10, first 2 shown]
	v_cndmask_b32_e32 v112, v112, v55, vcc_lo
	v_cmp_eq_u32_e32 vcc_lo, 22, v0
	s_delay_alu instid0(VALU_DEP_2) | instskip(SKIP_1) | instid1(VALU_DEP_1)
	v_cndmask_b32_e32 v112, v112, v56, vcc_lo
	s_wait_dscnt 0x0
	v_mul_f32_e32 v116, v112, v113
	s_cbranch_execz .LBB22_85
	s_branch .LBB22_86
.LBB22_84:
                                        ; implicit-def: $vgpr116
.LBB22_85:
	ds_load_b32 v116, v115
.LBB22_86:
	s_and_saveexec_b32 s5, s0
	s_cbranch_execz .LBB22_96
; %bb.87:
	v_subrev_nc_u32_e32 v112, 17, v0
	s_delay_alu instid0(VALU_DEP_1)
	v_cmp_lt_u32_e32 vcc_lo, 6, v112
	v_mov_b32_e32 v112, 16
	s_and_saveexec_b32 s0, vcc_lo
	s_cbranch_execz .LBB22_91
; %bb.88:
	v_and_b32_e32 v112, 24, v0
	s_mov_b32 s6, 0
	s_mov_b64 s[2:3], 23
	s_movk_i32 s7, 0xa0
	s_delay_alu instid0(VALU_DEP_1)
	v_sub_nc_u32_e32 v114, 0, v112
.LBB22_89:                              ; =>This Inner Loop Header: Depth=1
	s_add_co_i32 m0, s2, -7
	v_movrels_b32_e32 v113, v34
	v_mov_b32_e32 v112, s7
	s_add_co_i32 m0, s2, -6
	s_add_co_i32 s7, s7, 32
	v_movrels_b32_e32 v117, v34
	s_add_co_i32 m0, s2, -5
	ds_load_b128 v[118:121], v112
	ds_load_b128 v[122:125], v112 offset:16
	v_movrels_b32_e32 v112, v34
	s_add_co_i32 m0, s2, -4
	s_wait_dscnt 0x1
	v_fmac_f32_e32 v116, v113, v118
	v_movrels_b32_e32 v113, v34
	s_add_co_i32 m0, s2, -3
	s_delay_alu instid0(VALU_DEP_2) | instskip(NEXT) | instid1(VALU_DEP_1)
	v_fmac_f32_e32 v116, v117, v119
	v_fmac_f32_e32 v116, v112, v120
	v_movrels_b32_e32 v112, v34
	s_add_co_i32 m0, s2, -2
	s_delay_alu instid0(VALU_DEP_2) | instskip(SKIP_3) | instid1(VALU_DEP_2)
	v_fmac_f32_e32 v116, v113, v121
	v_movrels_b32_e32 v113, v34
	s_add_co_i32 m0, s2, -1
	s_wait_dscnt 0x0
	v_fmac_f32_e32 v116, v112, v122
	v_movrels_b32_e32 v112, v34
	s_mov_b32 m0, s2
	s_add_nc_u64 s[2:3], s[2:3], 8
	v_movrels_b32_e32 v117, v34
	v_dual_fmac_f32 v116, v113, v123 :: v_dual_add_nc_u32 v113, s2, v114
	s_add_co_i32 s8, s2, -7
	s_delay_alu instid0(VALU_DEP_1) | instskip(NEXT) | instid1(VALU_DEP_2)
	v_fmac_f32_e32 v116, v112, v124
	v_cmp_eq_u32_e32 vcc_lo, 7, v113
	s_delay_alu instid0(VALU_DEP_2) | instskip(SKIP_1) | instid1(SALU_CYCLE_1)
	v_dual_mov_b32 v112, s8 :: v_dual_fmac_f32 v116, v117, v125
	s_or_b32 s6, vcc_lo, s6
	s_and_not1_b32 exec_lo, exec_lo, s6
	s_cbranch_execnz .LBB22_89
; %bb.90:
	s_or_b32 exec_lo, exec_lo, s6
.LBB22_91:
	s_delay_alu instid0(SALU_CYCLE_1) | instskip(SKIP_3) | instid1(VALU_DEP_1)
	s_or_b32 exec_lo, exec_lo, s0
	v_and_b32_e32 v57, 7, v0
	s_mov_b32 s2, 0
	s_mov_b32 s0, exec_lo
	v_cmpx_ne_u32_e32 0, v57
	s_cbranch_execz .LBB22_95
; %bb.92:
	v_lshl_add_u32 v58, v112, 2, 0x60
	v_mov_b32_e32 v113, 0
.LBB22_93:                              ; =>This Inner Loop Header: Depth=1
	v_cmp_eq_u32_e32 vcc_lo, 1, v112
	ds_load_b32 v60, v58
	v_dual_add_nc_u32 v57, -1, v57 :: v_dual_add_nc_u32 v58, 4, v58
	v_cndmask_b32_e32 v59, v34, v35, vcc_lo
	v_cmp_eq_u32_e32 vcc_lo, 2, v112
	s_delay_alu instid0(VALU_DEP_2) | instskip(SKIP_1) | instid1(VALU_DEP_2)
	v_cndmask_b32_e32 v59, v59, v36, vcc_lo
	v_cmp_eq_u32_e32 vcc_lo, 3, v112
	v_cndmask_b32_e32 v59, v59, v37, vcc_lo
	v_cmp_eq_u32_e32 vcc_lo, 4, v112
	s_delay_alu instid0(VALU_DEP_2) | instskip(SKIP_1) | instid1(VALU_DEP_2)
	v_cndmask_b32_e32 v59, v59, v38, vcc_lo
	v_cmp_eq_u32_e32 vcc_lo, 5, v112
	;; [unrolled: 5-line block ×10, first 2 shown]
	v_cndmask_b32_e32 v59, v59, v55, vcc_lo
	v_cmp_eq_u32_e32 vcc_lo, 22, v112
	v_add_nc_u64_e32 v[112:113], 1, v[112:113]
	s_delay_alu instid0(VALU_DEP_3) | instskip(SKIP_2) | instid1(VALU_DEP_2)
	v_cndmask_b32_e32 v59, v59, v56, vcc_lo
	v_cmp_eq_u32_e32 vcc_lo, 0, v57
	s_wait_dscnt 0x0
	v_fmac_f32_e32 v116, v59, v60
	s_or_b32 s2, vcc_lo, s2
	s_delay_alu instid0(SALU_CYCLE_1)
	s_and_not1_b32 exec_lo, exec_lo, s2
	s_cbranch_execnz .LBB22_93
; %bb.94:
	s_or_b32 exec_lo, exec_lo, s2
.LBB22_95:
	s_delay_alu instid0(SALU_CYCLE_1)
	s_or_b32 exec_lo, exec_lo, s0
.LBB22_96:
	s_delay_alu instid0(SALU_CYCLE_1)
	s_or_b32 exec_lo, exec_lo, s5
	v_mov_b32_e32 v49, 0
	ds_load_b32 v49, v49 offset:60
	s_wait_dscnt 0x0
	v_mul_f32_e32 v49, v116, v49
.LBB22_97:
	s_or_b32 exec_lo, exec_lo, s4
	v_cmp_lt_u32_e64 s0, 14, v0
	ds_store_b32 v115, v48
	s_wait_dscnt 0x0
	s_barrier_signal -1
	s_barrier_wait -1
	s_and_saveexec_b32 s4, s0
	s_cbranch_execz .LBB22_113
; %bb.98:
	s_and_not1_b32 vcc_lo, exec_lo, s23
	s_cbranch_vccnz .LBB22_100
; %bb.99:
	v_cmp_eq_u32_e32 vcc_lo, 1, v0
	ds_load_b32 v113, v115
	v_cndmask_b32_e32 v112, v34, v35, vcc_lo
	v_cmp_eq_u32_e32 vcc_lo, 2, v0
	s_delay_alu instid0(VALU_DEP_2) | instskip(SKIP_1) | instid1(VALU_DEP_2)
	v_cndmask_b32_e32 v112, v112, v36, vcc_lo
	v_cmp_eq_u32_e32 vcc_lo, 3, v0
	v_cndmask_b32_e32 v112, v112, v37, vcc_lo
	v_cmp_eq_u32_e32 vcc_lo, 4, v0
	s_delay_alu instid0(VALU_DEP_2) | instskip(SKIP_1) | instid1(VALU_DEP_2)
	v_cndmask_b32_e32 v112, v112, v38, vcc_lo
	v_cmp_eq_u32_e32 vcc_lo, 5, v0
	;; [unrolled: 5-line block ×10, first 2 shown]
	v_cndmask_b32_e32 v112, v112, v55, vcc_lo
	v_cmp_eq_u32_e32 vcc_lo, 22, v0
	s_delay_alu instid0(VALU_DEP_2) | instskip(SKIP_1) | instid1(VALU_DEP_1)
	v_cndmask_b32_e32 v112, v112, v56, vcc_lo
	s_wait_dscnt 0x0
	v_mul_f32_e32 v116, v112, v113
	s_cbranch_execz .LBB22_101
	s_branch .LBB22_102
.LBB22_100:
                                        ; implicit-def: $vgpr116
.LBB22_101:
	ds_load_b32 v116, v115
.LBB22_102:
	s_and_saveexec_b32 s5, s1
	s_cbranch_execz .LBB22_112
; %bb.103:
	v_dual_add_nc_u32 v112, -16, v0 :: v_dual_add_nc_u32 v113, -15, v0
	s_delay_alu instid0(VALU_DEP_1)
	v_cmp_lt_u32_e32 vcc_lo, 6, v112
	v_mov_b32_e32 v112, 15
	s_and_saveexec_b32 s1, vcc_lo
	s_cbranch_execz .LBB22_107
; %bb.104:
	v_and_b32_e32 v112, -8, v113
	s_mov_b32 s6, 0
	s_mov_b64 s[2:3], 22
	s_movk_i32 s7, 0x9c
	s_delay_alu instid0(VALU_DEP_1)
	v_sub_nc_u32_e32 v114, 0, v112
.LBB22_105:                             ; =>This Inner Loop Header: Depth=1
	s_add_co_i32 m0, s2, -7
	v_movrels_b32_e32 v117, v34
	v_mov_b32_e32 v112, s7
	s_add_co_i32 m0, s2, -6
	s_add_co_i32 s7, s7, 32
	v_movrels_b32_e32 v126, v34
	ds_load_2addr_b32 v[118:119], v112 offset1:1
	ds_load_2addr_b32 v[120:121], v112 offset0:2 offset1:3
	s_add_co_i32 m0, s2, -5
	s_wait_dscnt 0x1
	v_fmac_f32_e32 v116, v117, v118
	ds_load_2addr_b32 v[122:123], v112 offset0:4 offset1:5
	ds_load_2addr_b32 v[124:125], v112 offset0:6 offset1:7
	v_movrels_b32_e32 v112, v34
	s_add_co_i32 m0, s2, -4
	v_fmac_f32_e32 v116, v126, v119
	v_movrels_b32_e32 v117, v34
	s_add_co_i32 m0, s2, -3
	s_wait_dscnt 0x2
	s_delay_alu instid0(VALU_DEP_2) | instskip(SKIP_2) | instid1(VALU_DEP_2)
	v_fmac_f32_e32 v116, v112, v120
	v_movrels_b32_e32 v112, v34
	s_add_co_i32 m0, s2, -2
	v_fmac_f32_e32 v116, v117, v121
	v_movrels_b32_e32 v117, v34
	s_add_co_i32 m0, s2, -1
	s_wait_dscnt 0x1
	s_delay_alu instid0(VALU_DEP_2)
	v_fmac_f32_e32 v116, v112, v122
	v_movrels_b32_e32 v112, v34
	s_mov_b32 m0, s2
	s_add_nc_u64 s[2:3], s[2:3], 8
	v_movrels_b32_e32 v118, v34
	v_dual_fmac_f32 v116, v117, v123 :: v_dual_add_nc_u32 v117, s2, v114
	s_add_co_i32 s8, s2, -7
	s_wait_dscnt 0x0
	s_delay_alu instid0(VALU_DEP_1) | instskip(NEXT) | instid1(VALU_DEP_2)
	v_fmac_f32_e32 v116, v112, v124
	v_cmp_eq_u32_e32 vcc_lo, 22, v117
	s_delay_alu instid0(VALU_DEP_2) | instskip(SKIP_1) | instid1(SALU_CYCLE_1)
	v_dual_mov_b32 v112, s8 :: v_dual_fmac_f32 v116, v118, v125
	s_or_b32 s6, vcc_lo, s6
	s_and_not1_b32 exec_lo, exec_lo, s6
	s_cbranch_execnz .LBB22_105
; %bb.106:
	s_or_b32 exec_lo, exec_lo, s6
.LBB22_107:
	s_delay_alu instid0(SALU_CYCLE_1) | instskip(SKIP_3) | instid1(VALU_DEP_1)
	s_or_b32 exec_lo, exec_lo, s1
	v_and_b32_e32 v57, 7, v113
	s_mov_b32 s2, 0
	s_mov_b32 s1, exec_lo
	v_cmpx_ne_u32_e32 0, v57
	s_cbranch_execz .LBB22_111
; %bb.108:
	v_lshl_add_u32 v58, v112, 2, 0x60
	v_mov_b32_e32 v113, 0
.LBB22_109:                             ; =>This Inner Loop Header: Depth=1
	v_cmp_eq_u32_e32 vcc_lo, 1, v112
	ds_load_b32 v60, v58
	v_dual_add_nc_u32 v57, -1, v57 :: v_dual_add_nc_u32 v58, 4, v58
	v_cndmask_b32_e32 v59, v34, v35, vcc_lo
	v_cmp_eq_u32_e32 vcc_lo, 2, v112
	s_delay_alu instid0(VALU_DEP_2) | instskip(SKIP_1) | instid1(VALU_DEP_2)
	v_cndmask_b32_e32 v59, v59, v36, vcc_lo
	v_cmp_eq_u32_e32 vcc_lo, 3, v112
	v_cndmask_b32_e32 v59, v59, v37, vcc_lo
	v_cmp_eq_u32_e32 vcc_lo, 4, v112
	s_delay_alu instid0(VALU_DEP_2) | instskip(SKIP_1) | instid1(VALU_DEP_2)
	v_cndmask_b32_e32 v59, v59, v38, vcc_lo
	v_cmp_eq_u32_e32 vcc_lo, 5, v112
	;; [unrolled: 5-line block ×10, first 2 shown]
	v_cndmask_b32_e32 v59, v59, v55, vcc_lo
	v_cmp_eq_u32_e32 vcc_lo, 22, v112
	v_add_nc_u64_e32 v[112:113], 1, v[112:113]
	s_delay_alu instid0(VALU_DEP_3) | instskip(SKIP_2) | instid1(VALU_DEP_2)
	v_cndmask_b32_e32 v59, v59, v56, vcc_lo
	v_cmp_eq_u32_e32 vcc_lo, 0, v57
	s_wait_dscnt 0x0
	v_fmac_f32_e32 v116, v59, v60
	s_or_b32 s2, vcc_lo, s2
	s_delay_alu instid0(SALU_CYCLE_1)
	s_and_not1_b32 exec_lo, exec_lo, s2
	s_cbranch_execnz .LBB22_109
; %bb.110:
	s_or_b32 exec_lo, exec_lo, s2
.LBB22_111:
	s_delay_alu instid0(SALU_CYCLE_1)
	s_or_b32 exec_lo, exec_lo, s1
.LBB22_112:
	s_delay_alu instid0(SALU_CYCLE_1)
	s_or_b32 exec_lo, exec_lo, s5
	v_mov_b32_e32 v48, 0
	ds_load_b32 v48, v48 offset:56
	s_wait_dscnt 0x0
	v_mul_f32_e32 v48, v116, v48
.LBB22_113:
	s_or_b32 exec_lo, exec_lo, s4
	v_cmp_lt_u32_e64 s1, 13, v0
	ds_store_b32 v115, v47
	s_wait_dscnt 0x0
	s_barrier_signal -1
	s_barrier_wait -1
	s_and_saveexec_b32 s4, s1
	s_cbranch_execz .LBB22_129
; %bb.114:
	s_and_not1_b32 vcc_lo, exec_lo, s23
	s_cbranch_vccnz .LBB22_116
; %bb.115:
	v_cmp_eq_u32_e32 vcc_lo, 1, v0
	ds_load_b32 v113, v115
	v_cndmask_b32_e32 v112, v34, v35, vcc_lo
	v_cmp_eq_u32_e32 vcc_lo, 2, v0
	s_delay_alu instid0(VALU_DEP_2) | instskip(SKIP_1) | instid1(VALU_DEP_2)
	v_cndmask_b32_e32 v112, v112, v36, vcc_lo
	v_cmp_eq_u32_e32 vcc_lo, 3, v0
	v_cndmask_b32_e32 v112, v112, v37, vcc_lo
	v_cmp_eq_u32_e32 vcc_lo, 4, v0
	s_delay_alu instid0(VALU_DEP_2) | instskip(SKIP_1) | instid1(VALU_DEP_2)
	v_cndmask_b32_e32 v112, v112, v38, vcc_lo
	v_cmp_eq_u32_e32 vcc_lo, 5, v0
	;; [unrolled: 5-line block ×10, first 2 shown]
	v_cndmask_b32_e32 v112, v112, v55, vcc_lo
	v_cmp_eq_u32_e32 vcc_lo, 22, v0
	s_delay_alu instid0(VALU_DEP_2) | instskip(SKIP_1) | instid1(VALU_DEP_1)
	v_cndmask_b32_e32 v112, v112, v56, vcc_lo
	s_wait_dscnt 0x0
	v_mul_f32_e32 v116, v112, v113
	s_cbranch_execz .LBB22_117
	s_branch .LBB22_118
.LBB22_116:
                                        ; implicit-def: $vgpr116
.LBB22_117:
	ds_load_b32 v116, v115
.LBB22_118:
	s_and_saveexec_b32 s5, s0
	s_cbranch_execz .LBB22_128
; %bb.119:
	v_dual_add_nc_u32 v112, -15, v0 :: v_dual_add_nc_u32 v113, -14, v0
	s_delay_alu instid0(VALU_DEP_1)
	v_cmp_lt_u32_e32 vcc_lo, 6, v112
	v_mov_b32_e32 v112, 14
	s_and_saveexec_b32 s0, vcc_lo
	s_cbranch_execz .LBB22_123
; %bb.120:
	v_and_b32_e32 v112, -8, v113
	s_mov_b32 s6, 0
	s_mov_b64 s[2:3], 21
	s_movk_i32 s7, 0x98
	s_delay_alu instid0(VALU_DEP_1)
	v_sub_nc_u32_e32 v114, 0, v112
.LBB22_121:                             ; =>This Inner Loop Header: Depth=1
	s_add_co_i32 m0, s2, -7
	v_movrels_b32_e32 v117, v34
	v_mov_b32_e32 v112, s7
	s_add_co_i32 m0, s2, -6
	s_add_co_i32 s7, s7, 32
	v_movrels_b32_e32 v126, v34
	s_add_co_i32 m0, s2, -5
	ds_load_2addr_b64 v[118:121], v112 offset1:1
	ds_load_2addr_b64 v[122:125], v112 offset0:2 offset1:3
	v_movrels_b32_e32 v112, v34
	s_add_co_i32 m0, s2, -4
	s_wait_dscnt 0x1
	v_fmac_f32_e32 v116, v117, v118
	v_movrels_b32_e32 v117, v34
	s_add_co_i32 m0, s2, -3
	s_delay_alu instid0(VALU_DEP_2) | instskip(NEXT) | instid1(VALU_DEP_1)
	v_fmac_f32_e32 v116, v126, v119
	v_fmac_f32_e32 v116, v112, v120
	v_movrels_b32_e32 v112, v34
	s_add_co_i32 m0, s2, -2
	s_delay_alu instid0(VALU_DEP_2) | instskip(SKIP_3) | instid1(VALU_DEP_2)
	v_fmac_f32_e32 v116, v117, v121
	v_movrels_b32_e32 v117, v34
	s_add_co_i32 m0, s2, -1
	s_wait_dscnt 0x0
	v_fmac_f32_e32 v116, v112, v122
	v_movrels_b32_e32 v112, v34
	s_mov_b32 m0, s2
	s_add_nc_u64 s[2:3], s[2:3], 8
	v_movrels_b32_e32 v118, v34
	v_dual_fmac_f32 v116, v117, v123 :: v_dual_add_nc_u32 v117, s2, v114
	s_add_co_i32 s8, s2, -7
	s_delay_alu instid0(VALU_DEP_1) | instskip(NEXT) | instid1(VALU_DEP_2)
	v_fmac_f32_e32 v116, v112, v124
	v_cmp_eq_u32_e32 vcc_lo, 21, v117
	s_delay_alu instid0(VALU_DEP_2) | instskip(SKIP_1) | instid1(SALU_CYCLE_1)
	v_dual_mov_b32 v112, s8 :: v_dual_fmac_f32 v116, v118, v125
	s_or_b32 s6, vcc_lo, s6
	s_and_not1_b32 exec_lo, exec_lo, s6
	s_cbranch_execnz .LBB22_121
; %bb.122:
	s_or_b32 exec_lo, exec_lo, s6
.LBB22_123:
	s_delay_alu instid0(SALU_CYCLE_1) | instskip(SKIP_3) | instid1(VALU_DEP_1)
	s_or_b32 exec_lo, exec_lo, s0
	v_and_b32_e32 v57, 7, v113
	s_mov_b32 s2, 0
	s_mov_b32 s0, exec_lo
	v_cmpx_ne_u32_e32 0, v57
	s_cbranch_execz .LBB22_127
; %bb.124:
	v_lshl_add_u32 v58, v112, 2, 0x60
	v_mov_b32_e32 v113, 0
.LBB22_125:                             ; =>This Inner Loop Header: Depth=1
	v_cmp_eq_u32_e32 vcc_lo, 1, v112
	ds_load_b32 v60, v58
	v_dual_add_nc_u32 v57, -1, v57 :: v_dual_add_nc_u32 v58, 4, v58
	v_cndmask_b32_e32 v59, v34, v35, vcc_lo
	v_cmp_eq_u32_e32 vcc_lo, 2, v112
	s_delay_alu instid0(VALU_DEP_2) | instskip(SKIP_1) | instid1(VALU_DEP_2)
	v_cndmask_b32_e32 v59, v59, v36, vcc_lo
	v_cmp_eq_u32_e32 vcc_lo, 3, v112
	v_cndmask_b32_e32 v59, v59, v37, vcc_lo
	v_cmp_eq_u32_e32 vcc_lo, 4, v112
	s_delay_alu instid0(VALU_DEP_2) | instskip(SKIP_1) | instid1(VALU_DEP_2)
	v_cndmask_b32_e32 v59, v59, v38, vcc_lo
	v_cmp_eq_u32_e32 vcc_lo, 5, v112
	;; [unrolled: 5-line block ×10, first 2 shown]
	v_cndmask_b32_e32 v59, v59, v55, vcc_lo
	v_cmp_eq_u32_e32 vcc_lo, 22, v112
	v_add_nc_u64_e32 v[112:113], 1, v[112:113]
	s_delay_alu instid0(VALU_DEP_3) | instskip(SKIP_2) | instid1(VALU_DEP_2)
	v_cndmask_b32_e32 v59, v59, v56, vcc_lo
	v_cmp_eq_u32_e32 vcc_lo, 0, v57
	s_wait_dscnt 0x0
	v_fmac_f32_e32 v116, v59, v60
	s_or_b32 s2, vcc_lo, s2
	s_delay_alu instid0(SALU_CYCLE_1)
	s_and_not1_b32 exec_lo, exec_lo, s2
	s_cbranch_execnz .LBB22_125
; %bb.126:
	s_or_b32 exec_lo, exec_lo, s2
.LBB22_127:
	s_delay_alu instid0(SALU_CYCLE_1)
	s_or_b32 exec_lo, exec_lo, s0
.LBB22_128:
	s_delay_alu instid0(SALU_CYCLE_1)
	s_or_b32 exec_lo, exec_lo, s5
	v_mov_b32_e32 v47, 0
	ds_load_b32 v47, v47 offset:52
	s_wait_dscnt 0x0
	v_mul_f32_e32 v47, v116, v47
.LBB22_129:
	s_or_b32 exec_lo, exec_lo, s4
	v_cmp_lt_u32_e64 s0, 12, v0
	ds_store_b32 v115, v46
	s_wait_dscnt 0x0
	s_barrier_signal -1
	s_barrier_wait -1
	s_and_saveexec_b32 s4, s0
	s_cbranch_execz .LBB22_145
; %bb.130:
	s_and_not1_b32 vcc_lo, exec_lo, s23
	s_cbranch_vccnz .LBB22_132
; %bb.131:
	v_cmp_eq_u32_e32 vcc_lo, 1, v0
	ds_load_b32 v113, v115
	v_cndmask_b32_e32 v112, v34, v35, vcc_lo
	v_cmp_eq_u32_e32 vcc_lo, 2, v0
	s_delay_alu instid0(VALU_DEP_2) | instskip(SKIP_1) | instid1(VALU_DEP_2)
	v_cndmask_b32_e32 v112, v112, v36, vcc_lo
	v_cmp_eq_u32_e32 vcc_lo, 3, v0
	v_cndmask_b32_e32 v112, v112, v37, vcc_lo
	v_cmp_eq_u32_e32 vcc_lo, 4, v0
	s_delay_alu instid0(VALU_DEP_2) | instskip(SKIP_1) | instid1(VALU_DEP_2)
	v_cndmask_b32_e32 v112, v112, v38, vcc_lo
	v_cmp_eq_u32_e32 vcc_lo, 5, v0
	;; [unrolled: 5-line block ×10, first 2 shown]
	v_cndmask_b32_e32 v112, v112, v55, vcc_lo
	v_cmp_eq_u32_e32 vcc_lo, 22, v0
	s_delay_alu instid0(VALU_DEP_2) | instskip(SKIP_1) | instid1(VALU_DEP_1)
	v_cndmask_b32_e32 v112, v112, v56, vcc_lo
	s_wait_dscnt 0x0
	v_mul_f32_e32 v116, v112, v113
	s_cbranch_execz .LBB22_133
	s_branch .LBB22_134
.LBB22_132:
                                        ; implicit-def: $vgpr116
.LBB22_133:
	ds_load_b32 v116, v115
.LBB22_134:
	s_and_saveexec_b32 s5, s1
	s_cbranch_execz .LBB22_144
; %bb.135:
	v_dual_add_nc_u32 v112, -14, v0 :: v_dual_add_nc_u32 v113, -13, v0
	s_delay_alu instid0(VALU_DEP_1)
	v_cmp_lt_u32_e32 vcc_lo, 6, v112
	v_mov_b32_e32 v112, 13
	s_and_saveexec_b32 s1, vcc_lo
	s_cbranch_execz .LBB22_139
; %bb.136:
	v_and_b32_e32 v112, -8, v113
	s_mov_b32 s6, 0
	s_mov_b64 s[2:3], 20
	s_movk_i32 s7, 0x94
	s_delay_alu instid0(VALU_DEP_1)
	v_sub_nc_u32_e32 v114, 0, v112
.LBB22_137:                             ; =>This Inner Loop Header: Depth=1
	s_add_co_i32 m0, s2, -7
	v_movrels_b32_e32 v117, v34
	v_mov_b32_e32 v112, s7
	s_add_co_i32 m0, s2, -6
	s_add_co_i32 s7, s7, 32
	v_movrels_b32_e32 v126, v34
	ds_load_2addr_b32 v[118:119], v112 offset1:1
	ds_load_2addr_b32 v[120:121], v112 offset0:2 offset1:3
	s_add_co_i32 m0, s2, -5
	s_wait_dscnt 0x1
	v_fmac_f32_e32 v116, v117, v118
	ds_load_2addr_b32 v[122:123], v112 offset0:4 offset1:5
	ds_load_2addr_b32 v[124:125], v112 offset0:6 offset1:7
	v_movrels_b32_e32 v112, v34
	s_add_co_i32 m0, s2, -4
	v_fmac_f32_e32 v116, v126, v119
	v_movrels_b32_e32 v117, v34
	s_add_co_i32 m0, s2, -3
	s_wait_dscnt 0x2
	s_delay_alu instid0(VALU_DEP_2) | instskip(SKIP_2) | instid1(VALU_DEP_2)
	v_fmac_f32_e32 v116, v112, v120
	v_movrels_b32_e32 v112, v34
	s_add_co_i32 m0, s2, -2
	v_fmac_f32_e32 v116, v117, v121
	v_movrels_b32_e32 v117, v34
	s_add_co_i32 m0, s2, -1
	s_wait_dscnt 0x1
	s_delay_alu instid0(VALU_DEP_2)
	v_fmac_f32_e32 v116, v112, v122
	v_movrels_b32_e32 v112, v34
	s_mov_b32 m0, s2
	s_add_nc_u64 s[2:3], s[2:3], 8
	v_movrels_b32_e32 v118, v34
	v_dual_fmac_f32 v116, v117, v123 :: v_dual_add_nc_u32 v117, s2, v114
	s_add_co_i32 s8, s2, -7
	s_wait_dscnt 0x0
	s_delay_alu instid0(VALU_DEP_1) | instskip(NEXT) | instid1(VALU_DEP_2)
	v_fmac_f32_e32 v116, v112, v124
	v_cmp_eq_u32_e32 vcc_lo, 20, v117
	s_delay_alu instid0(VALU_DEP_2) | instskip(SKIP_1) | instid1(SALU_CYCLE_1)
	v_dual_mov_b32 v112, s8 :: v_dual_fmac_f32 v116, v118, v125
	s_or_b32 s6, vcc_lo, s6
	s_and_not1_b32 exec_lo, exec_lo, s6
	s_cbranch_execnz .LBB22_137
; %bb.138:
	s_or_b32 exec_lo, exec_lo, s6
.LBB22_139:
	s_delay_alu instid0(SALU_CYCLE_1) | instskip(SKIP_3) | instid1(VALU_DEP_1)
	s_or_b32 exec_lo, exec_lo, s1
	v_and_b32_e32 v57, 7, v113
	s_mov_b32 s2, 0
	s_mov_b32 s1, exec_lo
	v_cmpx_ne_u32_e32 0, v57
	s_cbranch_execz .LBB22_143
; %bb.140:
	v_lshl_add_u32 v58, v112, 2, 0x60
	v_mov_b32_e32 v113, 0
.LBB22_141:                             ; =>This Inner Loop Header: Depth=1
	v_cmp_eq_u32_e32 vcc_lo, 1, v112
	ds_load_b32 v60, v58
	v_dual_add_nc_u32 v57, -1, v57 :: v_dual_add_nc_u32 v58, 4, v58
	v_cndmask_b32_e32 v59, v34, v35, vcc_lo
	v_cmp_eq_u32_e32 vcc_lo, 2, v112
	s_delay_alu instid0(VALU_DEP_2) | instskip(SKIP_1) | instid1(VALU_DEP_2)
	v_cndmask_b32_e32 v59, v59, v36, vcc_lo
	v_cmp_eq_u32_e32 vcc_lo, 3, v112
	v_cndmask_b32_e32 v59, v59, v37, vcc_lo
	v_cmp_eq_u32_e32 vcc_lo, 4, v112
	s_delay_alu instid0(VALU_DEP_2) | instskip(SKIP_1) | instid1(VALU_DEP_2)
	v_cndmask_b32_e32 v59, v59, v38, vcc_lo
	v_cmp_eq_u32_e32 vcc_lo, 5, v112
	;; [unrolled: 5-line block ×10, first 2 shown]
	v_cndmask_b32_e32 v59, v59, v55, vcc_lo
	v_cmp_eq_u32_e32 vcc_lo, 22, v112
	v_add_nc_u64_e32 v[112:113], 1, v[112:113]
	s_delay_alu instid0(VALU_DEP_3) | instskip(SKIP_2) | instid1(VALU_DEP_2)
	v_cndmask_b32_e32 v59, v59, v56, vcc_lo
	v_cmp_eq_u32_e32 vcc_lo, 0, v57
	s_wait_dscnt 0x0
	v_fmac_f32_e32 v116, v59, v60
	s_or_b32 s2, vcc_lo, s2
	s_delay_alu instid0(SALU_CYCLE_1)
	s_and_not1_b32 exec_lo, exec_lo, s2
	s_cbranch_execnz .LBB22_141
; %bb.142:
	s_or_b32 exec_lo, exec_lo, s2
.LBB22_143:
	s_delay_alu instid0(SALU_CYCLE_1)
	s_or_b32 exec_lo, exec_lo, s1
.LBB22_144:
	s_delay_alu instid0(SALU_CYCLE_1)
	s_or_b32 exec_lo, exec_lo, s5
	v_mov_b32_e32 v46, 0
	ds_load_b32 v46, v46 offset:48
	s_wait_dscnt 0x0
	v_mul_f32_e32 v46, v116, v46
.LBB22_145:
	s_or_b32 exec_lo, exec_lo, s4
	v_cmp_lt_u32_e64 s1, 11, v0
	ds_store_b32 v115, v45
	s_wait_dscnt 0x0
	s_barrier_signal -1
	s_barrier_wait -1
	s_and_saveexec_b32 s4, s1
	s_cbranch_execz .LBB22_161
; %bb.146:
	s_and_not1_b32 vcc_lo, exec_lo, s23
	s_cbranch_vccnz .LBB22_148
; %bb.147:
	v_cmp_eq_u32_e32 vcc_lo, 1, v0
	ds_load_b32 v113, v115
	v_cndmask_b32_e32 v112, v34, v35, vcc_lo
	v_cmp_eq_u32_e32 vcc_lo, 2, v0
	s_delay_alu instid0(VALU_DEP_2) | instskip(SKIP_1) | instid1(VALU_DEP_2)
	v_cndmask_b32_e32 v112, v112, v36, vcc_lo
	v_cmp_eq_u32_e32 vcc_lo, 3, v0
	v_cndmask_b32_e32 v112, v112, v37, vcc_lo
	v_cmp_eq_u32_e32 vcc_lo, 4, v0
	s_delay_alu instid0(VALU_DEP_2) | instskip(SKIP_1) | instid1(VALU_DEP_2)
	v_cndmask_b32_e32 v112, v112, v38, vcc_lo
	v_cmp_eq_u32_e32 vcc_lo, 5, v0
	;; [unrolled: 5-line block ×10, first 2 shown]
	v_cndmask_b32_e32 v112, v112, v55, vcc_lo
	v_cmp_eq_u32_e32 vcc_lo, 22, v0
	s_delay_alu instid0(VALU_DEP_2) | instskip(SKIP_1) | instid1(VALU_DEP_1)
	v_cndmask_b32_e32 v112, v112, v56, vcc_lo
	s_wait_dscnt 0x0
	v_mul_f32_e32 v116, v112, v113
	s_cbranch_execz .LBB22_149
	s_branch .LBB22_150
.LBB22_148:
                                        ; implicit-def: $vgpr116
.LBB22_149:
	ds_load_b32 v116, v115
.LBB22_150:
	s_and_saveexec_b32 s5, s0
	s_cbranch_execz .LBB22_160
; %bb.151:
	v_dual_add_nc_u32 v112, -13, v0 :: v_dual_add_nc_u32 v113, -12, v0
	s_delay_alu instid0(VALU_DEP_1)
	v_cmp_lt_u32_e32 vcc_lo, 6, v112
	v_mov_b32_e32 v112, 12
	s_and_saveexec_b32 s0, vcc_lo
	s_cbranch_execz .LBB22_155
; %bb.152:
	v_and_b32_e32 v112, -8, v113
	s_mov_b32 s6, 0
	s_mov_b64 s[2:3], 19
	s_movk_i32 s7, 0x90
	s_delay_alu instid0(VALU_DEP_1)
	v_sub_nc_u32_e32 v114, 0, v112
.LBB22_153:                             ; =>This Inner Loop Header: Depth=1
	s_add_co_i32 m0, s2, -7
	v_movrels_b32_e32 v117, v34
	v_mov_b32_e32 v112, s7
	s_add_co_i32 m0, s2, -6
	s_add_co_i32 s7, s7, 32
	v_movrels_b32_e32 v126, v34
	s_add_co_i32 m0, s2, -5
	ds_load_b128 v[118:121], v112
	ds_load_b128 v[122:125], v112 offset:16
	v_movrels_b32_e32 v112, v34
	s_add_co_i32 m0, s2, -4
	s_wait_dscnt 0x1
	v_fmac_f32_e32 v116, v117, v118
	v_movrels_b32_e32 v117, v34
	s_add_co_i32 m0, s2, -3
	s_delay_alu instid0(VALU_DEP_2) | instskip(NEXT) | instid1(VALU_DEP_1)
	v_fmac_f32_e32 v116, v126, v119
	v_fmac_f32_e32 v116, v112, v120
	v_movrels_b32_e32 v112, v34
	s_add_co_i32 m0, s2, -2
	s_delay_alu instid0(VALU_DEP_2) | instskip(SKIP_3) | instid1(VALU_DEP_2)
	v_fmac_f32_e32 v116, v117, v121
	v_movrels_b32_e32 v117, v34
	s_add_co_i32 m0, s2, -1
	s_wait_dscnt 0x0
	v_fmac_f32_e32 v116, v112, v122
	v_movrels_b32_e32 v112, v34
	s_mov_b32 m0, s2
	s_add_nc_u64 s[2:3], s[2:3], 8
	v_movrels_b32_e32 v118, v34
	v_dual_fmac_f32 v116, v117, v123 :: v_dual_add_nc_u32 v117, s2, v114
	s_add_co_i32 s8, s2, -7
	s_delay_alu instid0(VALU_DEP_1) | instskip(NEXT) | instid1(VALU_DEP_2)
	v_fmac_f32_e32 v116, v112, v124
	v_cmp_eq_u32_e32 vcc_lo, 19, v117
	s_delay_alu instid0(VALU_DEP_2) | instskip(SKIP_1) | instid1(SALU_CYCLE_1)
	v_dual_mov_b32 v112, s8 :: v_dual_fmac_f32 v116, v118, v125
	s_or_b32 s6, vcc_lo, s6
	s_and_not1_b32 exec_lo, exec_lo, s6
	s_cbranch_execnz .LBB22_153
; %bb.154:
	s_or_b32 exec_lo, exec_lo, s6
.LBB22_155:
	s_delay_alu instid0(SALU_CYCLE_1) | instskip(SKIP_3) | instid1(VALU_DEP_1)
	s_or_b32 exec_lo, exec_lo, s0
	v_and_b32_e32 v57, 7, v113
	s_mov_b32 s2, 0
	s_mov_b32 s0, exec_lo
	v_cmpx_ne_u32_e32 0, v57
	s_cbranch_execz .LBB22_159
; %bb.156:
	v_lshl_add_u32 v58, v112, 2, 0x60
	v_mov_b32_e32 v113, 0
.LBB22_157:                             ; =>This Inner Loop Header: Depth=1
	v_cmp_eq_u32_e32 vcc_lo, 1, v112
	ds_load_b32 v60, v58
	v_dual_add_nc_u32 v57, -1, v57 :: v_dual_add_nc_u32 v58, 4, v58
	v_cndmask_b32_e32 v59, v34, v35, vcc_lo
	v_cmp_eq_u32_e32 vcc_lo, 2, v112
	s_delay_alu instid0(VALU_DEP_2) | instskip(SKIP_1) | instid1(VALU_DEP_2)
	v_cndmask_b32_e32 v59, v59, v36, vcc_lo
	v_cmp_eq_u32_e32 vcc_lo, 3, v112
	v_cndmask_b32_e32 v59, v59, v37, vcc_lo
	v_cmp_eq_u32_e32 vcc_lo, 4, v112
	s_delay_alu instid0(VALU_DEP_2) | instskip(SKIP_1) | instid1(VALU_DEP_2)
	v_cndmask_b32_e32 v59, v59, v38, vcc_lo
	v_cmp_eq_u32_e32 vcc_lo, 5, v112
	;; [unrolled: 5-line block ×10, first 2 shown]
	v_cndmask_b32_e32 v59, v59, v55, vcc_lo
	v_cmp_eq_u32_e32 vcc_lo, 22, v112
	v_add_nc_u64_e32 v[112:113], 1, v[112:113]
	s_delay_alu instid0(VALU_DEP_3) | instskip(SKIP_2) | instid1(VALU_DEP_2)
	v_cndmask_b32_e32 v59, v59, v56, vcc_lo
	v_cmp_eq_u32_e32 vcc_lo, 0, v57
	s_wait_dscnt 0x0
	v_fmac_f32_e32 v116, v59, v60
	s_or_b32 s2, vcc_lo, s2
	s_delay_alu instid0(SALU_CYCLE_1)
	s_and_not1_b32 exec_lo, exec_lo, s2
	s_cbranch_execnz .LBB22_157
; %bb.158:
	s_or_b32 exec_lo, exec_lo, s2
.LBB22_159:
	s_delay_alu instid0(SALU_CYCLE_1)
	s_or_b32 exec_lo, exec_lo, s0
.LBB22_160:
	s_delay_alu instid0(SALU_CYCLE_1)
	s_or_b32 exec_lo, exec_lo, s5
	v_mov_b32_e32 v45, 0
	ds_load_b32 v45, v45 offset:44
	s_wait_dscnt 0x0
	v_mul_f32_e32 v45, v116, v45
.LBB22_161:
	s_or_b32 exec_lo, exec_lo, s4
	v_cmp_lt_u32_e64 s0, 10, v0
	ds_store_b32 v115, v44
	s_wait_dscnt 0x0
	s_barrier_signal -1
	s_barrier_wait -1
	s_and_saveexec_b32 s4, s0
	s_cbranch_execz .LBB22_177
; %bb.162:
	s_and_not1_b32 vcc_lo, exec_lo, s23
	s_cbranch_vccnz .LBB22_164
; %bb.163:
	v_cmp_eq_u32_e32 vcc_lo, 1, v0
	ds_load_b32 v113, v115
	v_cndmask_b32_e32 v112, v34, v35, vcc_lo
	v_cmp_eq_u32_e32 vcc_lo, 2, v0
	s_delay_alu instid0(VALU_DEP_2) | instskip(SKIP_1) | instid1(VALU_DEP_2)
	v_cndmask_b32_e32 v112, v112, v36, vcc_lo
	v_cmp_eq_u32_e32 vcc_lo, 3, v0
	v_cndmask_b32_e32 v112, v112, v37, vcc_lo
	v_cmp_eq_u32_e32 vcc_lo, 4, v0
	s_delay_alu instid0(VALU_DEP_2) | instskip(SKIP_1) | instid1(VALU_DEP_2)
	v_cndmask_b32_e32 v112, v112, v38, vcc_lo
	v_cmp_eq_u32_e32 vcc_lo, 5, v0
	v_cndmask_b32_e32 v112, v112, v39, vcc_lo
	v_cmp_eq_u32_e32 vcc_lo, 6, v0
	s_delay_alu instid0(VALU_DEP_2) | instskip(SKIP_1) | instid1(VALU_DEP_2)
	v_cndmask_b32_e32 v112, v112, v40, vcc_lo
	v_cmp_eq_u32_e32 vcc_lo, 7, v0
	v_cndmask_b32_e32 v112, v112, v41, vcc_lo
	v_cmp_eq_u32_e32 vcc_lo, 8, v0
	s_delay_alu instid0(VALU_DEP_2) | instskip(SKIP_1) | instid1(VALU_DEP_2)
	v_cndmask_b32_e32 v112, v112, v42, vcc_lo
	v_cmp_eq_u32_e32 vcc_lo, 9, v0
	v_cndmask_b32_e32 v112, v112, v43, vcc_lo
	v_cmp_eq_u32_e32 vcc_lo, 10, v0
	s_delay_alu instid0(VALU_DEP_2) | instskip(SKIP_1) | instid1(VALU_DEP_2)
	v_cndmask_b32_e32 v112, v112, v44, vcc_lo
	v_cmp_eq_u32_e32 vcc_lo, 11, v0
	v_cndmask_b32_e32 v112, v112, v45, vcc_lo
	v_cmp_eq_u32_e32 vcc_lo, 12, v0
	s_delay_alu instid0(VALU_DEP_2) | instskip(SKIP_1) | instid1(VALU_DEP_2)
	v_cndmask_b32_e32 v112, v112, v46, vcc_lo
	v_cmp_eq_u32_e32 vcc_lo, 13, v0
	v_cndmask_b32_e32 v112, v112, v47, vcc_lo
	v_cmp_eq_u32_e32 vcc_lo, 14, v0
	s_delay_alu instid0(VALU_DEP_2) | instskip(SKIP_1) | instid1(VALU_DEP_2)
	v_cndmask_b32_e32 v112, v112, v48, vcc_lo
	v_cmp_eq_u32_e32 vcc_lo, 15, v0
	v_cndmask_b32_e32 v112, v112, v49, vcc_lo
	v_cmp_eq_u32_e32 vcc_lo, 16, v0
	s_delay_alu instid0(VALU_DEP_2) | instskip(SKIP_1) | instid1(VALU_DEP_2)
	v_cndmask_b32_e32 v112, v112, v50, vcc_lo
	v_cmp_eq_u32_e32 vcc_lo, 17, v0
	v_cndmask_b32_e32 v112, v112, v51, vcc_lo
	v_cmp_eq_u32_e32 vcc_lo, 18, v0
	s_delay_alu instid0(VALU_DEP_2) | instskip(SKIP_1) | instid1(VALU_DEP_2)
	v_cndmask_b32_e32 v112, v112, v52, vcc_lo
	v_cmp_eq_u32_e32 vcc_lo, 19, v0
	v_cndmask_b32_e32 v112, v112, v53, vcc_lo
	v_cmp_eq_u32_e32 vcc_lo, 20, v0
	s_delay_alu instid0(VALU_DEP_2) | instskip(SKIP_1) | instid1(VALU_DEP_2)
	v_cndmask_b32_e32 v112, v112, v54, vcc_lo
	v_cmp_eq_u32_e32 vcc_lo, 21, v0
	v_cndmask_b32_e32 v112, v112, v55, vcc_lo
	v_cmp_eq_u32_e32 vcc_lo, 22, v0
	s_delay_alu instid0(VALU_DEP_2) | instskip(SKIP_1) | instid1(VALU_DEP_1)
	v_cndmask_b32_e32 v112, v112, v56, vcc_lo
	s_wait_dscnt 0x0
	v_mul_f32_e32 v116, v112, v113
	s_cbranch_execz .LBB22_165
	s_branch .LBB22_166
.LBB22_164:
                                        ; implicit-def: $vgpr116
.LBB22_165:
	ds_load_b32 v116, v115
.LBB22_166:
	s_and_saveexec_b32 s5, s1
	s_cbranch_execz .LBB22_176
; %bb.167:
	v_dual_add_nc_u32 v112, -12, v0 :: v_dual_add_nc_u32 v113, -11, v0
	s_delay_alu instid0(VALU_DEP_1)
	v_cmp_lt_u32_e32 vcc_lo, 6, v112
	v_mov_b32_e32 v112, 11
	s_and_saveexec_b32 s1, vcc_lo
	s_cbranch_execz .LBB22_171
; %bb.168:
	v_and_b32_e32 v112, -8, v113
	s_mov_b32 s6, 0
	s_mov_b64 s[2:3], 18
	s_movk_i32 s7, 0x8c
	s_delay_alu instid0(VALU_DEP_1)
	v_sub_nc_u32_e32 v114, 0, v112
.LBB22_169:                             ; =>This Inner Loop Header: Depth=1
	s_add_co_i32 m0, s2, -7
	v_movrels_b32_e32 v117, v34
	v_mov_b32_e32 v112, s7
	s_add_co_i32 m0, s2, -6
	s_add_co_i32 s7, s7, 32
	v_movrels_b32_e32 v126, v34
	ds_load_2addr_b32 v[118:119], v112 offset1:1
	ds_load_2addr_b32 v[120:121], v112 offset0:2 offset1:3
	s_add_co_i32 m0, s2, -5
	s_wait_dscnt 0x1
	v_fmac_f32_e32 v116, v117, v118
	ds_load_2addr_b32 v[122:123], v112 offset0:4 offset1:5
	ds_load_2addr_b32 v[124:125], v112 offset0:6 offset1:7
	v_movrels_b32_e32 v112, v34
	s_add_co_i32 m0, s2, -4
	v_fmac_f32_e32 v116, v126, v119
	v_movrels_b32_e32 v117, v34
	s_add_co_i32 m0, s2, -3
	s_wait_dscnt 0x2
	s_delay_alu instid0(VALU_DEP_2) | instskip(SKIP_2) | instid1(VALU_DEP_2)
	v_fmac_f32_e32 v116, v112, v120
	v_movrels_b32_e32 v112, v34
	s_add_co_i32 m0, s2, -2
	v_fmac_f32_e32 v116, v117, v121
	v_movrels_b32_e32 v117, v34
	s_add_co_i32 m0, s2, -1
	s_wait_dscnt 0x1
	s_delay_alu instid0(VALU_DEP_2)
	v_fmac_f32_e32 v116, v112, v122
	v_movrels_b32_e32 v112, v34
	s_mov_b32 m0, s2
	s_add_nc_u64 s[2:3], s[2:3], 8
	v_movrels_b32_e32 v118, v34
	v_dual_fmac_f32 v116, v117, v123 :: v_dual_add_nc_u32 v117, s2, v114
	s_add_co_i32 s8, s2, -7
	s_wait_dscnt 0x0
	s_delay_alu instid0(VALU_DEP_1) | instskip(NEXT) | instid1(VALU_DEP_2)
	v_fmac_f32_e32 v116, v112, v124
	v_cmp_eq_u32_e32 vcc_lo, 18, v117
	s_delay_alu instid0(VALU_DEP_2) | instskip(SKIP_1) | instid1(SALU_CYCLE_1)
	v_dual_mov_b32 v112, s8 :: v_dual_fmac_f32 v116, v118, v125
	s_or_b32 s6, vcc_lo, s6
	s_and_not1_b32 exec_lo, exec_lo, s6
	s_cbranch_execnz .LBB22_169
; %bb.170:
	s_or_b32 exec_lo, exec_lo, s6
.LBB22_171:
	s_delay_alu instid0(SALU_CYCLE_1) | instskip(SKIP_3) | instid1(VALU_DEP_1)
	s_or_b32 exec_lo, exec_lo, s1
	v_and_b32_e32 v57, 7, v113
	s_mov_b32 s2, 0
	s_mov_b32 s1, exec_lo
	v_cmpx_ne_u32_e32 0, v57
	s_cbranch_execz .LBB22_175
; %bb.172:
	v_lshl_add_u32 v58, v112, 2, 0x60
	v_mov_b32_e32 v113, 0
.LBB22_173:                             ; =>This Inner Loop Header: Depth=1
	v_cmp_eq_u32_e32 vcc_lo, 1, v112
	ds_load_b32 v60, v58
	v_dual_add_nc_u32 v57, -1, v57 :: v_dual_add_nc_u32 v58, 4, v58
	v_cndmask_b32_e32 v59, v34, v35, vcc_lo
	v_cmp_eq_u32_e32 vcc_lo, 2, v112
	s_delay_alu instid0(VALU_DEP_2) | instskip(SKIP_1) | instid1(VALU_DEP_2)
	v_cndmask_b32_e32 v59, v59, v36, vcc_lo
	v_cmp_eq_u32_e32 vcc_lo, 3, v112
	v_cndmask_b32_e32 v59, v59, v37, vcc_lo
	v_cmp_eq_u32_e32 vcc_lo, 4, v112
	s_delay_alu instid0(VALU_DEP_2) | instskip(SKIP_1) | instid1(VALU_DEP_2)
	v_cndmask_b32_e32 v59, v59, v38, vcc_lo
	v_cmp_eq_u32_e32 vcc_lo, 5, v112
	;; [unrolled: 5-line block ×10, first 2 shown]
	v_cndmask_b32_e32 v59, v59, v55, vcc_lo
	v_cmp_eq_u32_e32 vcc_lo, 22, v112
	v_add_nc_u64_e32 v[112:113], 1, v[112:113]
	s_delay_alu instid0(VALU_DEP_3) | instskip(SKIP_2) | instid1(VALU_DEP_2)
	v_cndmask_b32_e32 v59, v59, v56, vcc_lo
	v_cmp_eq_u32_e32 vcc_lo, 0, v57
	s_wait_dscnt 0x0
	v_fmac_f32_e32 v116, v59, v60
	s_or_b32 s2, vcc_lo, s2
	s_delay_alu instid0(SALU_CYCLE_1)
	s_and_not1_b32 exec_lo, exec_lo, s2
	s_cbranch_execnz .LBB22_173
; %bb.174:
	s_or_b32 exec_lo, exec_lo, s2
.LBB22_175:
	s_delay_alu instid0(SALU_CYCLE_1)
	s_or_b32 exec_lo, exec_lo, s1
.LBB22_176:
	s_delay_alu instid0(SALU_CYCLE_1)
	s_or_b32 exec_lo, exec_lo, s5
	v_mov_b32_e32 v44, 0
	ds_load_b32 v44, v44 offset:40
	s_wait_dscnt 0x0
	v_mul_f32_e32 v44, v116, v44
.LBB22_177:
	s_or_b32 exec_lo, exec_lo, s4
	v_cmp_lt_u32_e64 s1, 9, v0
	ds_store_b32 v115, v43
	s_wait_dscnt 0x0
	s_barrier_signal -1
	s_barrier_wait -1
	s_and_saveexec_b32 s4, s1
	s_cbranch_execz .LBB22_193
; %bb.178:
	s_and_not1_b32 vcc_lo, exec_lo, s23
	s_cbranch_vccnz .LBB22_180
; %bb.179:
	v_cmp_eq_u32_e32 vcc_lo, 1, v0
	ds_load_b32 v113, v115
	v_cndmask_b32_e32 v112, v34, v35, vcc_lo
	v_cmp_eq_u32_e32 vcc_lo, 2, v0
	s_delay_alu instid0(VALU_DEP_2) | instskip(SKIP_1) | instid1(VALU_DEP_2)
	v_cndmask_b32_e32 v112, v112, v36, vcc_lo
	v_cmp_eq_u32_e32 vcc_lo, 3, v0
	v_cndmask_b32_e32 v112, v112, v37, vcc_lo
	v_cmp_eq_u32_e32 vcc_lo, 4, v0
	s_delay_alu instid0(VALU_DEP_2) | instskip(SKIP_1) | instid1(VALU_DEP_2)
	v_cndmask_b32_e32 v112, v112, v38, vcc_lo
	v_cmp_eq_u32_e32 vcc_lo, 5, v0
	;; [unrolled: 5-line block ×10, first 2 shown]
	v_cndmask_b32_e32 v112, v112, v55, vcc_lo
	v_cmp_eq_u32_e32 vcc_lo, 22, v0
	s_delay_alu instid0(VALU_DEP_2) | instskip(SKIP_1) | instid1(VALU_DEP_1)
	v_cndmask_b32_e32 v112, v112, v56, vcc_lo
	s_wait_dscnt 0x0
	v_mul_f32_e32 v116, v112, v113
	s_cbranch_execz .LBB22_181
	s_branch .LBB22_182
.LBB22_180:
                                        ; implicit-def: $vgpr116
.LBB22_181:
	ds_load_b32 v116, v115
.LBB22_182:
	s_and_saveexec_b32 s5, s0
	s_cbranch_execz .LBB22_192
; %bb.183:
	v_dual_add_nc_u32 v112, -11, v0 :: v_dual_add_nc_u32 v113, -10, v0
	s_delay_alu instid0(VALU_DEP_1)
	v_cmp_lt_u32_e32 vcc_lo, 6, v112
	v_mov_b32_e32 v112, 10
	s_and_saveexec_b32 s0, vcc_lo
	s_cbranch_execz .LBB22_187
; %bb.184:
	v_and_b32_e32 v112, -8, v113
	s_mov_b32 s6, 0
	s_mov_b64 s[2:3], 17
	s_movk_i32 s7, 0x88
	s_delay_alu instid0(VALU_DEP_1)
	v_sub_nc_u32_e32 v114, 0, v112
.LBB22_185:                             ; =>This Inner Loop Header: Depth=1
	s_add_co_i32 m0, s2, -7
	v_movrels_b32_e32 v117, v34
	v_mov_b32_e32 v112, s7
	s_add_co_i32 m0, s2, -6
	s_add_co_i32 s7, s7, 32
	v_movrels_b32_e32 v126, v34
	s_add_co_i32 m0, s2, -5
	ds_load_2addr_b64 v[118:121], v112 offset1:1
	ds_load_2addr_b64 v[122:125], v112 offset0:2 offset1:3
	v_movrels_b32_e32 v112, v34
	s_add_co_i32 m0, s2, -4
	s_wait_dscnt 0x1
	v_fmac_f32_e32 v116, v117, v118
	v_movrels_b32_e32 v117, v34
	s_add_co_i32 m0, s2, -3
	s_delay_alu instid0(VALU_DEP_2) | instskip(NEXT) | instid1(VALU_DEP_1)
	v_fmac_f32_e32 v116, v126, v119
	v_fmac_f32_e32 v116, v112, v120
	v_movrels_b32_e32 v112, v34
	s_add_co_i32 m0, s2, -2
	s_delay_alu instid0(VALU_DEP_2) | instskip(SKIP_3) | instid1(VALU_DEP_2)
	v_fmac_f32_e32 v116, v117, v121
	v_movrels_b32_e32 v117, v34
	s_add_co_i32 m0, s2, -1
	s_wait_dscnt 0x0
	v_fmac_f32_e32 v116, v112, v122
	v_movrels_b32_e32 v112, v34
	s_mov_b32 m0, s2
	s_add_nc_u64 s[2:3], s[2:3], 8
	v_movrels_b32_e32 v118, v34
	v_dual_fmac_f32 v116, v117, v123 :: v_dual_add_nc_u32 v117, s2, v114
	s_add_co_i32 s8, s2, -7
	s_delay_alu instid0(VALU_DEP_1) | instskip(NEXT) | instid1(VALU_DEP_2)
	v_fmac_f32_e32 v116, v112, v124
	v_cmp_eq_u32_e32 vcc_lo, 17, v117
	s_delay_alu instid0(VALU_DEP_2) | instskip(SKIP_1) | instid1(SALU_CYCLE_1)
	v_dual_mov_b32 v112, s8 :: v_dual_fmac_f32 v116, v118, v125
	s_or_b32 s6, vcc_lo, s6
	s_and_not1_b32 exec_lo, exec_lo, s6
	s_cbranch_execnz .LBB22_185
; %bb.186:
	s_or_b32 exec_lo, exec_lo, s6
.LBB22_187:
	s_delay_alu instid0(SALU_CYCLE_1) | instskip(SKIP_3) | instid1(VALU_DEP_1)
	s_or_b32 exec_lo, exec_lo, s0
	v_and_b32_e32 v57, 7, v113
	s_mov_b32 s2, 0
	s_mov_b32 s0, exec_lo
	v_cmpx_ne_u32_e32 0, v57
	s_cbranch_execz .LBB22_191
; %bb.188:
	v_lshl_add_u32 v58, v112, 2, 0x60
	v_mov_b32_e32 v113, 0
.LBB22_189:                             ; =>This Inner Loop Header: Depth=1
	v_cmp_eq_u32_e32 vcc_lo, 1, v112
	ds_load_b32 v60, v58
	v_dual_add_nc_u32 v57, -1, v57 :: v_dual_add_nc_u32 v58, 4, v58
	v_cndmask_b32_e32 v59, v34, v35, vcc_lo
	v_cmp_eq_u32_e32 vcc_lo, 2, v112
	s_delay_alu instid0(VALU_DEP_2) | instskip(SKIP_1) | instid1(VALU_DEP_2)
	v_cndmask_b32_e32 v59, v59, v36, vcc_lo
	v_cmp_eq_u32_e32 vcc_lo, 3, v112
	v_cndmask_b32_e32 v59, v59, v37, vcc_lo
	v_cmp_eq_u32_e32 vcc_lo, 4, v112
	s_delay_alu instid0(VALU_DEP_2) | instskip(SKIP_1) | instid1(VALU_DEP_2)
	v_cndmask_b32_e32 v59, v59, v38, vcc_lo
	v_cmp_eq_u32_e32 vcc_lo, 5, v112
	;; [unrolled: 5-line block ×10, first 2 shown]
	v_cndmask_b32_e32 v59, v59, v55, vcc_lo
	v_cmp_eq_u32_e32 vcc_lo, 22, v112
	v_add_nc_u64_e32 v[112:113], 1, v[112:113]
	s_delay_alu instid0(VALU_DEP_3) | instskip(SKIP_2) | instid1(VALU_DEP_2)
	v_cndmask_b32_e32 v59, v59, v56, vcc_lo
	v_cmp_eq_u32_e32 vcc_lo, 0, v57
	s_wait_dscnt 0x0
	v_fmac_f32_e32 v116, v59, v60
	s_or_b32 s2, vcc_lo, s2
	s_delay_alu instid0(SALU_CYCLE_1)
	s_and_not1_b32 exec_lo, exec_lo, s2
	s_cbranch_execnz .LBB22_189
; %bb.190:
	s_or_b32 exec_lo, exec_lo, s2
.LBB22_191:
	s_delay_alu instid0(SALU_CYCLE_1)
	s_or_b32 exec_lo, exec_lo, s0
.LBB22_192:
	s_delay_alu instid0(SALU_CYCLE_1)
	s_or_b32 exec_lo, exec_lo, s5
	v_mov_b32_e32 v43, 0
	ds_load_b32 v43, v43 offset:36
	s_wait_dscnt 0x0
	v_mul_f32_e32 v43, v116, v43
.LBB22_193:
	s_or_b32 exec_lo, exec_lo, s4
	v_cmp_lt_u32_e64 s0, 8, v0
	ds_store_b32 v115, v42
	s_wait_dscnt 0x0
	s_barrier_signal -1
	s_barrier_wait -1
	s_and_saveexec_b32 s4, s0
	s_cbranch_execz .LBB22_209
; %bb.194:
	s_and_not1_b32 vcc_lo, exec_lo, s23
	s_cbranch_vccnz .LBB22_196
; %bb.195:
	v_cmp_eq_u32_e32 vcc_lo, 1, v0
	ds_load_b32 v113, v115
	v_cndmask_b32_e32 v112, v34, v35, vcc_lo
	v_cmp_eq_u32_e32 vcc_lo, 2, v0
	s_delay_alu instid0(VALU_DEP_2) | instskip(SKIP_1) | instid1(VALU_DEP_2)
	v_cndmask_b32_e32 v112, v112, v36, vcc_lo
	v_cmp_eq_u32_e32 vcc_lo, 3, v0
	v_cndmask_b32_e32 v112, v112, v37, vcc_lo
	v_cmp_eq_u32_e32 vcc_lo, 4, v0
	s_delay_alu instid0(VALU_DEP_2) | instskip(SKIP_1) | instid1(VALU_DEP_2)
	v_cndmask_b32_e32 v112, v112, v38, vcc_lo
	v_cmp_eq_u32_e32 vcc_lo, 5, v0
	;; [unrolled: 5-line block ×10, first 2 shown]
	v_cndmask_b32_e32 v112, v112, v55, vcc_lo
	v_cmp_eq_u32_e32 vcc_lo, 22, v0
	s_delay_alu instid0(VALU_DEP_2) | instskip(SKIP_1) | instid1(VALU_DEP_1)
	v_cndmask_b32_e32 v112, v112, v56, vcc_lo
	s_wait_dscnt 0x0
	v_mul_f32_e32 v116, v112, v113
	s_cbranch_execz .LBB22_197
	s_branch .LBB22_198
.LBB22_196:
                                        ; implicit-def: $vgpr116
.LBB22_197:
	ds_load_b32 v116, v115
.LBB22_198:
	s_and_saveexec_b32 s5, s1
	s_cbranch_execz .LBB22_208
; %bb.199:
	v_dual_add_nc_u32 v112, -10, v0 :: v_dual_add_nc_u32 v113, -9, v0
	s_delay_alu instid0(VALU_DEP_1)
	v_cmp_lt_u32_e32 vcc_lo, 6, v112
	v_mov_b32_e32 v112, 9
	s_and_saveexec_b32 s1, vcc_lo
	s_cbranch_execz .LBB22_203
; %bb.200:
	v_and_b32_e32 v112, -8, v113
	s_mov_b32 s6, 0
	s_mov_b64 s[2:3], 16
	s_movk_i32 s7, 0x84
	s_delay_alu instid0(VALU_DEP_1)
	v_sub_nc_u32_e32 v114, 0, v112
.LBB22_201:                             ; =>This Inner Loop Header: Depth=1
	s_add_co_i32 m0, s2, -7
	v_movrels_b32_e32 v117, v34
	v_mov_b32_e32 v112, s7
	s_add_co_i32 m0, s2, -6
	s_add_co_i32 s7, s7, 32
	v_movrels_b32_e32 v126, v34
	ds_load_2addr_b32 v[118:119], v112 offset1:1
	ds_load_2addr_b32 v[120:121], v112 offset0:2 offset1:3
	s_add_co_i32 m0, s2, -5
	s_wait_dscnt 0x1
	v_fmac_f32_e32 v116, v117, v118
	ds_load_2addr_b32 v[122:123], v112 offset0:4 offset1:5
	ds_load_2addr_b32 v[124:125], v112 offset0:6 offset1:7
	v_movrels_b32_e32 v112, v34
	s_add_co_i32 m0, s2, -4
	v_fmac_f32_e32 v116, v126, v119
	v_movrels_b32_e32 v117, v34
	s_add_co_i32 m0, s2, -3
	s_wait_dscnt 0x2
	s_delay_alu instid0(VALU_DEP_2) | instskip(SKIP_2) | instid1(VALU_DEP_2)
	v_fmac_f32_e32 v116, v112, v120
	v_movrels_b32_e32 v112, v34
	s_add_co_i32 m0, s2, -2
	v_fmac_f32_e32 v116, v117, v121
	v_movrels_b32_e32 v117, v34
	s_add_co_i32 m0, s2, -1
	s_wait_dscnt 0x1
	s_delay_alu instid0(VALU_DEP_2)
	v_fmac_f32_e32 v116, v112, v122
	v_movrels_b32_e32 v112, v34
	s_mov_b32 m0, s2
	s_add_nc_u64 s[2:3], s[2:3], 8
	v_movrels_b32_e32 v118, v34
	v_dual_fmac_f32 v116, v117, v123 :: v_dual_add_nc_u32 v117, s2, v114
	s_add_co_i32 s8, s2, -7
	s_wait_dscnt 0x0
	s_delay_alu instid0(VALU_DEP_1) | instskip(NEXT) | instid1(VALU_DEP_2)
	v_fmac_f32_e32 v116, v112, v124
	v_cmp_eq_u32_e32 vcc_lo, 16, v117
	s_delay_alu instid0(VALU_DEP_2) | instskip(SKIP_1) | instid1(SALU_CYCLE_1)
	v_dual_mov_b32 v112, s8 :: v_dual_fmac_f32 v116, v118, v125
	s_or_b32 s6, vcc_lo, s6
	s_and_not1_b32 exec_lo, exec_lo, s6
	s_cbranch_execnz .LBB22_201
; %bb.202:
	s_or_b32 exec_lo, exec_lo, s6
.LBB22_203:
	s_delay_alu instid0(SALU_CYCLE_1) | instskip(SKIP_3) | instid1(VALU_DEP_1)
	s_or_b32 exec_lo, exec_lo, s1
	v_and_b32_e32 v57, 7, v113
	s_mov_b32 s2, 0
	s_mov_b32 s1, exec_lo
	v_cmpx_ne_u32_e32 0, v57
	s_cbranch_execz .LBB22_207
; %bb.204:
	v_lshl_add_u32 v58, v112, 2, 0x60
	v_mov_b32_e32 v113, 0
.LBB22_205:                             ; =>This Inner Loop Header: Depth=1
	v_cmp_eq_u32_e32 vcc_lo, 1, v112
	ds_load_b32 v60, v58
	v_dual_add_nc_u32 v57, -1, v57 :: v_dual_add_nc_u32 v58, 4, v58
	v_cndmask_b32_e32 v59, v34, v35, vcc_lo
	v_cmp_eq_u32_e32 vcc_lo, 2, v112
	s_delay_alu instid0(VALU_DEP_2) | instskip(SKIP_1) | instid1(VALU_DEP_2)
	v_cndmask_b32_e32 v59, v59, v36, vcc_lo
	v_cmp_eq_u32_e32 vcc_lo, 3, v112
	v_cndmask_b32_e32 v59, v59, v37, vcc_lo
	v_cmp_eq_u32_e32 vcc_lo, 4, v112
	s_delay_alu instid0(VALU_DEP_2) | instskip(SKIP_1) | instid1(VALU_DEP_2)
	v_cndmask_b32_e32 v59, v59, v38, vcc_lo
	v_cmp_eq_u32_e32 vcc_lo, 5, v112
	v_cndmask_b32_e32 v59, v59, v39, vcc_lo
	v_cmp_eq_u32_e32 vcc_lo, 6, v112
	s_delay_alu instid0(VALU_DEP_2) | instskip(SKIP_1) | instid1(VALU_DEP_2)
	v_cndmask_b32_e32 v59, v59, v40, vcc_lo
	v_cmp_eq_u32_e32 vcc_lo, 7, v112
	v_cndmask_b32_e32 v59, v59, v41, vcc_lo
	v_cmp_eq_u32_e32 vcc_lo, 8, v112
	s_delay_alu instid0(VALU_DEP_2) | instskip(SKIP_1) | instid1(VALU_DEP_2)
	v_cndmask_b32_e32 v59, v59, v42, vcc_lo
	v_cmp_eq_u32_e32 vcc_lo, 9, v112
	v_cndmask_b32_e32 v59, v59, v43, vcc_lo
	v_cmp_eq_u32_e32 vcc_lo, 10, v112
	s_delay_alu instid0(VALU_DEP_2) | instskip(SKIP_1) | instid1(VALU_DEP_2)
	v_cndmask_b32_e32 v59, v59, v44, vcc_lo
	v_cmp_eq_u32_e32 vcc_lo, 11, v112
	v_cndmask_b32_e32 v59, v59, v45, vcc_lo
	v_cmp_eq_u32_e32 vcc_lo, 12, v112
	s_delay_alu instid0(VALU_DEP_2) | instskip(SKIP_1) | instid1(VALU_DEP_2)
	v_cndmask_b32_e32 v59, v59, v46, vcc_lo
	v_cmp_eq_u32_e32 vcc_lo, 13, v112
	v_cndmask_b32_e32 v59, v59, v47, vcc_lo
	v_cmp_eq_u32_e32 vcc_lo, 14, v112
	s_delay_alu instid0(VALU_DEP_2) | instskip(SKIP_1) | instid1(VALU_DEP_2)
	v_cndmask_b32_e32 v59, v59, v48, vcc_lo
	v_cmp_eq_u32_e32 vcc_lo, 15, v112
	v_cndmask_b32_e32 v59, v59, v49, vcc_lo
	v_cmp_eq_u32_e32 vcc_lo, 16, v112
	s_delay_alu instid0(VALU_DEP_2) | instskip(SKIP_1) | instid1(VALU_DEP_2)
	v_cndmask_b32_e32 v59, v59, v50, vcc_lo
	v_cmp_eq_u32_e32 vcc_lo, 17, v112
	v_cndmask_b32_e32 v59, v59, v51, vcc_lo
	v_cmp_eq_u32_e32 vcc_lo, 18, v112
	s_delay_alu instid0(VALU_DEP_2) | instskip(SKIP_1) | instid1(VALU_DEP_2)
	v_cndmask_b32_e32 v59, v59, v52, vcc_lo
	v_cmp_eq_u32_e32 vcc_lo, 19, v112
	v_cndmask_b32_e32 v59, v59, v53, vcc_lo
	v_cmp_eq_u32_e32 vcc_lo, 20, v112
	s_delay_alu instid0(VALU_DEP_2) | instskip(SKIP_1) | instid1(VALU_DEP_2)
	v_cndmask_b32_e32 v59, v59, v54, vcc_lo
	v_cmp_eq_u32_e32 vcc_lo, 21, v112
	v_cndmask_b32_e32 v59, v59, v55, vcc_lo
	v_cmp_eq_u32_e32 vcc_lo, 22, v112
	v_add_nc_u64_e32 v[112:113], 1, v[112:113]
	s_delay_alu instid0(VALU_DEP_3) | instskip(SKIP_2) | instid1(VALU_DEP_2)
	v_cndmask_b32_e32 v59, v59, v56, vcc_lo
	v_cmp_eq_u32_e32 vcc_lo, 0, v57
	s_wait_dscnt 0x0
	v_fmac_f32_e32 v116, v59, v60
	s_or_b32 s2, vcc_lo, s2
	s_delay_alu instid0(SALU_CYCLE_1)
	s_and_not1_b32 exec_lo, exec_lo, s2
	s_cbranch_execnz .LBB22_205
; %bb.206:
	s_or_b32 exec_lo, exec_lo, s2
.LBB22_207:
	s_delay_alu instid0(SALU_CYCLE_1)
	s_or_b32 exec_lo, exec_lo, s1
.LBB22_208:
	s_delay_alu instid0(SALU_CYCLE_1)
	s_or_b32 exec_lo, exec_lo, s5
	v_mov_b32_e32 v42, 0
	ds_load_b32 v42, v42 offset:32
	s_wait_dscnt 0x0
	v_mul_f32_e32 v42, v116, v42
.LBB22_209:
	s_or_b32 exec_lo, exec_lo, s4
	v_cmp_lt_u32_e64 s1, 7, v0
	ds_store_b32 v115, v41
	s_wait_dscnt 0x0
	s_barrier_signal -1
	s_barrier_wait -1
	s_and_saveexec_b32 s4, s1
	s_cbranch_execz .LBB22_225
; %bb.210:
	s_and_not1_b32 vcc_lo, exec_lo, s23
	s_cbranch_vccnz .LBB22_212
; %bb.211:
	v_cmp_eq_u32_e32 vcc_lo, 1, v0
	ds_load_b32 v113, v115
	v_cndmask_b32_e32 v112, v34, v35, vcc_lo
	v_cmp_eq_u32_e32 vcc_lo, 2, v0
	s_delay_alu instid0(VALU_DEP_2) | instskip(SKIP_1) | instid1(VALU_DEP_2)
	v_cndmask_b32_e32 v112, v112, v36, vcc_lo
	v_cmp_eq_u32_e32 vcc_lo, 3, v0
	v_cndmask_b32_e32 v112, v112, v37, vcc_lo
	v_cmp_eq_u32_e32 vcc_lo, 4, v0
	s_delay_alu instid0(VALU_DEP_2) | instskip(SKIP_1) | instid1(VALU_DEP_2)
	v_cndmask_b32_e32 v112, v112, v38, vcc_lo
	v_cmp_eq_u32_e32 vcc_lo, 5, v0
	;; [unrolled: 5-line block ×10, first 2 shown]
	v_cndmask_b32_e32 v112, v112, v55, vcc_lo
	v_cmp_eq_u32_e32 vcc_lo, 22, v0
	s_delay_alu instid0(VALU_DEP_2) | instskip(SKIP_1) | instid1(VALU_DEP_1)
	v_cndmask_b32_e32 v112, v112, v56, vcc_lo
	s_wait_dscnt 0x0
	v_mul_f32_e32 v116, v112, v113
	s_cbranch_execz .LBB22_213
	s_branch .LBB22_214
.LBB22_212:
                                        ; implicit-def: $vgpr116
.LBB22_213:
	ds_load_b32 v116, v115
.LBB22_214:
	s_and_saveexec_b32 s5, s0
	s_cbranch_execz .LBB22_224
; %bb.215:
	v_add_nc_u32_e32 v112, -9, v0
	s_delay_alu instid0(VALU_DEP_1)
	v_cmp_lt_u32_e32 vcc_lo, 6, v112
	v_mov_b32_e32 v112, 8
	s_and_saveexec_b32 s0, vcc_lo
	s_cbranch_execz .LBB22_219
; %bb.216:
	v_and_b32_e32 v112, 24, v0
	s_mov_b32 s6, 0
	s_mov_b64 s[2:3], 15
	s_movk_i32 s7, 0x80
	s_delay_alu instid0(VALU_DEP_1)
	v_sub_nc_u32_e32 v114, 0, v112
.LBB22_217:                             ; =>This Inner Loop Header: Depth=1
	s_add_co_i32 m0, s2, -7
	v_movrels_b32_e32 v113, v34
	v_mov_b32_e32 v112, s7
	s_add_co_i32 m0, s2, -6
	s_add_co_i32 s7, s7, 32
	v_movrels_b32_e32 v117, v34
	s_add_co_i32 m0, s2, -5
	ds_load_b128 v[118:121], v112
	ds_load_b128 v[122:125], v112 offset:16
	v_movrels_b32_e32 v112, v34
	s_add_co_i32 m0, s2, -4
	s_wait_dscnt 0x1
	v_fmac_f32_e32 v116, v113, v118
	v_movrels_b32_e32 v113, v34
	s_add_co_i32 m0, s2, -3
	s_delay_alu instid0(VALU_DEP_2) | instskip(NEXT) | instid1(VALU_DEP_1)
	v_fmac_f32_e32 v116, v117, v119
	v_fmac_f32_e32 v116, v112, v120
	v_movrels_b32_e32 v112, v34
	s_add_co_i32 m0, s2, -2
	s_delay_alu instid0(VALU_DEP_2) | instskip(SKIP_3) | instid1(VALU_DEP_2)
	v_fmac_f32_e32 v116, v113, v121
	v_movrels_b32_e32 v113, v34
	s_add_co_i32 m0, s2, -1
	s_wait_dscnt 0x0
	v_fmac_f32_e32 v116, v112, v122
	v_movrels_b32_e32 v112, v34
	s_mov_b32 m0, s2
	s_add_nc_u64 s[2:3], s[2:3], 8
	v_movrels_b32_e32 v117, v34
	v_dual_fmac_f32 v116, v113, v123 :: v_dual_add_nc_u32 v113, s2, v114
	s_add_co_i32 s8, s2, -7
	s_delay_alu instid0(VALU_DEP_1) | instskip(NEXT) | instid1(VALU_DEP_2)
	v_fmac_f32_e32 v116, v112, v124
	v_cmp_eq_u32_e32 vcc_lo, 7, v113
	s_delay_alu instid0(VALU_DEP_2) | instskip(SKIP_1) | instid1(SALU_CYCLE_1)
	v_dual_mov_b32 v112, s8 :: v_dual_fmac_f32 v116, v117, v125
	s_or_b32 s6, vcc_lo, s6
	s_and_not1_b32 exec_lo, exec_lo, s6
	s_cbranch_execnz .LBB22_217
; %bb.218:
	s_or_b32 exec_lo, exec_lo, s6
.LBB22_219:
	s_delay_alu instid0(SALU_CYCLE_1) | instskip(SKIP_3) | instid1(VALU_DEP_1)
	s_or_b32 exec_lo, exec_lo, s0
	v_and_b32_e32 v57, 7, v0
	s_mov_b32 s2, 0
	s_mov_b32 s0, exec_lo
	v_cmpx_ne_u32_e32 0, v57
	s_cbranch_execz .LBB22_223
; %bb.220:
	v_lshl_add_u32 v58, v112, 2, 0x60
	v_mov_b32_e32 v113, 0
.LBB22_221:                             ; =>This Inner Loop Header: Depth=1
	v_cmp_eq_u32_e32 vcc_lo, 1, v112
	ds_load_b32 v60, v58
	v_dual_add_nc_u32 v57, -1, v57 :: v_dual_add_nc_u32 v58, 4, v58
	v_cndmask_b32_e32 v59, v34, v35, vcc_lo
	v_cmp_eq_u32_e32 vcc_lo, 2, v112
	s_delay_alu instid0(VALU_DEP_2) | instskip(SKIP_1) | instid1(VALU_DEP_2)
	v_cndmask_b32_e32 v59, v59, v36, vcc_lo
	v_cmp_eq_u32_e32 vcc_lo, 3, v112
	v_cndmask_b32_e32 v59, v59, v37, vcc_lo
	v_cmp_eq_u32_e32 vcc_lo, 4, v112
	s_delay_alu instid0(VALU_DEP_2) | instskip(SKIP_1) | instid1(VALU_DEP_2)
	v_cndmask_b32_e32 v59, v59, v38, vcc_lo
	v_cmp_eq_u32_e32 vcc_lo, 5, v112
	;; [unrolled: 5-line block ×10, first 2 shown]
	v_cndmask_b32_e32 v59, v59, v55, vcc_lo
	v_cmp_eq_u32_e32 vcc_lo, 22, v112
	v_add_nc_u64_e32 v[112:113], 1, v[112:113]
	s_delay_alu instid0(VALU_DEP_3) | instskip(SKIP_2) | instid1(VALU_DEP_2)
	v_cndmask_b32_e32 v59, v59, v56, vcc_lo
	v_cmp_eq_u32_e32 vcc_lo, 0, v57
	s_wait_dscnt 0x0
	v_fmac_f32_e32 v116, v59, v60
	s_or_b32 s2, vcc_lo, s2
	s_delay_alu instid0(SALU_CYCLE_1)
	s_and_not1_b32 exec_lo, exec_lo, s2
	s_cbranch_execnz .LBB22_221
; %bb.222:
	s_or_b32 exec_lo, exec_lo, s2
.LBB22_223:
	s_delay_alu instid0(SALU_CYCLE_1)
	s_or_b32 exec_lo, exec_lo, s0
.LBB22_224:
	s_delay_alu instid0(SALU_CYCLE_1)
	s_or_b32 exec_lo, exec_lo, s5
	v_mov_b32_e32 v41, 0
	ds_load_b32 v41, v41 offset:28
	s_wait_dscnt 0x0
	v_mul_f32_e32 v41, v116, v41
.LBB22_225:
	s_or_b32 exec_lo, exec_lo, s4
	v_cmp_lt_u32_e64 s0, 6, v0
	ds_store_b32 v115, v40
	s_wait_dscnt 0x0
	s_barrier_signal -1
	s_barrier_wait -1
	s_and_saveexec_b32 s4, s0
	s_cbranch_execz .LBB22_241
; %bb.226:
	s_and_not1_b32 vcc_lo, exec_lo, s23
	s_cbranch_vccnz .LBB22_228
; %bb.227:
	v_cmp_eq_u32_e32 vcc_lo, 1, v0
	ds_load_b32 v113, v115
	v_cndmask_b32_e32 v112, v34, v35, vcc_lo
	v_cmp_eq_u32_e32 vcc_lo, 2, v0
	s_delay_alu instid0(VALU_DEP_2) | instskip(SKIP_1) | instid1(VALU_DEP_2)
	v_cndmask_b32_e32 v112, v112, v36, vcc_lo
	v_cmp_eq_u32_e32 vcc_lo, 3, v0
	v_cndmask_b32_e32 v112, v112, v37, vcc_lo
	v_cmp_eq_u32_e32 vcc_lo, 4, v0
	s_delay_alu instid0(VALU_DEP_2) | instskip(SKIP_1) | instid1(VALU_DEP_2)
	v_cndmask_b32_e32 v112, v112, v38, vcc_lo
	v_cmp_eq_u32_e32 vcc_lo, 5, v0
	;; [unrolled: 5-line block ×10, first 2 shown]
	v_cndmask_b32_e32 v112, v112, v55, vcc_lo
	v_cmp_eq_u32_e32 vcc_lo, 22, v0
	s_delay_alu instid0(VALU_DEP_2) | instskip(SKIP_1) | instid1(VALU_DEP_1)
	v_cndmask_b32_e32 v112, v112, v56, vcc_lo
	s_wait_dscnt 0x0
	v_mul_f32_e32 v116, v112, v113
	s_cbranch_execz .LBB22_229
	s_branch .LBB22_230
.LBB22_228:
                                        ; implicit-def: $vgpr116
.LBB22_229:
	ds_load_b32 v116, v115
.LBB22_230:
	s_and_saveexec_b32 s5, s1
	s_cbranch_execz .LBB22_240
; %bb.231:
	v_dual_add_nc_u32 v112, -8, v0 :: v_dual_add_nc_u32 v113, -7, v0
	s_delay_alu instid0(VALU_DEP_1)
	v_cmp_lt_u32_e32 vcc_lo, 6, v112
	v_mov_b32_e32 v112, 7
	s_and_saveexec_b32 s1, vcc_lo
	s_cbranch_execz .LBB22_235
; %bb.232:
	v_and_b32_e32 v112, -8, v113
	s_mov_b32 s6, 0
	s_mov_b64 s[2:3], 14
	s_movk_i32 s7, 0x7c
	s_delay_alu instid0(VALU_DEP_1)
	v_sub_nc_u32_e32 v114, 0, v112
.LBB22_233:                             ; =>This Inner Loop Header: Depth=1
	s_add_co_i32 m0, s2, -7
	v_movrels_b32_e32 v117, v34
	v_mov_b32_e32 v112, s7
	s_add_co_i32 m0, s2, -6
	s_add_co_i32 s7, s7, 32
	v_movrels_b32_e32 v126, v34
	ds_load_2addr_b32 v[118:119], v112 offset1:1
	ds_load_2addr_b32 v[120:121], v112 offset0:2 offset1:3
	s_add_co_i32 m0, s2, -5
	s_wait_dscnt 0x1
	v_fmac_f32_e32 v116, v117, v118
	ds_load_2addr_b32 v[122:123], v112 offset0:4 offset1:5
	ds_load_2addr_b32 v[124:125], v112 offset0:6 offset1:7
	v_movrels_b32_e32 v112, v34
	s_add_co_i32 m0, s2, -4
	v_fmac_f32_e32 v116, v126, v119
	v_movrels_b32_e32 v117, v34
	s_add_co_i32 m0, s2, -3
	s_wait_dscnt 0x2
	s_delay_alu instid0(VALU_DEP_2) | instskip(SKIP_2) | instid1(VALU_DEP_2)
	v_fmac_f32_e32 v116, v112, v120
	v_movrels_b32_e32 v112, v34
	s_add_co_i32 m0, s2, -2
	v_fmac_f32_e32 v116, v117, v121
	v_movrels_b32_e32 v117, v34
	s_add_co_i32 m0, s2, -1
	s_wait_dscnt 0x1
	s_delay_alu instid0(VALU_DEP_2)
	v_fmac_f32_e32 v116, v112, v122
	v_movrels_b32_e32 v112, v34
	s_mov_b32 m0, s2
	s_add_nc_u64 s[2:3], s[2:3], 8
	v_movrels_b32_e32 v118, v34
	v_dual_fmac_f32 v116, v117, v123 :: v_dual_add_nc_u32 v117, s2, v114
	s_add_co_i32 s8, s2, -7
	s_wait_dscnt 0x0
	s_delay_alu instid0(VALU_DEP_1) | instskip(NEXT) | instid1(VALU_DEP_2)
	v_fmac_f32_e32 v116, v112, v124
	v_cmp_eq_u32_e32 vcc_lo, 14, v117
	s_delay_alu instid0(VALU_DEP_2) | instskip(SKIP_1) | instid1(SALU_CYCLE_1)
	v_dual_mov_b32 v112, s8 :: v_dual_fmac_f32 v116, v118, v125
	s_or_b32 s6, vcc_lo, s6
	s_and_not1_b32 exec_lo, exec_lo, s6
	s_cbranch_execnz .LBB22_233
; %bb.234:
	s_or_b32 exec_lo, exec_lo, s6
.LBB22_235:
	s_delay_alu instid0(SALU_CYCLE_1) | instskip(SKIP_3) | instid1(VALU_DEP_1)
	s_or_b32 exec_lo, exec_lo, s1
	v_and_b32_e32 v57, 7, v113
	s_mov_b32 s2, 0
	s_mov_b32 s1, exec_lo
	v_cmpx_ne_u32_e32 0, v57
	s_cbranch_execz .LBB22_239
; %bb.236:
	v_lshl_add_u32 v58, v112, 2, 0x60
	v_mov_b32_e32 v113, 0
.LBB22_237:                             ; =>This Inner Loop Header: Depth=1
	v_cmp_eq_u32_e32 vcc_lo, 1, v112
	ds_load_b32 v60, v58
	v_dual_add_nc_u32 v57, -1, v57 :: v_dual_add_nc_u32 v58, 4, v58
	v_cndmask_b32_e32 v59, v34, v35, vcc_lo
	v_cmp_eq_u32_e32 vcc_lo, 2, v112
	s_delay_alu instid0(VALU_DEP_2) | instskip(SKIP_1) | instid1(VALU_DEP_2)
	v_cndmask_b32_e32 v59, v59, v36, vcc_lo
	v_cmp_eq_u32_e32 vcc_lo, 3, v112
	v_cndmask_b32_e32 v59, v59, v37, vcc_lo
	v_cmp_eq_u32_e32 vcc_lo, 4, v112
	s_delay_alu instid0(VALU_DEP_2) | instskip(SKIP_1) | instid1(VALU_DEP_2)
	v_cndmask_b32_e32 v59, v59, v38, vcc_lo
	v_cmp_eq_u32_e32 vcc_lo, 5, v112
	;; [unrolled: 5-line block ×10, first 2 shown]
	v_cndmask_b32_e32 v59, v59, v55, vcc_lo
	v_cmp_eq_u32_e32 vcc_lo, 22, v112
	v_add_nc_u64_e32 v[112:113], 1, v[112:113]
	s_delay_alu instid0(VALU_DEP_3) | instskip(SKIP_2) | instid1(VALU_DEP_2)
	v_cndmask_b32_e32 v59, v59, v56, vcc_lo
	v_cmp_eq_u32_e32 vcc_lo, 0, v57
	s_wait_dscnt 0x0
	v_fmac_f32_e32 v116, v59, v60
	s_or_b32 s2, vcc_lo, s2
	s_delay_alu instid0(SALU_CYCLE_1)
	s_and_not1_b32 exec_lo, exec_lo, s2
	s_cbranch_execnz .LBB22_237
; %bb.238:
	s_or_b32 exec_lo, exec_lo, s2
.LBB22_239:
	s_delay_alu instid0(SALU_CYCLE_1)
	s_or_b32 exec_lo, exec_lo, s1
.LBB22_240:
	s_delay_alu instid0(SALU_CYCLE_1)
	s_or_b32 exec_lo, exec_lo, s5
	v_mov_b32_e32 v40, 0
	ds_load_b32 v40, v40 offset:24
	s_wait_dscnt 0x0
	v_mul_f32_e32 v40, v116, v40
.LBB22_241:
	s_or_b32 exec_lo, exec_lo, s4
	v_cmp_lt_u32_e64 s1, 5, v0
	ds_store_b32 v115, v39
	s_wait_dscnt 0x0
	s_barrier_signal -1
	s_barrier_wait -1
	s_and_saveexec_b32 s4, s1
	s_cbranch_execz .LBB22_257
; %bb.242:
	s_and_not1_b32 vcc_lo, exec_lo, s23
	s_cbranch_vccnz .LBB22_244
; %bb.243:
	v_cmp_eq_u32_e32 vcc_lo, 1, v0
	ds_load_b32 v113, v115
	v_cndmask_b32_e32 v112, v34, v35, vcc_lo
	v_cmp_eq_u32_e32 vcc_lo, 2, v0
	s_delay_alu instid0(VALU_DEP_2) | instskip(SKIP_1) | instid1(VALU_DEP_2)
	v_cndmask_b32_e32 v112, v112, v36, vcc_lo
	v_cmp_eq_u32_e32 vcc_lo, 3, v0
	v_cndmask_b32_e32 v112, v112, v37, vcc_lo
	v_cmp_eq_u32_e32 vcc_lo, 4, v0
	s_delay_alu instid0(VALU_DEP_2) | instskip(SKIP_1) | instid1(VALU_DEP_2)
	v_cndmask_b32_e32 v112, v112, v38, vcc_lo
	v_cmp_eq_u32_e32 vcc_lo, 5, v0
	;; [unrolled: 5-line block ×10, first 2 shown]
	v_cndmask_b32_e32 v112, v112, v55, vcc_lo
	v_cmp_eq_u32_e32 vcc_lo, 22, v0
	s_delay_alu instid0(VALU_DEP_2) | instskip(SKIP_1) | instid1(VALU_DEP_1)
	v_cndmask_b32_e32 v112, v112, v56, vcc_lo
	s_wait_dscnt 0x0
	v_mul_f32_e32 v116, v112, v113
	s_cbranch_execz .LBB22_245
	s_branch .LBB22_246
.LBB22_244:
                                        ; implicit-def: $vgpr116
.LBB22_245:
	ds_load_b32 v116, v115
.LBB22_246:
	s_and_saveexec_b32 s5, s0
	s_cbranch_execz .LBB22_256
; %bb.247:
	v_dual_add_nc_u32 v114, -7, v0 :: v_dual_add_nc_u32 v113, -6, v0
	v_mov_b32_e32 v112, 6
	s_mov_b32 s0, exec_lo
	s_delay_alu instid0(VALU_DEP_2)
	v_cmpx_lt_u32_e32 6, v114
	s_cbranch_execz .LBB22_251
; %bb.248:
	v_and_b32_e32 v112, -8, v113
	s_mov_b32 s6, 0
	s_mov_b64 s[2:3], 13
	s_movk_i32 s7, 0x78
	s_delay_alu instid0(VALU_DEP_1)
	v_sub_nc_u32_e32 v114, 0, v112
.LBB22_249:                             ; =>This Inner Loop Header: Depth=1
	s_add_co_i32 m0, s2, -7
	v_movrels_b32_e32 v117, v34
	v_mov_b32_e32 v112, s7
	s_add_co_i32 m0, s2, -6
	s_add_co_i32 s7, s7, 32
	v_movrels_b32_e32 v126, v34
	s_add_co_i32 m0, s2, -5
	ds_load_2addr_b64 v[118:121], v112 offset1:1
	ds_load_2addr_b64 v[122:125], v112 offset0:2 offset1:3
	v_movrels_b32_e32 v112, v34
	s_add_co_i32 m0, s2, -4
	s_wait_dscnt 0x1
	v_fmac_f32_e32 v116, v117, v118
	v_movrels_b32_e32 v117, v34
	s_add_co_i32 m0, s2, -3
	s_delay_alu instid0(VALU_DEP_2) | instskip(NEXT) | instid1(VALU_DEP_1)
	v_fmac_f32_e32 v116, v126, v119
	v_fmac_f32_e32 v116, v112, v120
	v_movrels_b32_e32 v112, v34
	s_add_co_i32 m0, s2, -2
	s_delay_alu instid0(VALU_DEP_2) | instskip(SKIP_3) | instid1(VALU_DEP_2)
	v_fmac_f32_e32 v116, v117, v121
	v_movrels_b32_e32 v117, v34
	s_add_co_i32 m0, s2, -1
	s_wait_dscnt 0x0
	v_fmac_f32_e32 v116, v112, v122
	v_movrels_b32_e32 v112, v34
	s_mov_b32 m0, s2
	s_add_nc_u64 s[2:3], s[2:3], 8
	v_movrels_b32_e32 v118, v34
	v_dual_fmac_f32 v116, v117, v123 :: v_dual_add_nc_u32 v117, s2, v114
	s_add_co_i32 s8, s2, -7
	s_delay_alu instid0(VALU_DEP_1) | instskip(NEXT) | instid1(VALU_DEP_2)
	v_fmac_f32_e32 v116, v112, v124
	v_cmp_eq_u32_e32 vcc_lo, 13, v117
	s_delay_alu instid0(VALU_DEP_2) | instskip(SKIP_1) | instid1(SALU_CYCLE_1)
	v_dual_mov_b32 v112, s8 :: v_dual_fmac_f32 v116, v118, v125
	s_or_b32 s6, vcc_lo, s6
	s_and_not1_b32 exec_lo, exec_lo, s6
	s_cbranch_execnz .LBB22_249
; %bb.250:
	s_or_b32 exec_lo, exec_lo, s6
.LBB22_251:
	s_delay_alu instid0(SALU_CYCLE_1) | instskip(SKIP_3) | instid1(VALU_DEP_1)
	s_or_b32 exec_lo, exec_lo, s0
	v_and_b32_e32 v57, 7, v113
	s_mov_b32 s2, 0
	s_mov_b32 s0, exec_lo
	v_cmpx_ne_u32_e32 0, v57
	s_cbranch_execz .LBB22_255
; %bb.252:
	v_lshl_add_u32 v58, v112, 2, 0x60
	v_mov_b32_e32 v113, 0
.LBB22_253:                             ; =>This Inner Loop Header: Depth=1
	v_cmp_eq_u32_e32 vcc_lo, 1, v112
	ds_load_b32 v60, v58
	v_dual_add_nc_u32 v57, -1, v57 :: v_dual_add_nc_u32 v58, 4, v58
	v_cndmask_b32_e32 v59, v34, v35, vcc_lo
	v_cmp_eq_u32_e32 vcc_lo, 2, v112
	s_delay_alu instid0(VALU_DEP_2) | instskip(SKIP_1) | instid1(VALU_DEP_2)
	v_cndmask_b32_e32 v59, v59, v36, vcc_lo
	v_cmp_eq_u32_e32 vcc_lo, 3, v112
	v_cndmask_b32_e32 v59, v59, v37, vcc_lo
	v_cmp_eq_u32_e32 vcc_lo, 4, v112
	s_delay_alu instid0(VALU_DEP_2) | instskip(SKIP_1) | instid1(VALU_DEP_2)
	v_cndmask_b32_e32 v59, v59, v38, vcc_lo
	v_cmp_eq_u32_e32 vcc_lo, 5, v112
	;; [unrolled: 5-line block ×10, first 2 shown]
	v_cndmask_b32_e32 v59, v59, v55, vcc_lo
	v_cmp_eq_u32_e32 vcc_lo, 22, v112
	v_add_nc_u64_e32 v[112:113], 1, v[112:113]
	s_delay_alu instid0(VALU_DEP_3) | instskip(SKIP_2) | instid1(VALU_DEP_2)
	v_cndmask_b32_e32 v59, v59, v56, vcc_lo
	v_cmp_eq_u32_e32 vcc_lo, 0, v57
	s_wait_dscnt 0x0
	v_fmac_f32_e32 v116, v59, v60
	s_or_b32 s2, vcc_lo, s2
	s_delay_alu instid0(SALU_CYCLE_1)
	s_and_not1_b32 exec_lo, exec_lo, s2
	s_cbranch_execnz .LBB22_253
; %bb.254:
	s_or_b32 exec_lo, exec_lo, s2
.LBB22_255:
	s_delay_alu instid0(SALU_CYCLE_1)
	s_or_b32 exec_lo, exec_lo, s0
.LBB22_256:
	s_delay_alu instid0(SALU_CYCLE_1)
	s_or_b32 exec_lo, exec_lo, s5
	v_mov_b32_e32 v39, 0
	ds_load_b32 v39, v39 offset:20
	s_wait_dscnt 0x0
	v_mul_f32_e32 v39, v116, v39
.LBB22_257:
	s_or_b32 exec_lo, exec_lo, s4
	v_cmp_lt_u32_e64 s0, 4, v0
	ds_store_b32 v115, v38
	s_wait_dscnt 0x0
	s_barrier_signal -1
	s_barrier_wait -1
	s_and_saveexec_b32 s4, s0
	s_cbranch_execz .LBB22_273
; %bb.258:
	s_and_not1_b32 vcc_lo, exec_lo, s23
	s_cbranch_vccnz .LBB22_260
; %bb.259:
	v_cmp_eq_u32_e32 vcc_lo, 1, v0
	ds_load_b32 v113, v115
	v_cndmask_b32_e32 v112, v34, v35, vcc_lo
	v_cmp_eq_u32_e32 vcc_lo, 2, v0
	s_delay_alu instid0(VALU_DEP_2) | instskip(SKIP_1) | instid1(VALU_DEP_2)
	v_cndmask_b32_e32 v112, v112, v36, vcc_lo
	v_cmp_eq_u32_e32 vcc_lo, 3, v0
	v_cndmask_b32_e32 v112, v112, v37, vcc_lo
	v_cmp_eq_u32_e32 vcc_lo, 4, v0
	s_delay_alu instid0(VALU_DEP_2) | instskip(SKIP_1) | instid1(VALU_DEP_2)
	v_cndmask_b32_e32 v112, v112, v38, vcc_lo
	v_cmp_eq_u32_e32 vcc_lo, 5, v0
	;; [unrolled: 5-line block ×10, first 2 shown]
	v_cndmask_b32_e32 v112, v112, v55, vcc_lo
	v_cmp_eq_u32_e32 vcc_lo, 22, v0
	s_delay_alu instid0(VALU_DEP_2) | instskip(SKIP_1) | instid1(VALU_DEP_1)
	v_cndmask_b32_e32 v112, v112, v56, vcc_lo
	s_wait_dscnt 0x0
	v_mul_f32_e32 v116, v112, v113
	s_cbranch_execz .LBB22_261
	s_branch .LBB22_262
.LBB22_260:
                                        ; implicit-def: $vgpr116
.LBB22_261:
	ds_load_b32 v116, v115
.LBB22_262:
	s_and_saveexec_b32 s5, s1
	s_cbranch_execz .LBB22_272
; %bb.263:
	v_dual_add_nc_u32 v112, -6, v0 :: v_dual_add_nc_u32 v113, -5, v0
	s_delay_alu instid0(VALU_DEP_1)
	v_cmp_lt_u32_e32 vcc_lo, 6, v112
	v_mov_b32_e32 v112, 5
	s_and_saveexec_b32 s1, vcc_lo
	s_cbranch_execz .LBB22_267
; %bb.264:
	v_and_b32_e32 v112, -8, v113
	s_mov_b32 s6, 0
	s_mov_b64 s[2:3], 12
	s_movk_i32 s7, 0x74
	s_delay_alu instid0(VALU_DEP_1)
	v_sub_nc_u32_e32 v114, 0, v112
.LBB22_265:                             ; =>This Inner Loop Header: Depth=1
	s_add_co_i32 m0, s2, -7
	v_movrels_b32_e32 v117, v34
	v_mov_b32_e32 v112, s7
	s_add_co_i32 m0, s2, -6
	s_add_co_i32 s7, s7, 32
	v_movrels_b32_e32 v126, v34
	ds_load_2addr_b32 v[118:119], v112 offset1:1
	ds_load_2addr_b32 v[120:121], v112 offset0:2 offset1:3
	s_add_co_i32 m0, s2, -5
	s_wait_dscnt 0x1
	v_fmac_f32_e32 v116, v117, v118
	ds_load_2addr_b32 v[122:123], v112 offset0:4 offset1:5
	ds_load_2addr_b32 v[124:125], v112 offset0:6 offset1:7
	v_movrels_b32_e32 v112, v34
	s_add_co_i32 m0, s2, -4
	v_fmac_f32_e32 v116, v126, v119
	v_movrels_b32_e32 v117, v34
	s_add_co_i32 m0, s2, -3
	s_wait_dscnt 0x2
	s_delay_alu instid0(VALU_DEP_2) | instskip(SKIP_2) | instid1(VALU_DEP_2)
	v_fmac_f32_e32 v116, v112, v120
	v_movrels_b32_e32 v112, v34
	s_add_co_i32 m0, s2, -2
	v_fmac_f32_e32 v116, v117, v121
	v_movrels_b32_e32 v117, v34
	s_add_co_i32 m0, s2, -1
	s_wait_dscnt 0x1
	s_delay_alu instid0(VALU_DEP_2)
	v_fmac_f32_e32 v116, v112, v122
	v_movrels_b32_e32 v112, v34
	s_mov_b32 m0, s2
	s_add_nc_u64 s[2:3], s[2:3], 8
	v_movrels_b32_e32 v118, v34
	v_dual_fmac_f32 v116, v117, v123 :: v_dual_add_nc_u32 v117, s2, v114
	s_add_co_i32 s8, s2, -7
	s_wait_dscnt 0x0
	s_delay_alu instid0(VALU_DEP_1) | instskip(NEXT) | instid1(VALU_DEP_2)
	v_fmac_f32_e32 v116, v112, v124
	v_cmp_eq_u32_e32 vcc_lo, 12, v117
	s_delay_alu instid0(VALU_DEP_2) | instskip(SKIP_1) | instid1(SALU_CYCLE_1)
	v_dual_mov_b32 v112, s8 :: v_dual_fmac_f32 v116, v118, v125
	s_or_b32 s6, vcc_lo, s6
	s_and_not1_b32 exec_lo, exec_lo, s6
	s_cbranch_execnz .LBB22_265
; %bb.266:
	s_or_b32 exec_lo, exec_lo, s6
.LBB22_267:
	s_delay_alu instid0(SALU_CYCLE_1) | instskip(SKIP_3) | instid1(VALU_DEP_1)
	s_or_b32 exec_lo, exec_lo, s1
	v_and_b32_e32 v57, 7, v113
	s_mov_b32 s2, 0
	s_mov_b32 s1, exec_lo
	v_cmpx_ne_u32_e32 0, v57
	s_cbranch_execz .LBB22_271
; %bb.268:
	v_lshl_add_u32 v58, v112, 2, 0x60
	v_mov_b32_e32 v113, 0
.LBB22_269:                             ; =>This Inner Loop Header: Depth=1
	v_cmp_eq_u32_e32 vcc_lo, 1, v112
	ds_load_b32 v60, v58
	v_dual_add_nc_u32 v57, -1, v57 :: v_dual_add_nc_u32 v58, 4, v58
	v_cndmask_b32_e32 v59, v34, v35, vcc_lo
	v_cmp_eq_u32_e32 vcc_lo, 2, v112
	s_delay_alu instid0(VALU_DEP_2) | instskip(SKIP_1) | instid1(VALU_DEP_2)
	v_cndmask_b32_e32 v59, v59, v36, vcc_lo
	v_cmp_eq_u32_e32 vcc_lo, 3, v112
	v_cndmask_b32_e32 v59, v59, v37, vcc_lo
	v_cmp_eq_u32_e32 vcc_lo, 4, v112
	s_delay_alu instid0(VALU_DEP_2) | instskip(SKIP_1) | instid1(VALU_DEP_2)
	v_cndmask_b32_e32 v59, v59, v38, vcc_lo
	v_cmp_eq_u32_e32 vcc_lo, 5, v112
	;; [unrolled: 5-line block ×10, first 2 shown]
	v_cndmask_b32_e32 v59, v59, v55, vcc_lo
	v_cmp_eq_u32_e32 vcc_lo, 22, v112
	v_add_nc_u64_e32 v[112:113], 1, v[112:113]
	s_delay_alu instid0(VALU_DEP_3) | instskip(SKIP_2) | instid1(VALU_DEP_2)
	v_cndmask_b32_e32 v59, v59, v56, vcc_lo
	v_cmp_eq_u32_e32 vcc_lo, 0, v57
	s_wait_dscnt 0x0
	v_fmac_f32_e32 v116, v59, v60
	s_or_b32 s2, vcc_lo, s2
	s_delay_alu instid0(SALU_CYCLE_1)
	s_and_not1_b32 exec_lo, exec_lo, s2
	s_cbranch_execnz .LBB22_269
; %bb.270:
	s_or_b32 exec_lo, exec_lo, s2
.LBB22_271:
	s_delay_alu instid0(SALU_CYCLE_1)
	s_or_b32 exec_lo, exec_lo, s1
.LBB22_272:
	s_delay_alu instid0(SALU_CYCLE_1)
	s_or_b32 exec_lo, exec_lo, s5
	v_mov_b32_e32 v38, 0
	ds_load_b32 v38, v38 offset:16
	s_wait_dscnt 0x0
	v_mul_f32_e32 v38, v116, v38
.LBB22_273:
	s_or_b32 exec_lo, exec_lo, s4
	v_cmp_lt_u32_e64 s1, 3, v0
	ds_store_b32 v115, v37
	s_wait_dscnt 0x0
	s_barrier_signal -1
	s_barrier_wait -1
	s_and_saveexec_b32 s4, s1
	s_cbranch_execz .LBB22_289
; %bb.274:
	s_and_not1_b32 vcc_lo, exec_lo, s23
	s_cbranch_vccnz .LBB22_276
; %bb.275:
	v_cmp_eq_u32_e32 vcc_lo, 1, v0
	ds_load_b32 v113, v115
	v_cndmask_b32_e32 v112, v34, v35, vcc_lo
	v_cmp_eq_u32_e32 vcc_lo, 2, v0
	s_delay_alu instid0(VALU_DEP_2) | instskip(SKIP_1) | instid1(VALU_DEP_2)
	v_cndmask_b32_e32 v112, v112, v36, vcc_lo
	v_cmp_eq_u32_e32 vcc_lo, 3, v0
	v_cndmask_b32_e32 v112, v112, v37, vcc_lo
	v_cmp_eq_u32_e32 vcc_lo, 4, v0
	s_delay_alu instid0(VALU_DEP_2) | instskip(SKIP_1) | instid1(VALU_DEP_2)
	v_cndmask_b32_e32 v112, v112, v38, vcc_lo
	v_cmp_eq_u32_e32 vcc_lo, 5, v0
	;; [unrolled: 5-line block ×10, first 2 shown]
	v_cndmask_b32_e32 v112, v112, v55, vcc_lo
	v_cmp_eq_u32_e32 vcc_lo, 22, v0
	s_delay_alu instid0(VALU_DEP_2) | instskip(SKIP_1) | instid1(VALU_DEP_1)
	v_cndmask_b32_e32 v112, v112, v56, vcc_lo
	s_wait_dscnt 0x0
	v_mul_f32_e32 v116, v112, v113
	s_cbranch_execz .LBB22_277
	s_branch .LBB22_278
.LBB22_276:
                                        ; implicit-def: $vgpr116
.LBB22_277:
	ds_load_b32 v116, v115
.LBB22_278:
	s_and_saveexec_b32 s5, s0
	s_cbranch_execz .LBB22_288
; %bb.279:
	v_dual_add_nc_u32 v112, -5, v0 :: v_dual_add_nc_u32 v113, -4, v0
	s_delay_alu instid0(VALU_DEP_1)
	v_cmp_lt_u32_e32 vcc_lo, 6, v112
	v_mov_b32_e32 v112, 4
	s_and_saveexec_b32 s0, vcc_lo
	s_cbranch_execz .LBB22_283
; %bb.280:
	v_and_b32_e32 v112, -8, v113
	s_mov_b32 s6, 0
	s_mov_b64 s[2:3], 5
	s_movk_i32 s7, 0x70
	s_delay_alu instid0(VALU_DEP_1)
	v_sub_nc_u32_e32 v114, 0, v112
.LBB22_281:                             ; =>This Inner Loop Header: Depth=1
	s_add_co_i32 m0, s2, -1
	v_movrels_b32_e32 v117, v34
	v_mov_b32_e32 v112, s7
	s_mov_b32 m0, s2
	s_add_co_i32 s7, s7, 32
	v_movrels_b32_e32 v126, v34
	s_add_co_i32 m0, s2, 1
	ds_load_b128 v[118:121], v112
	ds_load_b128 v[122:125], v112 offset:16
	v_movrels_b32_e32 v112, v34
	s_add_co_i32 m0, s2, 2
	s_wait_dscnt 0x1
	v_fmac_f32_e32 v116, v117, v118
	v_movrels_b32_e32 v117, v34
	s_add_co_i32 m0, s2, 3
	s_delay_alu instid0(VALU_DEP_2) | instskip(NEXT) | instid1(VALU_DEP_1)
	v_fmac_f32_e32 v116, v126, v119
	v_fmac_f32_e32 v116, v112, v120
	v_movrels_b32_e32 v112, v34
	s_add_co_i32 m0, s2, 4
	s_delay_alu instid0(VALU_DEP_2) | instskip(SKIP_3) | instid1(VALU_DEP_2)
	v_fmac_f32_e32 v116, v117, v121
	v_movrels_b32_e32 v117, v34
	s_add_co_i32 m0, s2, 5
	s_wait_dscnt 0x0
	v_fmac_f32_e32 v116, v112, v122
	v_movrels_b32_e32 v112, v34
	s_add_co_i32 m0, s2, 6
	s_add_nc_u64 s[2:3], s[2:3], 8
	v_movrels_b32_e32 v118, v34
	v_dual_fmac_f32 v116, v117, v123 :: v_dual_add_nc_u32 v117, s2, v114
	s_add_co_i32 s8, s2, -1
	s_delay_alu instid0(VALU_DEP_1) | instskip(NEXT) | instid1(VALU_DEP_2)
	v_fmac_f32_e32 v116, v112, v124
	v_cmp_eq_u32_e32 vcc_lo, 5, v117
	s_delay_alu instid0(VALU_DEP_2) | instskip(SKIP_1) | instid1(SALU_CYCLE_1)
	v_dual_mov_b32 v112, s8 :: v_dual_fmac_f32 v116, v118, v125
	s_or_b32 s6, vcc_lo, s6
	s_and_not1_b32 exec_lo, exec_lo, s6
	s_cbranch_execnz .LBB22_281
; %bb.282:
	s_or_b32 exec_lo, exec_lo, s6
.LBB22_283:
	s_delay_alu instid0(SALU_CYCLE_1) | instskip(SKIP_3) | instid1(VALU_DEP_1)
	s_or_b32 exec_lo, exec_lo, s0
	v_and_b32_e32 v57, 7, v113
	s_mov_b32 s2, 0
	s_mov_b32 s0, exec_lo
	v_cmpx_ne_u32_e32 0, v57
	s_cbranch_execz .LBB22_287
; %bb.284:
	v_lshl_add_u32 v58, v112, 2, 0x60
	v_mov_b32_e32 v113, 0
.LBB22_285:                             ; =>This Inner Loop Header: Depth=1
	v_cmp_eq_u32_e32 vcc_lo, 1, v112
	ds_load_b32 v60, v58
	v_dual_add_nc_u32 v57, -1, v57 :: v_dual_add_nc_u32 v58, 4, v58
	v_cndmask_b32_e32 v59, v34, v35, vcc_lo
	v_cmp_eq_u32_e32 vcc_lo, 2, v112
	s_delay_alu instid0(VALU_DEP_2) | instskip(SKIP_1) | instid1(VALU_DEP_2)
	v_cndmask_b32_e32 v59, v59, v36, vcc_lo
	v_cmp_eq_u32_e32 vcc_lo, 3, v112
	v_cndmask_b32_e32 v59, v59, v37, vcc_lo
	v_cmp_eq_u32_e32 vcc_lo, 4, v112
	s_delay_alu instid0(VALU_DEP_2) | instskip(SKIP_1) | instid1(VALU_DEP_2)
	v_cndmask_b32_e32 v59, v59, v38, vcc_lo
	v_cmp_eq_u32_e32 vcc_lo, 5, v112
	;; [unrolled: 5-line block ×10, first 2 shown]
	v_cndmask_b32_e32 v59, v59, v55, vcc_lo
	v_cmp_eq_u32_e32 vcc_lo, 22, v112
	v_add_nc_u64_e32 v[112:113], 1, v[112:113]
	s_delay_alu instid0(VALU_DEP_3) | instskip(SKIP_2) | instid1(VALU_DEP_2)
	v_cndmask_b32_e32 v59, v59, v56, vcc_lo
	v_cmp_eq_u32_e32 vcc_lo, 0, v57
	s_wait_dscnt 0x0
	v_fmac_f32_e32 v116, v59, v60
	s_or_b32 s2, vcc_lo, s2
	s_delay_alu instid0(SALU_CYCLE_1)
	s_and_not1_b32 exec_lo, exec_lo, s2
	s_cbranch_execnz .LBB22_285
; %bb.286:
	s_or_b32 exec_lo, exec_lo, s2
.LBB22_287:
	s_delay_alu instid0(SALU_CYCLE_1)
	s_or_b32 exec_lo, exec_lo, s0
.LBB22_288:
	s_delay_alu instid0(SALU_CYCLE_1)
	s_or_b32 exec_lo, exec_lo, s5
	v_mov_b32_e32 v37, 0
	ds_load_b32 v37, v37 offset:12
	s_wait_dscnt 0x0
	v_mul_f32_e32 v37, v116, v37
.LBB22_289:
	s_or_b32 exec_lo, exec_lo, s4
	v_cmp_lt_u32_e64 s0, 2, v0
	ds_store_b32 v115, v36
	s_wait_dscnt 0x0
	s_barrier_signal -1
	s_barrier_wait -1
	s_and_saveexec_b32 s4, s0
	s_cbranch_execz .LBB22_305
; %bb.290:
	s_and_not1_b32 vcc_lo, exec_lo, s23
	s_cbranch_vccnz .LBB22_292
; %bb.291:
	v_cmp_eq_u32_e32 vcc_lo, 1, v0
	ds_load_b32 v113, v115
	v_cndmask_b32_e32 v112, v34, v35, vcc_lo
	v_cmp_eq_u32_e32 vcc_lo, 2, v0
	s_delay_alu instid0(VALU_DEP_2) | instskip(SKIP_1) | instid1(VALU_DEP_2)
	v_cndmask_b32_e32 v112, v112, v36, vcc_lo
	v_cmp_eq_u32_e32 vcc_lo, 3, v0
	v_cndmask_b32_e32 v112, v112, v37, vcc_lo
	v_cmp_eq_u32_e32 vcc_lo, 4, v0
	s_delay_alu instid0(VALU_DEP_2) | instskip(SKIP_1) | instid1(VALU_DEP_2)
	v_cndmask_b32_e32 v112, v112, v38, vcc_lo
	v_cmp_eq_u32_e32 vcc_lo, 5, v0
	v_cndmask_b32_e32 v112, v112, v39, vcc_lo
	v_cmp_eq_u32_e32 vcc_lo, 6, v0
	s_delay_alu instid0(VALU_DEP_2) | instskip(SKIP_1) | instid1(VALU_DEP_2)
	v_cndmask_b32_e32 v112, v112, v40, vcc_lo
	v_cmp_eq_u32_e32 vcc_lo, 7, v0
	v_cndmask_b32_e32 v112, v112, v41, vcc_lo
	v_cmp_eq_u32_e32 vcc_lo, 8, v0
	s_delay_alu instid0(VALU_DEP_2) | instskip(SKIP_1) | instid1(VALU_DEP_2)
	v_cndmask_b32_e32 v112, v112, v42, vcc_lo
	v_cmp_eq_u32_e32 vcc_lo, 9, v0
	v_cndmask_b32_e32 v112, v112, v43, vcc_lo
	v_cmp_eq_u32_e32 vcc_lo, 10, v0
	s_delay_alu instid0(VALU_DEP_2) | instskip(SKIP_1) | instid1(VALU_DEP_2)
	v_cndmask_b32_e32 v112, v112, v44, vcc_lo
	v_cmp_eq_u32_e32 vcc_lo, 11, v0
	v_cndmask_b32_e32 v112, v112, v45, vcc_lo
	v_cmp_eq_u32_e32 vcc_lo, 12, v0
	s_delay_alu instid0(VALU_DEP_2) | instskip(SKIP_1) | instid1(VALU_DEP_2)
	v_cndmask_b32_e32 v112, v112, v46, vcc_lo
	v_cmp_eq_u32_e32 vcc_lo, 13, v0
	v_cndmask_b32_e32 v112, v112, v47, vcc_lo
	v_cmp_eq_u32_e32 vcc_lo, 14, v0
	s_delay_alu instid0(VALU_DEP_2) | instskip(SKIP_1) | instid1(VALU_DEP_2)
	v_cndmask_b32_e32 v112, v112, v48, vcc_lo
	v_cmp_eq_u32_e32 vcc_lo, 15, v0
	v_cndmask_b32_e32 v112, v112, v49, vcc_lo
	v_cmp_eq_u32_e32 vcc_lo, 16, v0
	s_delay_alu instid0(VALU_DEP_2) | instskip(SKIP_1) | instid1(VALU_DEP_2)
	v_cndmask_b32_e32 v112, v112, v50, vcc_lo
	v_cmp_eq_u32_e32 vcc_lo, 17, v0
	v_cndmask_b32_e32 v112, v112, v51, vcc_lo
	v_cmp_eq_u32_e32 vcc_lo, 18, v0
	s_delay_alu instid0(VALU_DEP_2) | instskip(SKIP_1) | instid1(VALU_DEP_2)
	v_cndmask_b32_e32 v112, v112, v52, vcc_lo
	v_cmp_eq_u32_e32 vcc_lo, 19, v0
	v_cndmask_b32_e32 v112, v112, v53, vcc_lo
	v_cmp_eq_u32_e32 vcc_lo, 20, v0
	s_delay_alu instid0(VALU_DEP_2) | instskip(SKIP_1) | instid1(VALU_DEP_2)
	v_cndmask_b32_e32 v112, v112, v54, vcc_lo
	v_cmp_eq_u32_e32 vcc_lo, 21, v0
	v_cndmask_b32_e32 v112, v112, v55, vcc_lo
	v_cmp_eq_u32_e32 vcc_lo, 22, v0
	s_delay_alu instid0(VALU_DEP_2) | instskip(SKIP_1) | instid1(VALU_DEP_1)
	v_cndmask_b32_e32 v112, v112, v56, vcc_lo
	s_wait_dscnt 0x0
	v_mul_f32_e32 v116, v112, v113
	s_cbranch_execz .LBB22_293
	s_branch .LBB22_294
.LBB22_292:
                                        ; implicit-def: $vgpr116
.LBB22_293:
	ds_load_b32 v116, v115
.LBB22_294:
	s_and_saveexec_b32 s5, s1
	s_cbranch_execz .LBB22_304
; %bb.295:
	v_dual_add_nc_u32 v112, -4, v0 :: v_dual_add_nc_u32 v113, -3, v0
	s_delay_alu instid0(VALU_DEP_1)
	v_cmp_lt_u32_e32 vcc_lo, 6, v112
	v_mov_b32_e32 v112, 3
	s_and_saveexec_b32 s1, vcc_lo
	s_cbranch_execz .LBB22_299
; %bb.296:
	v_and_b32_e32 v112, -8, v113
	s_mov_b32 s6, 0
	s_mov_b64 s[2:3], 10
	s_movk_i32 s7, 0x6c
	s_delay_alu instid0(VALU_DEP_1)
	v_sub_nc_u32_e32 v114, 0, v112
.LBB22_297:                             ; =>This Inner Loop Header: Depth=1
	s_add_co_i32 m0, s2, -7
	v_movrels_b32_e32 v117, v34
	v_mov_b32_e32 v112, s7
	s_add_co_i32 m0, s2, -6
	s_add_co_i32 s7, s7, 32
	v_movrels_b32_e32 v126, v34
	ds_load_2addr_b32 v[118:119], v112 offset1:1
	ds_load_2addr_b32 v[120:121], v112 offset0:2 offset1:3
	s_add_co_i32 m0, s2, -5
	s_wait_dscnt 0x1
	v_fmac_f32_e32 v116, v117, v118
	ds_load_2addr_b32 v[122:123], v112 offset0:4 offset1:5
	ds_load_2addr_b32 v[124:125], v112 offset0:6 offset1:7
	v_movrels_b32_e32 v112, v34
	s_add_co_i32 m0, s2, -4
	v_fmac_f32_e32 v116, v126, v119
	v_movrels_b32_e32 v117, v34
	s_add_co_i32 m0, s2, -3
	s_wait_dscnt 0x2
	s_delay_alu instid0(VALU_DEP_2) | instskip(SKIP_2) | instid1(VALU_DEP_2)
	v_fmac_f32_e32 v116, v112, v120
	v_movrels_b32_e32 v112, v34
	s_add_co_i32 m0, s2, -2
	v_fmac_f32_e32 v116, v117, v121
	v_movrels_b32_e32 v117, v34
	s_add_co_i32 m0, s2, -1
	s_wait_dscnt 0x1
	s_delay_alu instid0(VALU_DEP_2)
	v_fmac_f32_e32 v116, v112, v122
	v_movrels_b32_e32 v112, v34
	s_mov_b32 m0, s2
	s_add_nc_u64 s[2:3], s[2:3], 8
	v_movrels_b32_e32 v118, v34
	v_dual_fmac_f32 v116, v117, v123 :: v_dual_add_nc_u32 v117, s2, v114
	s_add_co_i32 s8, s2, -7
	s_wait_dscnt 0x0
	s_delay_alu instid0(VALU_DEP_1) | instskip(NEXT) | instid1(VALU_DEP_2)
	v_fmac_f32_e32 v116, v112, v124
	v_cmp_eq_u32_e32 vcc_lo, 10, v117
	s_delay_alu instid0(VALU_DEP_2) | instskip(SKIP_1) | instid1(SALU_CYCLE_1)
	v_dual_mov_b32 v112, s8 :: v_dual_fmac_f32 v116, v118, v125
	s_or_b32 s6, vcc_lo, s6
	s_and_not1_b32 exec_lo, exec_lo, s6
	s_cbranch_execnz .LBB22_297
; %bb.298:
	s_or_b32 exec_lo, exec_lo, s6
.LBB22_299:
	s_delay_alu instid0(SALU_CYCLE_1) | instskip(SKIP_3) | instid1(VALU_DEP_1)
	s_or_b32 exec_lo, exec_lo, s1
	v_and_b32_e32 v57, 7, v113
	s_mov_b32 s2, 0
	s_mov_b32 s1, exec_lo
	v_cmpx_ne_u32_e32 0, v57
	s_cbranch_execz .LBB22_303
; %bb.300:
	v_lshl_add_u32 v58, v112, 2, 0x60
	v_mov_b32_e32 v113, 0
.LBB22_301:                             ; =>This Inner Loop Header: Depth=1
	v_cmp_eq_u32_e32 vcc_lo, 1, v112
	ds_load_b32 v60, v58
	v_dual_add_nc_u32 v57, -1, v57 :: v_dual_add_nc_u32 v58, 4, v58
	v_cndmask_b32_e32 v59, v34, v35, vcc_lo
	v_cmp_eq_u32_e32 vcc_lo, 2, v112
	s_delay_alu instid0(VALU_DEP_2) | instskip(SKIP_1) | instid1(VALU_DEP_2)
	v_cndmask_b32_e32 v59, v59, v36, vcc_lo
	v_cmp_eq_u32_e32 vcc_lo, 3, v112
	v_cndmask_b32_e32 v59, v59, v37, vcc_lo
	v_cmp_eq_u32_e32 vcc_lo, 4, v112
	s_delay_alu instid0(VALU_DEP_2) | instskip(SKIP_1) | instid1(VALU_DEP_2)
	v_cndmask_b32_e32 v59, v59, v38, vcc_lo
	v_cmp_eq_u32_e32 vcc_lo, 5, v112
	;; [unrolled: 5-line block ×10, first 2 shown]
	v_cndmask_b32_e32 v59, v59, v55, vcc_lo
	v_cmp_eq_u32_e32 vcc_lo, 22, v112
	v_add_nc_u64_e32 v[112:113], 1, v[112:113]
	s_delay_alu instid0(VALU_DEP_3) | instskip(SKIP_2) | instid1(VALU_DEP_2)
	v_cndmask_b32_e32 v59, v59, v56, vcc_lo
	v_cmp_eq_u32_e32 vcc_lo, 0, v57
	s_wait_dscnt 0x0
	v_fmac_f32_e32 v116, v59, v60
	s_or_b32 s2, vcc_lo, s2
	s_delay_alu instid0(SALU_CYCLE_1)
	s_and_not1_b32 exec_lo, exec_lo, s2
	s_cbranch_execnz .LBB22_301
; %bb.302:
	s_or_b32 exec_lo, exec_lo, s2
.LBB22_303:
	s_delay_alu instid0(SALU_CYCLE_1)
	s_or_b32 exec_lo, exec_lo, s1
.LBB22_304:
	s_delay_alu instid0(SALU_CYCLE_1)
	s_or_b32 exec_lo, exec_lo, s5
	v_mov_b32_e32 v36, 0
	ds_load_b32 v36, v36 offset:8
	s_wait_dscnt 0x0
	v_mul_f32_e32 v36, v116, v36
.LBB22_305:
	s_or_b32 exec_lo, exec_lo, s4
	v_cmp_lt_u32_e64 s1, 1, v0
	ds_store_b32 v115, v35
	s_wait_dscnt 0x0
	s_barrier_signal -1
	s_barrier_wait -1
	s_and_saveexec_b32 s4, s1
	s_cbranch_execz .LBB22_321
; %bb.306:
	s_and_not1_b32 vcc_lo, exec_lo, s23
	s_cbranch_vccnz .LBB22_308
; %bb.307:
	v_cmp_eq_u32_e32 vcc_lo, 1, v0
	ds_load_b32 v113, v115
	v_cndmask_b32_e32 v112, v34, v35, vcc_lo
	v_cmp_eq_u32_e32 vcc_lo, 2, v0
	s_delay_alu instid0(VALU_DEP_2) | instskip(SKIP_1) | instid1(VALU_DEP_2)
	v_cndmask_b32_e32 v112, v112, v36, vcc_lo
	v_cmp_eq_u32_e32 vcc_lo, 3, v0
	v_cndmask_b32_e32 v112, v112, v37, vcc_lo
	v_cmp_eq_u32_e32 vcc_lo, 4, v0
	s_delay_alu instid0(VALU_DEP_2) | instskip(SKIP_1) | instid1(VALU_DEP_2)
	v_cndmask_b32_e32 v112, v112, v38, vcc_lo
	v_cmp_eq_u32_e32 vcc_lo, 5, v0
	;; [unrolled: 5-line block ×10, first 2 shown]
	v_cndmask_b32_e32 v112, v112, v55, vcc_lo
	v_cmp_eq_u32_e32 vcc_lo, 22, v0
	s_delay_alu instid0(VALU_DEP_2) | instskip(SKIP_1) | instid1(VALU_DEP_1)
	v_cndmask_b32_e32 v112, v112, v56, vcc_lo
	s_wait_dscnt 0x0
	v_mul_f32_e32 v116, v112, v113
	s_cbranch_execz .LBB22_309
	s_branch .LBB22_310
.LBB22_308:
                                        ; implicit-def: $vgpr116
.LBB22_309:
	ds_load_b32 v116, v115
.LBB22_310:
	s_and_saveexec_b32 s5, s0
	s_cbranch_execz .LBB22_320
; %bb.311:
	v_dual_add_nc_u32 v112, -3, v0 :: v_dual_add_nc_u32 v113, -2, v0
	s_delay_alu instid0(VALU_DEP_1)
	v_cmp_lt_u32_e32 vcc_lo, 6, v112
	v_mov_b32_e32 v112, 2
	s_and_saveexec_b32 s0, vcc_lo
	s_cbranch_execz .LBB22_315
; %bb.312:
	v_and_b32_e32 v112, -8, v113
	s_mov_b32 s6, 0
	s_mov_b64 s[2:3], 9
	s_movk_i32 s7, 0x68
	s_delay_alu instid0(VALU_DEP_1)
	v_sub_nc_u32_e32 v114, 0, v112
.LBB22_313:                             ; =>This Inner Loop Header: Depth=1
	s_add_co_i32 m0, s2, -7
	v_movrels_b32_e32 v117, v34
	v_mov_b32_e32 v112, s7
	s_add_co_i32 m0, s2, -6
	s_add_co_i32 s7, s7, 32
	v_movrels_b32_e32 v126, v34
	s_add_co_i32 m0, s2, -5
	ds_load_2addr_b64 v[118:121], v112 offset1:1
	ds_load_2addr_b64 v[122:125], v112 offset0:2 offset1:3
	v_movrels_b32_e32 v112, v34
	s_add_co_i32 m0, s2, -4
	s_wait_dscnt 0x1
	v_fmac_f32_e32 v116, v117, v118
	v_movrels_b32_e32 v117, v34
	s_add_co_i32 m0, s2, -3
	s_delay_alu instid0(VALU_DEP_2) | instskip(NEXT) | instid1(VALU_DEP_1)
	v_fmac_f32_e32 v116, v126, v119
	v_fmac_f32_e32 v116, v112, v120
	v_movrels_b32_e32 v112, v34
	s_add_co_i32 m0, s2, -2
	s_delay_alu instid0(VALU_DEP_2) | instskip(SKIP_3) | instid1(VALU_DEP_2)
	v_fmac_f32_e32 v116, v117, v121
	v_movrels_b32_e32 v117, v34
	s_add_co_i32 m0, s2, -1
	s_wait_dscnt 0x0
	v_fmac_f32_e32 v116, v112, v122
	v_movrels_b32_e32 v112, v34
	s_mov_b32 m0, s2
	s_add_nc_u64 s[2:3], s[2:3], 8
	v_movrels_b32_e32 v118, v34
	v_dual_fmac_f32 v116, v117, v123 :: v_dual_add_nc_u32 v117, s2, v114
	s_add_co_i32 s8, s2, -7
	s_delay_alu instid0(VALU_DEP_1) | instskip(NEXT) | instid1(VALU_DEP_2)
	v_fmac_f32_e32 v116, v112, v124
	v_cmp_eq_u32_e32 vcc_lo, 9, v117
	s_delay_alu instid0(VALU_DEP_2) | instskip(SKIP_1) | instid1(SALU_CYCLE_1)
	v_dual_mov_b32 v112, s8 :: v_dual_fmac_f32 v116, v118, v125
	s_or_b32 s6, vcc_lo, s6
	s_and_not1_b32 exec_lo, exec_lo, s6
	s_cbranch_execnz .LBB22_313
; %bb.314:
	s_or_b32 exec_lo, exec_lo, s6
.LBB22_315:
	s_delay_alu instid0(SALU_CYCLE_1) | instskip(SKIP_3) | instid1(VALU_DEP_1)
	s_or_b32 exec_lo, exec_lo, s0
	v_and_b32_e32 v57, 7, v113
	s_mov_b32 s2, 0
	s_mov_b32 s0, exec_lo
	v_cmpx_ne_u32_e32 0, v57
	s_cbranch_execz .LBB22_319
; %bb.316:
	v_lshl_add_u32 v58, v112, 2, 0x60
	v_mov_b32_e32 v113, 0
.LBB22_317:                             ; =>This Inner Loop Header: Depth=1
	v_cmp_eq_u32_e32 vcc_lo, 1, v112
	ds_load_b32 v60, v58
	v_dual_add_nc_u32 v57, -1, v57 :: v_dual_add_nc_u32 v58, 4, v58
	v_cndmask_b32_e32 v59, v34, v35, vcc_lo
	v_cmp_eq_u32_e32 vcc_lo, 2, v112
	s_delay_alu instid0(VALU_DEP_2) | instskip(SKIP_1) | instid1(VALU_DEP_2)
	v_cndmask_b32_e32 v59, v59, v36, vcc_lo
	v_cmp_eq_u32_e32 vcc_lo, 3, v112
	v_cndmask_b32_e32 v59, v59, v37, vcc_lo
	v_cmp_eq_u32_e32 vcc_lo, 4, v112
	s_delay_alu instid0(VALU_DEP_2) | instskip(SKIP_1) | instid1(VALU_DEP_2)
	v_cndmask_b32_e32 v59, v59, v38, vcc_lo
	v_cmp_eq_u32_e32 vcc_lo, 5, v112
	;; [unrolled: 5-line block ×10, first 2 shown]
	v_cndmask_b32_e32 v59, v59, v55, vcc_lo
	v_cmp_eq_u32_e32 vcc_lo, 22, v112
	v_add_nc_u64_e32 v[112:113], 1, v[112:113]
	s_delay_alu instid0(VALU_DEP_3) | instskip(SKIP_2) | instid1(VALU_DEP_2)
	v_cndmask_b32_e32 v59, v59, v56, vcc_lo
	v_cmp_eq_u32_e32 vcc_lo, 0, v57
	s_wait_dscnt 0x0
	v_fmac_f32_e32 v116, v59, v60
	s_or_b32 s2, vcc_lo, s2
	s_delay_alu instid0(SALU_CYCLE_1)
	s_and_not1_b32 exec_lo, exec_lo, s2
	s_cbranch_execnz .LBB22_317
; %bb.318:
	s_or_b32 exec_lo, exec_lo, s2
.LBB22_319:
	s_delay_alu instid0(SALU_CYCLE_1)
	s_or_b32 exec_lo, exec_lo, s0
.LBB22_320:
	s_delay_alu instid0(SALU_CYCLE_1)
	s_or_b32 exec_lo, exec_lo, s5
	v_mov_b32_e32 v35, 0
	ds_load_b32 v35, v35 offset:4
	s_wait_dscnt 0x0
	v_mul_f32_e32 v35, v116, v35
.LBB22_321:
	s_or_b32 exec_lo, exec_lo, s4
	s_mov_b32 s2, 0
	s_mov_b32 s3, exec_lo
	ds_store_b32 v115, v34
	s_wait_dscnt 0x0
	s_barrier_signal -1
	s_barrier_wait -1
	v_cmpx_ne_u32_e32 0, v0
	s_cbranch_execz .LBB22_337
; %bb.322:
	s_and_not1_b32 vcc_lo, exec_lo, s23
	s_cbranch_vccnz .LBB22_324
; %bb.323:
	v_cmp_eq_u32_e32 vcc_lo, 1, v0
	ds_load_b32 v113, v115
	v_cndmask_b32_e32 v112, v34, v35, vcc_lo
	v_cmp_eq_u32_e32 vcc_lo, 2, v0
	s_delay_alu instid0(VALU_DEP_2) | instskip(SKIP_1) | instid1(VALU_DEP_2)
	v_cndmask_b32_e32 v112, v112, v36, vcc_lo
	v_cmp_eq_u32_e32 vcc_lo, 3, v0
	v_cndmask_b32_e32 v112, v112, v37, vcc_lo
	v_cmp_eq_u32_e32 vcc_lo, 4, v0
	s_delay_alu instid0(VALU_DEP_2) | instskip(SKIP_1) | instid1(VALU_DEP_2)
	v_cndmask_b32_e32 v112, v112, v38, vcc_lo
	v_cmp_eq_u32_e32 vcc_lo, 5, v0
	;; [unrolled: 5-line block ×10, first 2 shown]
	v_cndmask_b32_e32 v112, v112, v55, vcc_lo
	v_cmp_eq_u32_e32 vcc_lo, 22, v0
	s_delay_alu instid0(VALU_DEP_2) | instskip(SKIP_1) | instid1(VALU_DEP_1)
	v_cndmask_b32_e32 v112, v112, v56, vcc_lo
	s_wait_dscnt 0x0
	v_mul_f32_e32 v116, v112, v113
	s_cbranch_execz .LBB22_325
	s_branch .LBB22_326
.LBB22_324:
                                        ; implicit-def: $vgpr116
.LBB22_325:
	ds_load_b32 v116, v115
.LBB22_326:
	s_and_saveexec_b32 s4, s1
	s_cbranch_execz .LBB22_336
; %bb.327:
	v_dual_add_nc_u32 v112, -2, v0 :: v_dual_add_nc_u32 v113, -1, v0
	s_delay_alu instid0(VALU_DEP_1)
	v_cmp_lt_u32_e32 vcc_lo, 6, v112
	v_mov_b32_e32 v112, 1
	s_and_saveexec_b32 s5, vcc_lo
	s_cbranch_execz .LBB22_331
; %bb.328:
	v_and_b32_e32 v112, -8, v113
	s_mov_b32 s6, 0
	s_mov_b64 s[0:1], 8
	s_movk_i32 s7, 0x64
	s_delay_alu instid0(VALU_DEP_1)
	v_sub_nc_u32_e32 v114, 0, v112
.LBB22_329:                             ; =>This Inner Loop Header: Depth=1
	s_add_co_i32 m0, s0, -7
	v_movrels_b32_e32 v117, v34
	v_mov_b32_e32 v112, s7
	s_add_co_i32 m0, s0, -6
	s_add_co_i32 s7, s7, 32
	v_movrels_b32_e32 v126, v34
	ds_load_2addr_b32 v[118:119], v112 offset1:1
	ds_load_2addr_b32 v[120:121], v112 offset0:2 offset1:3
	s_add_co_i32 m0, s0, -5
	s_wait_dscnt 0x1
	v_fmac_f32_e32 v116, v117, v118
	ds_load_2addr_b32 v[122:123], v112 offset0:4 offset1:5
	ds_load_2addr_b32 v[124:125], v112 offset0:6 offset1:7
	v_movrels_b32_e32 v112, v34
	s_add_co_i32 m0, s0, -4
	v_fmac_f32_e32 v116, v126, v119
	v_movrels_b32_e32 v117, v34
	s_add_co_i32 m0, s0, -3
	s_wait_dscnt 0x2
	s_delay_alu instid0(VALU_DEP_2) | instskip(SKIP_2) | instid1(VALU_DEP_2)
	v_fmac_f32_e32 v116, v112, v120
	v_movrels_b32_e32 v112, v34
	s_add_co_i32 m0, s0, -2
	v_fmac_f32_e32 v116, v117, v121
	v_movrels_b32_e32 v117, v34
	s_add_co_i32 m0, s0, -1
	s_wait_dscnt 0x1
	s_delay_alu instid0(VALU_DEP_2)
	v_fmac_f32_e32 v116, v112, v122
	v_movrels_b32_e32 v112, v34
	s_mov_b32 m0, s0
	s_add_nc_u64 s[0:1], s[0:1], 8
	v_movrels_b32_e32 v118, v34
	v_dual_fmac_f32 v116, v117, v123 :: v_dual_add_nc_u32 v117, s0, v114
	s_add_co_i32 s8, s0, -7
	s_wait_dscnt 0x0
	s_delay_alu instid0(VALU_DEP_1) | instskip(NEXT) | instid1(VALU_DEP_2)
	v_fmac_f32_e32 v116, v112, v124
	v_cmp_eq_u32_e32 vcc_lo, 8, v117
	s_delay_alu instid0(VALU_DEP_2) | instskip(SKIP_1) | instid1(SALU_CYCLE_1)
	v_dual_mov_b32 v112, s8 :: v_dual_fmac_f32 v116, v118, v125
	s_or_b32 s6, vcc_lo, s6
	s_and_not1_b32 exec_lo, exec_lo, s6
	s_cbranch_execnz .LBB22_329
; %bb.330:
	s_or_b32 exec_lo, exec_lo, s6
.LBB22_331:
	s_delay_alu instid0(SALU_CYCLE_1) | instskip(SKIP_3) | instid1(VALU_DEP_1)
	s_or_b32 exec_lo, exec_lo, s5
	v_and_b32_e32 v57, 7, v113
	s_mov_b32 s1, 0
	s_mov_b32 s0, exec_lo
	v_cmpx_ne_u32_e32 0, v57
	s_cbranch_execz .LBB22_335
; %bb.332:
	v_lshl_add_u32 v58, v112, 2, 0x60
	v_mov_b32_e32 v113, 0
.LBB22_333:                             ; =>This Inner Loop Header: Depth=1
	v_cmp_eq_u32_e32 vcc_lo, 1, v112
	ds_load_b32 v60, v58
	v_dual_add_nc_u32 v57, -1, v57 :: v_dual_add_nc_u32 v58, 4, v58
	v_cndmask_b32_e32 v59, v34, v35, vcc_lo
	v_cmp_eq_u32_e32 vcc_lo, 2, v112
	s_delay_alu instid0(VALU_DEP_2) | instskip(SKIP_1) | instid1(VALU_DEP_2)
	v_cndmask_b32_e32 v59, v59, v36, vcc_lo
	v_cmp_eq_u32_e32 vcc_lo, 3, v112
	v_cndmask_b32_e32 v59, v59, v37, vcc_lo
	v_cmp_eq_u32_e32 vcc_lo, 4, v112
	s_delay_alu instid0(VALU_DEP_2) | instskip(SKIP_1) | instid1(VALU_DEP_2)
	v_cndmask_b32_e32 v59, v59, v38, vcc_lo
	v_cmp_eq_u32_e32 vcc_lo, 5, v112
	;; [unrolled: 5-line block ×10, first 2 shown]
	v_cndmask_b32_e32 v59, v59, v55, vcc_lo
	v_cmp_eq_u32_e32 vcc_lo, 22, v112
	v_add_nc_u64_e32 v[112:113], 1, v[112:113]
	s_delay_alu instid0(VALU_DEP_3) | instskip(SKIP_2) | instid1(VALU_DEP_2)
	v_cndmask_b32_e32 v59, v59, v56, vcc_lo
	v_cmp_eq_u32_e32 vcc_lo, 0, v57
	s_wait_dscnt 0x0
	v_fmac_f32_e32 v116, v59, v60
	s_or_b32 s1, vcc_lo, s1
	s_delay_alu instid0(SALU_CYCLE_1)
	s_and_not1_b32 exec_lo, exec_lo, s1
	s_cbranch_execnz .LBB22_333
; %bb.334:
	s_or_b32 exec_lo, exec_lo, s1
.LBB22_335:
	s_delay_alu instid0(SALU_CYCLE_1)
	s_or_b32 exec_lo, exec_lo, s0
.LBB22_336:
	s_delay_alu instid0(SALU_CYCLE_1)
	s_or_b32 exec_lo, exec_lo, s4
	v_mov_b32_e32 v34, 0
	ds_load_b32 v34, v34
	s_wait_dscnt 0x0
	v_mul_f32_e32 v34, v116, v34
.LBB22_337:
	s_or_b32 exec_lo, exec_lo, s3
	s_delay_alu instid0(SALU_CYCLE_1)
	s_and_b32 vcc_lo, exec_lo, s2
	s_cbranch_vccz .LBB22_561
.LBB22_338:
	v_cmp_eq_u32_e64 s0, 0, v0
	s_wait_loadcnt 0x16
	ds_store_b32 v115, v3
	s_wait_loadcnt_dscnt 0x0
	s_barrier_signal -1
	s_barrier_wait -1
	s_and_saveexec_b32 s1, s0
	s_cbranch_execz .LBB22_344
; %bb.339:
	s_and_b32 vcc_lo, exec_lo, s23
	s_cbranch_vccz .LBB22_341
; %bb.340:
	v_cmp_eq_u32_e32 vcc_lo, 1, v0
	ds_load_b32 v25, v115
	v_cndmask_b32_e32 v3, v2, v3, vcc_lo
	v_cmp_eq_u32_e32 vcc_lo, 2, v0
	s_delay_alu instid0(VALU_DEP_2) | instskip(SKIP_1) | instid1(VALU_DEP_2)
	v_cndmask_b32_e32 v3, v3, v4, vcc_lo
	v_cmp_eq_u32_e32 vcc_lo, 3, v0
	v_cndmask_b32_e32 v3, v3, v5, vcc_lo
	v_cmp_eq_u32_e32 vcc_lo, 4, v0
	s_delay_alu instid0(VALU_DEP_2) | instskip(SKIP_1) | instid1(VALU_DEP_2)
	v_cndmask_b32_e32 v3, v3, v6, vcc_lo
	v_cmp_eq_u32_e32 vcc_lo, 5, v0
	;; [unrolled: 5-line block ×10, first 2 shown]
	v_cndmask_b32_e32 v3, v3, v23, vcc_lo
	v_cmp_eq_u32_e32 vcc_lo, 22, v0
	s_delay_alu instid0(VALU_DEP_2) | instskip(SKIP_1) | instid1(VALU_DEP_1)
	v_cndmask_b32_e32 v3, v3, v24, vcc_lo
	s_wait_dscnt 0x0
	v_mul_f32_e32 v3, v3, v25
	s_cbranch_execz .LBB22_342
	s_branch .LBB22_343
.LBB22_341:
                                        ; implicit-def: $vgpr3
.LBB22_342:
	ds_load_b32 v3, v115
.LBB22_343:
	v_mov_b32_e32 v25, 0
	ds_load_b32 v25, v25 offset:4
	s_wait_dscnt 0x0
	v_mul_f32_e32 v3, v3, v25
.LBB22_344:
	s_or_b32 exec_lo, exec_lo, s1
	v_cndmask_b32_e64 v34, 0, 1, s23
	s_mov_b32 s1, exec_lo
	ds_store_b32 v115, v4
	s_wait_dscnt 0x0
	s_barrier_signal -1
	s_barrier_wait -1
	v_cmpx_gt_u32_e32 2, v0
	s_cbranch_execz .LBB22_350
; %bb.345:
	s_and_not1_b32 vcc_lo, exec_lo, s23
	s_cbranch_vccnz .LBB22_347
; %bb.346:
	v_cmp_eq_u32_e32 vcc_lo, 1, v0
	v_cndmask_b32_e32 v25, v2, v3, vcc_lo
	v_cmp_eq_u32_e32 vcc_lo, 2, v0
	s_delay_alu instid0(VALU_DEP_2) | instskip(SKIP_4) | instid1(VALU_DEP_2)
	v_cndmask_b32_e32 v4, v25, v4, vcc_lo
	v_cmp_eq_u32_e32 vcc_lo, 3, v0
	ds_load_b32 v25, v115
	v_cndmask_b32_e32 v4, v4, v5, vcc_lo
	v_cmp_eq_u32_e32 vcc_lo, 4, v0
	v_cndmask_b32_e32 v4, v4, v6, vcc_lo
	v_cmp_eq_u32_e32 vcc_lo, 5, v0
	s_delay_alu instid0(VALU_DEP_2) | instskip(SKIP_1) | instid1(VALU_DEP_2)
	v_cndmask_b32_e32 v4, v4, v7, vcc_lo
	v_cmp_eq_u32_e32 vcc_lo, 6, v0
	v_cndmask_b32_e32 v4, v4, v8, vcc_lo
	v_cmp_eq_u32_e32 vcc_lo, 7, v0
	s_delay_alu instid0(VALU_DEP_2) | instskip(SKIP_1) | instid1(VALU_DEP_2)
	;; [unrolled: 5-line block ×9, first 2 shown]
	v_cndmask_b32_e32 v4, v4, v23, vcc_lo
	v_cmp_eq_u32_e32 vcc_lo, 22, v0
	v_cndmask_b32_e32 v4, v4, v24, vcc_lo
	s_wait_dscnt 0x0
	s_delay_alu instid0(VALU_DEP_1)
	v_mul_f32_e32 v4, v4, v25
	s_cbranch_execz .LBB22_348
	s_branch .LBB22_349
.LBB22_347:
                                        ; implicit-def: $vgpr4
.LBB22_348:
	ds_load_b32 v4, v115
.LBB22_349:
	v_mov_b32_e32 v25, 0
	ds_load_2addr_b32 v[26:27], v25 offset0:2 offset1:25
	s_wait_dscnt 0x0
	v_fma_f32 v25, v3, v27, v4
	s_delay_alu instid0(VALU_DEP_1) | instskip(NEXT) | instid1(VALU_DEP_1)
	v_cndmask_b32_e64 v4, v4, v25, s0
	v_mul_f32_e32 v4, v4, v26
.LBB22_350:
	s_or_b32 exec_lo, exec_lo, s1
	v_add_nc_u32_e32 v35, 1, v0
	v_cmp_gt_u32_e64 s1, 3, v0
	ds_store_b32 v115, v5
	s_wait_dscnt 0x0
	s_barrier_signal -1
	s_barrier_wait -1
	s_and_saveexec_b32 s2, s1
	s_cbranch_execz .LBB22_358
; %bb.351:
	v_cmp_ne_u32_e32 vcc_lo, 1, v34
	s_cbranch_vccnz .LBB22_353
; %bb.352:
	v_cmp_eq_u32_e32 vcc_lo, 1, v0
	ds_load_b32 v26, v115
	v_cndmask_b32_e32 v25, v2, v3, vcc_lo
	v_cmp_eq_u32_e32 vcc_lo, 2, v0
	s_delay_alu instid0(VALU_DEP_2) | instskip(SKIP_1) | instid1(VALU_DEP_2)
	v_cndmask_b32_e32 v25, v25, v4, vcc_lo
	v_cmp_eq_u32_e32 vcc_lo, 3, v0
	v_cndmask_b32_e32 v25, v25, v5, vcc_lo
	v_cmp_eq_u32_e32 vcc_lo, 4, v0
	s_delay_alu instid0(VALU_DEP_2) | instskip(SKIP_1) | instid1(VALU_DEP_2)
	v_cndmask_b32_e32 v25, v25, v6, vcc_lo
	v_cmp_eq_u32_e32 vcc_lo, 5, v0
	;; [unrolled: 5-line block ×10, first 2 shown]
	v_cndmask_b32_e32 v25, v25, v23, vcc_lo
	v_cmp_eq_u32_e32 vcc_lo, 22, v0
	s_delay_alu instid0(VALU_DEP_2) | instskip(SKIP_1) | instid1(VALU_DEP_1)
	v_cndmask_b32_e32 v25, v25, v24, vcc_lo
	s_wait_dscnt 0x0
	v_mul_f32_e32 v25, v25, v26
	s_cbranch_execz .LBB22_354
	s_branch .LBB22_355
.LBB22_353:
                                        ; implicit-def: $vgpr25
.LBB22_354:
	ds_load_b32 v25, v115
.LBB22_355:
	s_mov_b32 s3, exec_lo
	v_cmpx_ne_u32_e32 2, v0
	s_cbranch_execz .LBB22_357
; %bb.356:
	v_cmp_eq_u32_e32 vcc_lo, 1, v35
	v_dual_mov_b32 v27, 0 :: v_dual_cndmask_b32 v26, v2, v3
	v_cmp_eq_u32_e32 vcc_lo, 2, v35
	ds_load_b32 v27, v27 offset:104
	v_cndmask_b32_e32 v26, v26, v4, vcc_lo
	v_cmp_eq_u32_e32 vcc_lo, 3, v35
	s_delay_alu instid0(VALU_DEP_2) | instskip(SKIP_4) | instid1(VALU_DEP_2)
	v_cndmask_b32_e32 v5, v26, v5, vcc_lo
	v_cmp_eq_u32_e32 vcc_lo, 4, v35
	ds_load_b32 v26, v115 offset:4
	v_cndmask_b32_e32 v5, v5, v6, vcc_lo
	v_cmp_eq_u32_e32 vcc_lo, 5, v35
	v_cndmask_b32_e32 v5, v5, v7, vcc_lo
	v_cmp_eq_u32_e32 vcc_lo, 6, v35
	s_delay_alu instid0(VALU_DEP_2) | instskip(SKIP_1) | instid1(VALU_DEP_2)
	v_cndmask_b32_e32 v5, v5, v8, vcc_lo
	v_cmp_eq_u32_e32 vcc_lo, 7, v35
	v_cndmask_b32_e32 v5, v5, v9, vcc_lo
	v_cmp_eq_u32_e32 vcc_lo, 8, v35
	s_delay_alu instid0(VALU_DEP_2) | instskip(SKIP_1) | instid1(VALU_DEP_2)
	;; [unrolled: 5-line block ×8, first 2 shown]
	v_cndmask_b32_e32 v5, v5, v22, vcc_lo
	v_cmp_eq_u32_e32 vcc_lo, 21, v35
	v_cndmask_b32_e32 v5, v5, v23, vcc_lo
	v_cmp_eq_u32_e32 vcc_lo, 22, v35
	s_delay_alu instid0(VALU_DEP_2) | instskip(SKIP_1) | instid1(VALU_DEP_1)
	v_cndmask_b32_e32 v5, v5, v24, vcc_lo
	s_wait_dscnt 0x0
	v_fmac_f32_e32 v25, v5, v26
	s_delay_alu instid0(VALU_DEP_1) | instskip(NEXT) | instid1(VALU_DEP_1)
	v_fma_f32 v5, v4, v27, v25
	v_cndmask_b32_e64 v25, v25, v5, s0
.LBB22_357:
	s_or_b32 exec_lo, exec_lo, s3
	v_mov_b32_e32 v5, 0
	ds_load_b32 v5, v5 offset:12
	s_wait_dscnt 0x0
	v_mul_f32_e32 v5, v25, v5
.LBB22_358:
	s_or_b32 exec_lo, exec_lo, s2
	s_delay_alu instid0(SALU_CYCLE_1)
	s_mov_b32 s2, exec_lo
	ds_store_b32 v115, v6
	s_wait_dscnt 0x0
	s_barrier_signal -1
	s_barrier_wait -1
	v_cmpx_gt_u32_e32 4, v0
	s_cbranch_execz .LBB22_368
; %bb.359:
	v_cmp_ne_u32_e32 vcc_lo, 1, v34
	s_cbranch_vccnz .LBB22_361
; %bb.360:
	v_cmp_eq_u32_e32 vcc_lo, 1, v0
	ds_load_b32 v26, v115
	v_cndmask_b32_e32 v25, v2, v3, vcc_lo
	v_cmp_eq_u32_e32 vcc_lo, 2, v0
	s_delay_alu instid0(VALU_DEP_2) | instskip(SKIP_1) | instid1(VALU_DEP_2)
	v_cndmask_b32_e32 v25, v25, v4, vcc_lo
	v_cmp_eq_u32_e32 vcc_lo, 3, v0
	v_cndmask_b32_e32 v25, v25, v5, vcc_lo
	v_cmp_eq_u32_e32 vcc_lo, 4, v0
	s_delay_alu instid0(VALU_DEP_2) | instskip(SKIP_1) | instid1(VALU_DEP_2)
	v_cndmask_b32_e32 v25, v25, v6, vcc_lo
	v_cmp_eq_u32_e32 vcc_lo, 5, v0
	;; [unrolled: 5-line block ×10, first 2 shown]
	v_cndmask_b32_e32 v25, v25, v23, vcc_lo
	v_cmp_eq_u32_e32 vcc_lo, 22, v0
	s_delay_alu instid0(VALU_DEP_2) | instskip(SKIP_1) | instid1(VALU_DEP_1)
	v_cndmask_b32_e32 v25, v25, v24, vcc_lo
	s_wait_dscnt 0x0
	v_mul_f32_e32 v25, v25, v26
	s_cbranch_execz .LBB22_362
	s_branch .LBB22_363
.LBB22_361:
                                        ; implicit-def: $vgpr25
.LBB22_362:
	ds_load_b32 v25, v115
.LBB22_363:
	s_mov_b32 s3, exec_lo
	v_cmpx_ne_u32_e32 3, v0
	s_cbranch_execz .LBB22_367
; %bb.364:
	v_mov_b64_e32 v[26:27], v[0:1]
	v_lshl_add_u32 v28, v0, 2, 0x64
	s_mov_b32 s4, 0
.LBB22_365:                             ; =>This Inner Loop Header: Depth=1
	s_delay_alu instid0(VALU_DEP_2)
	v_add_nc_u64_e32 v[26:27], 1, v[26:27]
	ds_load_b32 v30, v28
	v_add_nc_u32_e32 v28, 4, v28
	v_cmp_eq_u32_e32 vcc_lo, 1, v26
	v_cndmask_b32_e32 v29, v2, v3, vcc_lo
	v_cmp_eq_u32_e32 vcc_lo, 2, v26
	s_delay_alu instid0(VALU_DEP_2) | instskip(SKIP_1) | instid1(VALU_DEP_2)
	v_cndmask_b32_e32 v29, v29, v4, vcc_lo
	v_cmp_eq_u32_e32 vcc_lo, 3, v26
	v_cndmask_b32_e32 v29, v29, v5, vcc_lo
	v_cmp_eq_u32_e32 vcc_lo, 4, v26
	s_delay_alu instid0(VALU_DEP_2) | instskip(SKIP_1) | instid1(VALU_DEP_2)
	v_cndmask_b32_e32 v29, v29, v6, vcc_lo
	;; [unrolled: 5-line block ×10, first 2 shown]
	v_cmp_eq_u32_e32 vcc_lo, 21, v26
	v_cndmask_b32_e32 v29, v29, v23, vcc_lo
	v_cmp_eq_u32_e32 vcc_lo, 22, v26
	s_delay_alu instid0(VALU_DEP_2) | instskip(SKIP_2) | instid1(VALU_DEP_2)
	v_cndmask_b32_e32 v29, v29, v24, vcc_lo
	v_cmp_lt_u32_e32 vcc_lo, 2, v26
	s_wait_dscnt 0x0
	v_fmac_f32_e32 v25, v29, v30
	s_or_b32 s4, vcc_lo, s4
	s_delay_alu instid0(SALU_CYCLE_1)
	s_and_not1_b32 exec_lo, exec_lo, s4
	s_cbranch_execnz .LBB22_365
; %bb.366:
	s_or_b32 exec_lo, exec_lo, s4
.LBB22_367:
	s_delay_alu instid0(SALU_CYCLE_1)
	s_or_b32 exec_lo, exec_lo, s3
	v_mov_b32_e32 v6, 0
	ds_load_b32 v6, v6 offset:16
	s_wait_dscnt 0x0
	v_mul_f32_e32 v6, v25, v6
.LBB22_368:
	s_or_b32 exec_lo, exec_lo, s2
	v_cmp_gt_u32_e64 s2, 5, v0
	ds_store_b32 v115, v7
	s_wait_dscnt 0x0
	s_barrier_signal -1
	s_barrier_wait -1
	s_and_saveexec_b32 s3, s2
	s_cbranch_execz .LBB22_378
; %bb.369:
	v_cmp_ne_u32_e32 vcc_lo, 1, v34
	s_cbranch_vccnz .LBB22_371
; %bb.370:
	v_cmp_eq_u32_e32 vcc_lo, 1, v0
	ds_load_b32 v26, v115
	v_cndmask_b32_e32 v25, v2, v3, vcc_lo
	v_cmp_eq_u32_e32 vcc_lo, 2, v0
	s_delay_alu instid0(VALU_DEP_2) | instskip(SKIP_1) | instid1(VALU_DEP_2)
	v_cndmask_b32_e32 v25, v25, v4, vcc_lo
	v_cmp_eq_u32_e32 vcc_lo, 3, v0
	v_cndmask_b32_e32 v25, v25, v5, vcc_lo
	v_cmp_eq_u32_e32 vcc_lo, 4, v0
	s_delay_alu instid0(VALU_DEP_2) | instskip(SKIP_1) | instid1(VALU_DEP_2)
	v_cndmask_b32_e32 v25, v25, v6, vcc_lo
	v_cmp_eq_u32_e32 vcc_lo, 5, v0
	;; [unrolled: 5-line block ×10, first 2 shown]
	v_cndmask_b32_e32 v25, v25, v23, vcc_lo
	v_cmp_eq_u32_e32 vcc_lo, 22, v0
	s_delay_alu instid0(VALU_DEP_2) | instskip(SKIP_1) | instid1(VALU_DEP_1)
	v_cndmask_b32_e32 v25, v25, v24, vcc_lo
	s_wait_dscnt 0x0
	v_mul_f32_e32 v25, v25, v26
	s_cbranch_execz .LBB22_372
	s_branch .LBB22_373
.LBB22_371:
                                        ; implicit-def: $vgpr25
.LBB22_372:
	ds_load_b32 v25, v115
.LBB22_373:
	s_mov_b32 s4, exec_lo
	v_cmpx_ne_u32_e32 4, v0
	s_cbranch_execz .LBB22_377
; %bb.374:
	v_mov_b64_e32 v[26:27], v[0:1]
	v_lshl_add_u32 v28, v0, 2, 0x64
	s_mov_b32 s5, 0
.LBB22_375:                             ; =>This Inner Loop Header: Depth=1
	s_delay_alu instid0(VALU_DEP_2)
	v_add_nc_u64_e32 v[26:27], 1, v[26:27]
	ds_load_b32 v30, v28
	v_add_nc_u32_e32 v28, 4, v28
	v_cmp_eq_u32_e32 vcc_lo, 1, v26
	v_cndmask_b32_e32 v29, v2, v3, vcc_lo
	v_cmp_eq_u32_e32 vcc_lo, 2, v26
	s_delay_alu instid0(VALU_DEP_2) | instskip(SKIP_1) | instid1(VALU_DEP_2)
	v_cndmask_b32_e32 v29, v29, v4, vcc_lo
	v_cmp_eq_u32_e32 vcc_lo, 3, v26
	v_cndmask_b32_e32 v29, v29, v5, vcc_lo
	v_cmp_eq_u32_e32 vcc_lo, 4, v26
	s_delay_alu instid0(VALU_DEP_2) | instskip(SKIP_1) | instid1(VALU_DEP_2)
	v_cndmask_b32_e32 v29, v29, v6, vcc_lo
	;; [unrolled: 5-line block ×10, first 2 shown]
	v_cmp_eq_u32_e32 vcc_lo, 21, v26
	v_cndmask_b32_e32 v29, v29, v23, vcc_lo
	v_cmp_eq_u32_e32 vcc_lo, 22, v26
	s_delay_alu instid0(VALU_DEP_2) | instskip(SKIP_2) | instid1(VALU_DEP_2)
	v_cndmask_b32_e32 v29, v29, v24, vcc_lo
	v_cmp_lt_u32_e32 vcc_lo, 3, v26
	s_wait_dscnt 0x0
	v_fmac_f32_e32 v25, v29, v30
	s_or_b32 s5, vcc_lo, s5
	s_delay_alu instid0(SALU_CYCLE_1)
	s_and_not1_b32 exec_lo, exec_lo, s5
	s_cbranch_execnz .LBB22_375
; %bb.376:
	s_or_b32 exec_lo, exec_lo, s5
.LBB22_377:
	s_delay_alu instid0(SALU_CYCLE_1)
	s_or_b32 exec_lo, exec_lo, s4
	v_mov_b32_e32 v7, 0
	ds_load_b32 v7, v7 offset:20
	s_wait_dscnt 0x0
	v_mul_f32_e32 v7, v25, v7
.LBB22_378:
	s_or_b32 exec_lo, exec_lo, s3
	s_delay_alu instid0(SALU_CYCLE_1)
	s_mov_b32 s3, exec_lo
	ds_store_b32 v115, v8
	s_wait_dscnt 0x0
	s_barrier_signal -1
	s_barrier_wait -1
	v_cmpx_gt_u32_e32 6, v0
	s_cbranch_execz .LBB22_388
; %bb.379:
	v_cmp_ne_u32_e32 vcc_lo, 1, v34
	s_cbranch_vccnz .LBB22_381
; %bb.380:
	v_cmp_eq_u32_e32 vcc_lo, 1, v0
	ds_load_b32 v26, v115
	v_cndmask_b32_e32 v25, v2, v3, vcc_lo
	v_cmp_eq_u32_e32 vcc_lo, 2, v0
	s_delay_alu instid0(VALU_DEP_2) | instskip(SKIP_1) | instid1(VALU_DEP_2)
	v_cndmask_b32_e32 v25, v25, v4, vcc_lo
	v_cmp_eq_u32_e32 vcc_lo, 3, v0
	v_cndmask_b32_e32 v25, v25, v5, vcc_lo
	v_cmp_eq_u32_e32 vcc_lo, 4, v0
	s_delay_alu instid0(VALU_DEP_2) | instskip(SKIP_1) | instid1(VALU_DEP_2)
	v_cndmask_b32_e32 v25, v25, v6, vcc_lo
	v_cmp_eq_u32_e32 vcc_lo, 5, v0
	;; [unrolled: 5-line block ×10, first 2 shown]
	v_cndmask_b32_e32 v25, v25, v23, vcc_lo
	v_cmp_eq_u32_e32 vcc_lo, 22, v0
	s_delay_alu instid0(VALU_DEP_2) | instskip(SKIP_1) | instid1(VALU_DEP_1)
	v_cndmask_b32_e32 v25, v25, v24, vcc_lo
	s_wait_dscnt 0x0
	v_mul_f32_e32 v25, v25, v26
	s_cbranch_execz .LBB22_382
	s_branch .LBB22_383
.LBB22_381:
                                        ; implicit-def: $vgpr25
.LBB22_382:
	ds_load_b32 v25, v115
.LBB22_383:
	s_mov_b32 s4, exec_lo
	v_cmpx_ne_u32_e32 5, v0
	s_cbranch_execz .LBB22_387
; %bb.384:
	v_mov_b64_e32 v[26:27], v[0:1]
	v_lshl_add_u32 v28, v0, 2, 0x64
	s_mov_b32 s5, 0
.LBB22_385:                             ; =>This Inner Loop Header: Depth=1
	s_delay_alu instid0(VALU_DEP_2)
	v_add_nc_u64_e32 v[26:27], 1, v[26:27]
	ds_load_b32 v30, v28
	v_add_nc_u32_e32 v28, 4, v28
	v_cmp_eq_u32_e32 vcc_lo, 1, v26
	v_cndmask_b32_e32 v29, v2, v3, vcc_lo
	v_cmp_eq_u32_e32 vcc_lo, 2, v26
	s_delay_alu instid0(VALU_DEP_2) | instskip(SKIP_1) | instid1(VALU_DEP_2)
	v_cndmask_b32_e32 v29, v29, v4, vcc_lo
	v_cmp_eq_u32_e32 vcc_lo, 3, v26
	v_cndmask_b32_e32 v29, v29, v5, vcc_lo
	v_cmp_eq_u32_e32 vcc_lo, 4, v26
	s_delay_alu instid0(VALU_DEP_2) | instskip(SKIP_1) | instid1(VALU_DEP_2)
	v_cndmask_b32_e32 v29, v29, v6, vcc_lo
	;; [unrolled: 5-line block ×10, first 2 shown]
	v_cmp_eq_u32_e32 vcc_lo, 21, v26
	v_cndmask_b32_e32 v29, v29, v23, vcc_lo
	v_cmp_eq_u32_e32 vcc_lo, 22, v26
	s_delay_alu instid0(VALU_DEP_2) | instskip(SKIP_2) | instid1(VALU_DEP_2)
	v_cndmask_b32_e32 v29, v29, v24, vcc_lo
	v_cmp_lt_u32_e32 vcc_lo, 4, v26
	s_wait_dscnt 0x0
	v_fmac_f32_e32 v25, v29, v30
	s_or_b32 s5, vcc_lo, s5
	s_delay_alu instid0(SALU_CYCLE_1)
	s_and_not1_b32 exec_lo, exec_lo, s5
	s_cbranch_execnz .LBB22_385
; %bb.386:
	s_or_b32 exec_lo, exec_lo, s5
.LBB22_387:
	s_delay_alu instid0(SALU_CYCLE_1)
	s_or_b32 exec_lo, exec_lo, s4
	v_mov_b32_e32 v8, 0
	ds_load_b32 v8, v8 offset:24
	s_wait_dscnt 0x0
	v_mul_f32_e32 v8, v25, v8
.LBB22_388:
	s_or_b32 exec_lo, exec_lo, s3
	v_cmp_gt_u32_e64 s3, 7, v0
	ds_store_b32 v115, v9
	s_wait_dscnt 0x0
	s_barrier_signal -1
	s_barrier_wait -1
	s_and_saveexec_b32 s4, s3
	s_cbranch_execz .LBB22_398
; %bb.389:
	v_cmp_ne_u32_e32 vcc_lo, 1, v34
	s_cbranch_vccnz .LBB22_391
; %bb.390:
	v_cmp_eq_u32_e32 vcc_lo, 1, v0
	ds_load_b32 v26, v115
	v_cndmask_b32_e32 v25, v2, v3, vcc_lo
	v_cmp_eq_u32_e32 vcc_lo, 2, v0
	s_delay_alu instid0(VALU_DEP_2) | instskip(SKIP_1) | instid1(VALU_DEP_2)
	v_cndmask_b32_e32 v25, v25, v4, vcc_lo
	v_cmp_eq_u32_e32 vcc_lo, 3, v0
	v_cndmask_b32_e32 v25, v25, v5, vcc_lo
	v_cmp_eq_u32_e32 vcc_lo, 4, v0
	s_delay_alu instid0(VALU_DEP_2) | instskip(SKIP_1) | instid1(VALU_DEP_2)
	v_cndmask_b32_e32 v25, v25, v6, vcc_lo
	v_cmp_eq_u32_e32 vcc_lo, 5, v0
	;; [unrolled: 5-line block ×10, first 2 shown]
	v_cndmask_b32_e32 v25, v25, v23, vcc_lo
	v_cmp_eq_u32_e32 vcc_lo, 22, v0
	s_delay_alu instid0(VALU_DEP_2) | instskip(SKIP_1) | instid1(VALU_DEP_1)
	v_cndmask_b32_e32 v25, v25, v24, vcc_lo
	s_wait_dscnt 0x0
	v_mul_f32_e32 v25, v25, v26
	s_cbranch_execz .LBB22_392
	s_branch .LBB22_393
.LBB22_391:
                                        ; implicit-def: $vgpr25
.LBB22_392:
	ds_load_b32 v25, v115
.LBB22_393:
	s_mov_b32 s5, exec_lo
	v_cmpx_ne_u32_e32 6, v0
	s_cbranch_execz .LBB22_397
; %bb.394:
	v_mov_b64_e32 v[26:27], v[0:1]
	v_lshl_add_u32 v28, v0, 2, 0x64
	s_mov_b32 s6, 0
.LBB22_395:                             ; =>This Inner Loop Header: Depth=1
	s_delay_alu instid0(VALU_DEP_2)
	v_add_nc_u64_e32 v[26:27], 1, v[26:27]
	ds_load_b32 v30, v28
	v_add_nc_u32_e32 v28, 4, v28
	v_cmp_eq_u32_e32 vcc_lo, 1, v26
	v_cndmask_b32_e32 v29, v2, v3, vcc_lo
	v_cmp_eq_u32_e32 vcc_lo, 2, v26
	s_delay_alu instid0(VALU_DEP_2) | instskip(SKIP_1) | instid1(VALU_DEP_2)
	v_cndmask_b32_e32 v29, v29, v4, vcc_lo
	v_cmp_eq_u32_e32 vcc_lo, 3, v26
	v_cndmask_b32_e32 v29, v29, v5, vcc_lo
	v_cmp_eq_u32_e32 vcc_lo, 4, v26
	s_delay_alu instid0(VALU_DEP_2) | instskip(SKIP_1) | instid1(VALU_DEP_2)
	v_cndmask_b32_e32 v29, v29, v6, vcc_lo
	;; [unrolled: 5-line block ×10, first 2 shown]
	v_cmp_eq_u32_e32 vcc_lo, 21, v26
	v_cndmask_b32_e32 v29, v29, v23, vcc_lo
	v_cmp_eq_u32_e32 vcc_lo, 22, v26
	s_delay_alu instid0(VALU_DEP_2) | instskip(SKIP_2) | instid1(VALU_DEP_2)
	v_cndmask_b32_e32 v29, v29, v24, vcc_lo
	v_cmp_lt_u32_e32 vcc_lo, 5, v26
	s_wait_dscnt 0x0
	v_fmac_f32_e32 v25, v29, v30
	s_or_b32 s6, vcc_lo, s6
	s_delay_alu instid0(SALU_CYCLE_1)
	s_and_not1_b32 exec_lo, exec_lo, s6
	s_cbranch_execnz .LBB22_395
; %bb.396:
	s_or_b32 exec_lo, exec_lo, s6
.LBB22_397:
	s_delay_alu instid0(SALU_CYCLE_1)
	s_or_b32 exec_lo, exec_lo, s5
	v_mov_b32_e32 v9, 0
	ds_load_b32 v9, v9 offset:28
	s_wait_dscnt 0x0
	v_mul_f32_e32 v9, v25, v9
.LBB22_398:
	s_or_b32 exec_lo, exec_lo, s4
	s_delay_alu instid0(SALU_CYCLE_1)
	s_mov_b32 s4, exec_lo
	ds_store_b32 v115, v10
	s_wait_dscnt 0x0
	s_barrier_signal -1
	s_barrier_wait -1
	v_cmpx_gt_u32_e32 8, v0
	s_cbranch_execz .LBB22_408
; %bb.399:
	v_cmp_ne_u32_e32 vcc_lo, 1, v34
	s_cbranch_vccnz .LBB22_401
; %bb.400:
	v_cmp_eq_u32_e32 vcc_lo, 1, v0
	ds_load_b32 v26, v115
	v_cndmask_b32_e32 v25, v2, v3, vcc_lo
	v_cmp_eq_u32_e32 vcc_lo, 2, v0
	s_delay_alu instid0(VALU_DEP_2) | instskip(SKIP_1) | instid1(VALU_DEP_2)
	v_cndmask_b32_e32 v25, v25, v4, vcc_lo
	v_cmp_eq_u32_e32 vcc_lo, 3, v0
	v_cndmask_b32_e32 v25, v25, v5, vcc_lo
	v_cmp_eq_u32_e32 vcc_lo, 4, v0
	s_delay_alu instid0(VALU_DEP_2) | instskip(SKIP_1) | instid1(VALU_DEP_2)
	v_cndmask_b32_e32 v25, v25, v6, vcc_lo
	v_cmp_eq_u32_e32 vcc_lo, 5, v0
	;; [unrolled: 5-line block ×10, first 2 shown]
	v_cndmask_b32_e32 v25, v25, v23, vcc_lo
	v_cmp_eq_u32_e32 vcc_lo, 22, v0
	s_delay_alu instid0(VALU_DEP_2) | instskip(SKIP_1) | instid1(VALU_DEP_1)
	v_cndmask_b32_e32 v25, v25, v24, vcc_lo
	s_wait_dscnt 0x0
	v_mul_f32_e32 v25, v25, v26
	s_cbranch_execz .LBB22_402
	s_branch .LBB22_403
.LBB22_401:
                                        ; implicit-def: $vgpr25
.LBB22_402:
	ds_load_b32 v25, v115
.LBB22_403:
	s_mov_b32 s5, exec_lo
	v_cmpx_ne_u32_e32 7, v0
	s_cbranch_execz .LBB22_407
; %bb.404:
	v_mov_b64_e32 v[26:27], v[0:1]
	v_lshl_add_u32 v28, v0, 2, 0x64
	s_mov_b32 s6, 0
.LBB22_405:                             ; =>This Inner Loop Header: Depth=1
	s_delay_alu instid0(VALU_DEP_2)
	v_add_nc_u64_e32 v[26:27], 1, v[26:27]
	ds_load_b32 v30, v28
	v_add_nc_u32_e32 v28, 4, v28
	v_cmp_eq_u32_e32 vcc_lo, 1, v26
	v_cndmask_b32_e32 v29, v2, v3, vcc_lo
	v_cmp_eq_u32_e32 vcc_lo, 2, v26
	s_delay_alu instid0(VALU_DEP_2) | instskip(SKIP_1) | instid1(VALU_DEP_2)
	v_cndmask_b32_e32 v29, v29, v4, vcc_lo
	v_cmp_eq_u32_e32 vcc_lo, 3, v26
	v_cndmask_b32_e32 v29, v29, v5, vcc_lo
	v_cmp_eq_u32_e32 vcc_lo, 4, v26
	s_delay_alu instid0(VALU_DEP_2) | instskip(SKIP_1) | instid1(VALU_DEP_2)
	v_cndmask_b32_e32 v29, v29, v6, vcc_lo
	;; [unrolled: 5-line block ×10, first 2 shown]
	v_cmp_eq_u32_e32 vcc_lo, 21, v26
	v_cndmask_b32_e32 v29, v29, v23, vcc_lo
	v_cmp_eq_u32_e32 vcc_lo, 22, v26
	s_delay_alu instid0(VALU_DEP_2) | instskip(SKIP_2) | instid1(VALU_DEP_2)
	v_cndmask_b32_e32 v29, v29, v24, vcc_lo
	v_cmp_lt_u32_e32 vcc_lo, 6, v26
	s_wait_dscnt 0x0
	v_fmac_f32_e32 v25, v29, v30
	s_or_b32 s6, vcc_lo, s6
	s_delay_alu instid0(SALU_CYCLE_1)
	s_and_not1_b32 exec_lo, exec_lo, s6
	s_cbranch_execnz .LBB22_405
; %bb.406:
	s_or_b32 exec_lo, exec_lo, s6
.LBB22_407:
	s_delay_alu instid0(SALU_CYCLE_1)
	s_or_b32 exec_lo, exec_lo, s5
	v_mov_b32_e32 v10, 0
	ds_load_b32 v10, v10 offset:32
	s_wait_dscnt 0x0
	v_mul_f32_e32 v10, v25, v10
.LBB22_408:
	s_or_b32 exec_lo, exec_lo, s4
	s_delay_alu instid0(SALU_CYCLE_1)
	s_mov_b32 s4, exec_lo
	ds_store_b32 v115, v11
	s_wait_dscnt 0x0
	s_barrier_signal -1
	s_barrier_wait -1
	v_cmpx_gt_u32_e32 9, v0
	s_cbranch_execz .LBB22_430
; %bb.409:
	v_cmp_ne_u32_e32 vcc_lo, 1, v34
	s_cbranch_vccnz .LBB22_411
; %bb.410:
	v_cmp_eq_u32_e32 vcc_lo, 1, v0
	ds_load_b32 v26, v115
	v_cndmask_b32_e32 v25, v2, v3, vcc_lo
	v_cmp_eq_u32_e32 vcc_lo, 2, v0
	s_delay_alu instid0(VALU_DEP_2) | instskip(SKIP_1) | instid1(VALU_DEP_2)
	v_cndmask_b32_e32 v25, v25, v4, vcc_lo
	v_cmp_eq_u32_e32 vcc_lo, 3, v0
	v_cndmask_b32_e32 v25, v25, v5, vcc_lo
	v_cmp_eq_u32_e32 vcc_lo, 4, v0
	s_delay_alu instid0(VALU_DEP_2) | instskip(SKIP_1) | instid1(VALU_DEP_2)
	v_cndmask_b32_e32 v25, v25, v6, vcc_lo
	v_cmp_eq_u32_e32 vcc_lo, 5, v0
	;; [unrolled: 5-line block ×10, first 2 shown]
	v_cndmask_b32_e32 v25, v25, v23, vcc_lo
	v_cmp_eq_u32_e32 vcc_lo, 22, v0
	s_delay_alu instid0(VALU_DEP_2) | instskip(SKIP_1) | instid1(VALU_DEP_1)
	v_cndmask_b32_e32 v25, v25, v24, vcc_lo
	s_wait_dscnt 0x0
	v_mul_f32_e32 v25, v25, v26
	s_cbranch_execz .LBB22_412
	s_branch .LBB22_413
.LBB22_411:
                                        ; implicit-def: $vgpr25
.LBB22_412:
	ds_load_b32 v25, v115
.LBB22_413:
	s_mov_b32 s5, exec_lo
	v_cmpx_ne_u32_e32 8, v0
	s_cbranch_execz .LBB22_429
; %bb.414:
	v_cmp_eq_u32_e32 vcc_lo, 1, v35
	ds_load_b32 v27, v115 offset:4
	v_cndmask_b32_e32 v26, v2, v3, vcc_lo
	v_cmp_eq_u32_e32 vcc_lo, 2, v35
	s_delay_alu instid0(VALU_DEP_2) | instskip(SKIP_1) | instid1(VALU_DEP_2)
	v_cndmask_b32_e32 v26, v26, v4, vcc_lo
	v_cmp_eq_u32_e32 vcc_lo, 3, v35
	v_cndmask_b32_e32 v26, v26, v5, vcc_lo
	v_cmp_eq_u32_e32 vcc_lo, 4, v35
	s_delay_alu instid0(VALU_DEP_2) | instskip(SKIP_1) | instid1(VALU_DEP_2)
	v_cndmask_b32_e32 v26, v26, v6, vcc_lo
	v_cmp_eq_u32_e32 vcc_lo, 5, v35
	;; [unrolled: 5-line block ×10, first 2 shown]
	v_cndmask_b32_e32 v26, v26, v23, vcc_lo
	v_cmp_eq_u32_e32 vcc_lo, 22, v35
	s_delay_alu instid0(VALU_DEP_2) | instskip(SKIP_1) | instid1(VALU_DEP_1)
	v_cndmask_b32_e32 v26, v26, v24, vcc_lo
	s_wait_dscnt 0x0
	v_fmac_f32_e32 v25, v26, v27
	s_and_saveexec_b32 s6, s3
	s_cbranch_execz .LBB22_428
; %bb.415:
	v_add_nc_u32_e32 v26, 2, v0
	ds_load_b32 v28, v115 offset:8
	s_mov_b32 s3, exec_lo
	v_cmp_eq_u32_e32 vcc_lo, 1, v26
	v_cndmask_b32_e32 v27, v2, v3, vcc_lo
	v_cmp_eq_u32_e32 vcc_lo, 2, v26
	s_delay_alu instid0(VALU_DEP_2) | instskip(SKIP_1) | instid1(VALU_DEP_2)
	v_cndmask_b32_e32 v27, v27, v4, vcc_lo
	v_cmp_eq_u32_e32 vcc_lo, 3, v26
	v_cndmask_b32_e32 v27, v27, v5, vcc_lo
	v_cmp_eq_u32_e32 vcc_lo, 4, v26
	s_delay_alu instid0(VALU_DEP_2) | instskip(SKIP_1) | instid1(VALU_DEP_2)
	v_cndmask_b32_e32 v27, v27, v6, vcc_lo
	;; [unrolled: 5-line block ×10, first 2 shown]
	v_cmp_eq_u32_e32 vcc_lo, 21, v26
	v_cndmask_b32_e32 v27, v27, v23, vcc_lo
	v_cmp_eq_u32_e32 vcc_lo, 22, v26
	s_delay_alu instid0(VALU_DEP_2) | instskip(SKIP_1) | instid1(VALU_DEP_1)
	v_cndmask_b32_e32 v26, v27, v24, vcc_lo
	s_wait_dscnt 0x0
	v_fmac_f32_e32 v25, v26, v28
	v_cmpx_ne_u32_e32 6, v0
	s_cbranch_execz .LBB22_427
; %bb.416:
	v_add_nc_u32_e32 v26, 3, v0
	ds_load_b32 v28, v115 offset:12
	v_cmp_eq_u32_e32 vcc_lo, 1, v26
	v_cndmask_b32_e32 v27, v2, v3, vcc_lo
	v_cmp_eq_u32_e32 vcc_lo, 2, v26
	s_delay_alu instid0(VALU_DEP_2) | instskip(SKIP_1) | instid1(VALU_DEP_2)
	v_cndmask_b32_e32 v27, v27, v4, vcc_lo
	v_cmp_eq_u32_e32 vcc_lo, 3, v26
	v_cndmask_b32_e32 v27, v27, v5, vcc_lo
	v_cmp_eq_u32_e32 vcc_lo, 4, v26
	s_delay_alu instid0(VALU_DEP_2) | instskip(SKIP_1) | instid1(VALU_DEP_2)
	v_cndmask_b32_e32 v27, v27, v6, vcc_lo
	v_cmp_eq_u32_e32 vcc_lo, 5, v26
	v_cndmask_b32_e32 v27, v27, v7, vcc_lo
	v_cmp_eq_u32_e32 vcc_lo, 6, v26
	s_delay_alu instid0(VALU_DEP_2) | instskip(SKIP_1) | instid1(VALU_DEP_2)
	v_cndmask_b32_e32 v27, v27, v8, vcc_lo
	v_cmp_eq_u32_e32 vcc_lo, 7, v26
	v_cndmask_b32_e32 v27, v27, v9, vcc_lo
	v_cmp_eq_u32_e32 vcc_lo, 8, v26
	s_delay_alu instid0(VALU_DEP_2) | instskip(SKIP_1) | instid1(VALU_DEP_2)
	v_cndmask_b32_e32 v27, v27, v10, vcc_lo
	v_cmp_eq_u32_e32 vcc_lo, 9, v26
	v_cndmask_b32_e32 v27, v27, v11, vcc_lo
	v_cmp_eq_u32_e32 vcc_lo, 10, v26
	s_delay_alu instid0(VALU_DEP_2) | instskip(SKIP_1) | instid1(VALU_DEP_2)
	v_cndmask_b32_e32 v27, v27, v12, vcc_lo
	v_cmp_eq_u32_e32 vcc_lo, 11, v26
	v_cndmask_b32_e32 v27, v27, v13, vcc_lo
	v_cmp_eq_u32_e32 vcc_lo, 12, v26
	s_delay_alu instid0(VALU_DEP_2) | instskip(SKIP_1) | instid1(VALU_DEP_2)
	v_cndmask_b32_e32 v27, v27, v14, vcc_lo
	v_cmp_eq_u32_e32 vcc_lo, 13, v26
	v_cndmask_b32_e32 v27, v27, v15, vcc_lo
	v_cmp_eq_u32_e32 vcc_lo, 14, v26
	s_delay_alu instid0(VALU_DEP_2) | instskip(SKIP_1) | instid1(VALU_DEP_2)
	v_cndmask_b32_e32 v27, v27, v16, vcc_lo
	v_cmp_eq_u32_e32 vcc_lo, 15, v26
	v_cndmask_b32_e32 v27, v27, v17, vcc_lo
	v_cmp_eq_u32_e32 vcc_lo, 16, v26
	s_delay_alu instid0(VALU_DEP_2) | instskip(SKIP_1) | instid1(VALU_DEP_2)
	v_cndmask_b32_e32 v27, v27, v18, vcc_lo
	v_cmp_eq_u32_e32 vcc_lo, 17, v26
	v_cndmask_b32_e32 v27, v27, v19, vcc_lo
	v_cmp_eq_u32_e32 vcc_lo, 18, v26
	s_delay_alu instid0(VALU_DEP_2) | instskip(SKIP_1) | instid1(VALU_DEP_2)
	v_cndmask_b32_e32 v27, v27, v20, vcc_lo
	v_cmp_eq_u32_e32 vcc_lo, 19, v26
	v_cndmask_b32_e32 v27, v27, v21, vcc_lo
	v_cmp_eq_u32_e32 vcc_lo, 20, v26
	s_delay_alu instid0(VALU_DEP_2) | instskip(SKIP_1) | instid1(VALU_DEP_2)
	v_cndmask_b32_e32 v27, v27, v22, vcc_lo
	v_cmp_eq_u32_e32 vcc_lo, 21, v26
	v_cndmask_b32_e32 v27, v27, v23, vcc_lo
	v_cmp_eq_u32_e32 vcc_lo, 22, v26
	s_delay_alu instid0(VALU_DEP_2) | instskip(SKIP_1) | instid1(VALU_DEP_1)
	v_cndmask_b32_e32 v26, v27, v24, vcc_lo
	s_wait_dscnt 0x0
	v_fmac_f32_e32 v25, v26, v28
	s_and_saveexec_b32 s7, s2
	s_cbranch_execz .LBB22_426
; %bb.417:
	v_add_nc_u32_e32 v26, 4, v0
	ds_load_b32 v28, v115 offset:16
	s_mov_b32 s2, exec_lo
	v_cmp_eq_u32_e32 vcc_lo, 1, v26
	v_cndmask_b32_e32 v27, v2, v3, vcc_lo
	v_cmp_eq_u32_e32 vcc_lo, 2, v26
	s_delay_alu instid0(VALU_DEP_2) | instskip(SKIP_1) | instid1(VALU_DEP_2)
	v_cndmask_b32_e32 v27, v27, v4, vcc_lo
	v_cmp_eq_u32_e32 vcc_lo, 3, v26
	v_cndmask_b32_e32 v27, v27, v5, vcc_lo
	v_cmp_eq_u32_e32 vcc_lo, 4, v26
	s_delay_alu instid0(VALU_DEP_2) | instskip(SKIP_1) | instid1(VALU_DEP_2)
	v_cndmask_b32_e32 v27, v27, v6, vcc_lo
	;; [unrolled: 5-line block ×10, first 2 shown]
	v_cmp_eq_u32_e32 vcc_lo, 21, v26
	v_cndmask_b32_e32 v27, v27, v23, vcc_lo
	v_cmp_eq_u32_e32 vcc_lo, 22, v26
	s_delay_alu instid0(VALU_DEP_2) | instskip(SKIP_1) | instid1(VALU_DEP_1)
	v_cndmask_b32_e32 v26, v27, v24, vcc_lo
	s_wait_dscnt 0x0
	v_fmac_f32_e32 v25, v26, v28
	v_cmpx_ne_u32_e32 4, v0
	s_cbranch_execz .LBB22_425
; %bb.418:
	v_add_nc_u32_e32 v26, 5, v0
	ds_load_b32 v28, v115 offset:20
	v_cmp_eq_u32_e32 vcc_lo, 1, v26
	v_cndmask_b32_e32 v27, v2, v3, vcc_lo
	v_cmp_eq_u32_e32 vcc_lo, 2, v26
	s_delay_alu instid0(VALU_DEP_2) | instskip(SKIP_1) | instid1(VALU_DEP_2)
	v_cndmask_b32_e32 v27, v27, v4, vcc_lo
	v_cmp_eq_u32_e32 vcc_lo, 3, v26
	v_cndmask_b32_e32 v27, v27, v5, vcc_lo
	v_cmp_eq_u32_e32 vcc_lo, 4, v26
	s_delay_alu instid0(VALU_DEP_2) | instskip(SKIP_1) | instid1(VALU_DEP_2)
	v_cndmask_b32_e32 v27, v27, v6, vcc_lo
	v_cmp_eq_u32_e32 vcc_lo, 5, v26
	v_cndmask_b32_e32 v27, v27, v7, vcc_lo
	v_cmp_eq_u32_e32 vcc_lo, 6, v26
	s_delay_alu instid0(VALU_DEP_2) | instskip(SKIP_1) | instid1(VALU_DEP_2)
	v_cndmask_b32_e32 v27, v27, v8, vcc_lo
	v_cmp_eq_u32_e32 vcc_lo, 7, v26
	v_cndmask_b32_e32 v27, v27, v9, vcc_lo
	v_cmp_eq_u32_e32 vcc_lo, 8, v26
	s_delay_alu instid0(VALU_DEP_2) | instskip(SKIP_1) | instid1(VALU_DEP_2)
	v_cndmask_b32_e32 v27, v27, v10, vcc_lo
	v_cmp_eq_u32_e32 vcc_lo, 9, v26
	v_cndmask_b32_e32 v27, v27, v11, vcc_lo
	v_cmp_eq_u32_e32 vcc_lo, 10, v26
	s_delay_alu instid0(VALU_DEP_2) | instskip(SKIP_1) | instid1(VALU_DEP_2)
	v_cndmask_b32_e32 v27, v27, v12, vcc_lo
	v_cmp_eq_u32_e32 vcc_lo, 11, v26
	v_cndmask_b32_e32 v27, v27, v13, vcc_lo
	v_cmp_eq_u32_e32 vcc_lo, 12, v26
	s_delay_alu instid0(VALU_DEP_2) | instskip(SKIP_1) | instid1(VALU_DEP_2)
	v_cndmask_b32_e32 v27, v27, v14, vcc_lo
	v_cmp_eq_u32_e32 vcc_lo, 13, v26
	v_cndmask_b32_e32 v27, v27, v15, vcc_lo
	v_cmp_eq_u32_e32 vcc_lo, 14, v26
	s_delay_alu instid0(VALU_DEP_2) | instskip(SKIP_1) | instid1(VALU_DEP_2)
	v_cndmask_b32_e32 v27, v27, v16, vcc_lo
	v_cmp_eq_u32_e32 vcc_lo, 15, v26
	v_cndmask_b32_e32 v27, v27, v17, vcc_lo
	v_cmp_eq_u32_e32 vcc_lo, 16, v26
	s_delay_alu instid0(VALU_DEP_2) | instskip(SKIP_1) | instid1(VALU_DEP_2)
	v_cndmask_b32_e32 v27, v27, v18, vcc_lo
	v_cmp_eq_u32_e32 vcc_lo, 17, v26
	v_cndmask_b32_e32 v27, v27, v19, vcc_lo
	v_cmp_eq_u32_e32 vcc_lo, 18, v26
	s_delay_alu instid0(VALU_DEP_2) | instskip(SKIP_1) | instid1(VALU_DEP_2)
	v_cndmask_b32_e32 v27, v27, v20, vcc_lo
	v_cmp_eq_u32_e32 vcc_lo, 19, v26
	v_cndmask_b32_e32 v27, v27, v21, vcc_lo
	v_cmp_eq_u32_e32 vcc_lo, 20, v26
	s_delay_alu instid0(VALU_DEP_2) | instskip(SKIP_1) | instid1(VALU_DEP_2)
	v_cndmask_b32_e32 v27, v27, v22, vcc_lo
	v_cmp_eq_u32_e32 vcc_lo, 21, v26
	v_cndmask_b32_e32 v27, v27, v23, vcc_lo
	v_cmp_eq_u32_e32 vcc_lo, 22, v26
	s_delay_alu instid0(VALU_DEP_2) | instskip(SKIP_1) | instid1(VALU_DEP_1)
	v_cndmask_b32_e32 v26, v27, v24, vcc_lo
	s_wait_dscnt 0x0
	v_fmac_f32_e32 v25, v26, v28
	s_and_saveexec_b32 s8, s1
	s_cbranch_execz .LBB22_424
; %bb.419:
	v_add_nc_u32_e32 v26, 6, v0
	ds_load_b32 v28, v115 offset:24
	s_mov_b32 s1, exec_lo
	v_cmp_eq_u32_e32 vcc_lo, 1, v26
	v_cndmask_b32_e32 v27, v2, v3, vcc_lo
	v_cmp_eq_u32_e32 vcc_lo, 2, v26
	s_delay_alu instid0(VALU_DEP_2) | instskip(SKIP_1) | instid1(VALU_DEP_2)
	v_cndmask_b32_e32 v27, v27, v4, vcc_lo
	v_cmp_eq_u32_e32 vcc_lo, 3, v26
	v_cndmask_b32_e32 v27, v27, v5, vcc_lo
	v_cmp_eq_u32_e32 vcc_lo, 4, v26
	s_delay_alu instid0(VALU_DEP_2) | instskip(SKIP_1) | instid1(VALU_DEP_2)
	v_cndmask_b32_e32 v27, v27, v6, vcc_lo
	;; [unrolled: 5-line block ×10, first 2 shown]
	v_cmp_eq_u32_e32 vcc_lo, 21, v26
	v_cndmask_b32_e32 v27, v27, v23, vcc_lo
	v_cmp_eq_u32_e32 vcc_lo, 22, v26
	s_delay_alu instid0(VALU_DEP_2) | instskip(SKIP_1) | instid1(VALU_DEP_1)
	v_cndmask_b32_e32 v26, v27, v24, vcc_lo
	s_wait_dscnt 0x0
	v_fmac_f32_e32 v25, v26, v28
	v_cmpx_ne_u32_e32 2, v0
	s_cbranch_execz .LBB22_423
; %bb.420:
	v_add_nc_u32_e32 v26, 7, v0
	s_delay_alu instid0(VALU_DEP_1) | instskip(SKIP_2) | instid1(VALU_DEP_2)
	v_cmp_eq_u32_e32 vcc_lo, 1, v26
	v_cndmask_b32_e32 v27, v2, v3, vcc_lo
	v_cmp_eq_u32_e32 vcc_lo, 2, v26
	v_cndmask_b32_e32 v27, v27, v4, vcc_lo
	v_cmp_eq_u32_e32 vcc_lo, 3, v26
	s_delay_alu instid0(VALU_DEP_2) | instskip(SKIP_1) | instid1(VALU_DEP_2)
	v_cndmask_b32_e32 v27, v27, v5, vcc_lo
	v_cmp_eq_u32_e32 vcc_lo, 4, v26
	v_cndmask_b32_e32 v27, v27, v6, vcc_lo
	v_cmp_eq_u32_e32 vcc_lo, 5, v26
	s_delay_alu instid0(VALU_DEP_2) | instskip(SKIP_1) | instid1(VALU_DEP_2)
	;; [unrolled: 5-line block ×3, first 2 shown]
	v_cndmask_b32_e32 v27, v27, v9, vcc_lo
	v_cmp_eq_u32_e32 vcc_lo, 8, v26
	v_cndmask_b32_e32 v27, v27, v10, vcc_lo
	v_cmp_eq_u32_e32 vcc_lo, 9, v26
	s_delay_alu instid0(VALU_DEP_2) | instskip(SKIP_4) | instid1(VALU_DEP_2)
	v_cndmask_b32_e32 v11, v27, v11, vcc_lo
	v_cmp_eq_u32_e32 vcc_lo, 10, v26
	ds_load_b32 v27, v115 offset:28
	v_cndmask_b32_e32 v11, v11, v12, vcc_lo
	v_cmp_eq_u32_e32 vcc_lo, 11, v26
	v_cndmask_b32_e32 v11, v11, v13, vcc_lo
	v_cmp_eq_u32_e32 vcc_lo, 12, v26
	s_delay_alu instid0(VALU_DEP_2) | instskip(SKIP_1) | instid1(VALU_DEP_2)
	v_cndmask_b32_e32 v11, v11, v14, vcc_lo
	v_cmp_eq_u32_e32 vcc_lo, 13, v26
	v_cndmask_b32_e32 v11, v11, v15, vcc_lo
	v_cmp_eq_u32_e32 vcc_lo, 14, v26
	s_delay_alu instid0(VALU_DEP_2) | instskip(SKIP_1) | instid1(VALU_DEP_2)
	;; [unrolled: 5-line block ×5, first 2 shown]
	v_cndmask_b32_e32 v11, v11, v22, vcc_lo
	v_cmp_eq_u32_e32 vcc_lo, 21, v26
	v_cndmask_b32_e32 v11, v11, v23, vcc_lo
	v_cmp_eq_u32_e32 vcc_lo, 22, v26
	s_delay_alu instid0(VALU_DEP_2) | instskip(SKIP_1) | instid1(VALU_DEP_1)
	v_cndmask_b32_e32 v11, v11, v24, vcc_lo
	s_wait_dscnt 0x0
	v_fmac_f32_e32 v25, v11, v27
	s_and_saveexec_b32 s9, s0
	s_cbranch_execz .LBB22_422
; %bb.421:
	ds_load_b32 v11, v115 offset:32
	s_wait_dscnt 0x0
	v_fmac_f32_e32 v25, v10, v11
.LBB22_422:
	s_or_b32 exec_lo, exec_lo, s9
.LBB22_423:
	s_delay_alu instid0(SALU_CYCLE_1)
	s_or_b32 exec_lo, exec_lo, s1
.LBB22_424:
	s_delay_alu instid0(SALU_CYCLE_1)
	s_or_b32 exec_lo, exec_lo, s8
.LBB22_425:
	s_delay_alu instid0(SALU_CYCLE_1)
	s_or_b32 exec_lo, exec_lo, s2
.LBB22_426:
	s_delay_alu instid0(SALU_CYCLE_1)
	s_or_b32 exec_lo, exec_lo, s7
.LBB22_427:
	s_delay_alu instid0(SALU_CYCLE_1)
	s_or_b32 exec_lo, exec_lo, s3
.LBB22_428:
	s_delay_alu instid0(SALU_CYCLE_1)
	s_or_b32 exec_lo, exec_lo, s6
.LBB22_429:
	s_delay_alu instid0(SALU_CYCLE_1)
	s_or_b32 exec_lo, exec_lo, s5
	v_mov_b32_e32 v11, 0
	ds_load_b32 v11, v11 offset:36
	s_wait_dscnt 0x0
	v_mul_f32_e32 v11, v25, v11
.LBB22_430:
	s_or_b32 exec_lo, exec_lo, s4
	s_delay_alu instid0(SALU_CYCLE_1)
	s_mov_b32 s0, exec_lo
	ds_store_b32 v115, v12
	s_wait_dscnt 0x0
	s_barrier_signal -1
	s_barrier_wait -1
	v_cmpx_gt_u32_e32 10, v0
	s_cbranch_execz .LBB22_440
; %bb.431:
	v_cmp_ne_u32_e32 vcc_lo, 1, v34
	s_cbranch_vccnz .LBB22_433
; %bb.432:
	v_cmp_eq_u32_e32 vcc_lo, 1, v0
	ds_load_b32 v26, v115
	v_cndmask_b32_e32 v25, v2, v3, vcc_lo
	v_cmp_eq_u32_e32 vcc_lo, 2, v0
	s_delay_alu instid0(VALU_DEP_2) | instskip(SKIP_1) | instid1(VALU_DEP_2)
	v_cndmask_b32_e32 v25, v25, v4, vcc_lo
	v_cmp_eq_u32_e32 vcc_lo, 3, v0
	v_cndmask_b32_e32 v25, v25, v5, vcc_lo
	v_cmp_eq_u32_e32 vcc_lo, 4, v0
	s_delay_alu instid0(VALU_DEP_2) | instskip(SKIP_1) | instid1(VALU_DEP_2)
	v_cndmask_b32_e32 v25, v25, v6, vcc_lo
	v_cmp_eq_u32_e32 vcc_lo, 5, v0
	;; [unrolled: 5-line block ×10, first 2 shown]
	v_cndmask_b32_e32 v25, v25, v23, vcc_lo
	v_cmp_eq_u32_e32 vcc_lo, 22, v0
	s_delay_alu instid0(VALU_DEP_2) | instskip(SKIP_1) | instid1(VALU_DEP_1)
	v_cndmask_b32_e32 v25, v25, v24, vcc_lo
	s_wait_dscnt 0x0
	v_mul_f32_e32 v25, v25, v26
	s_cbranch_execz .LBB22_434
	s_branch .LBB22_435
.LBB22_433:
                                        ; implicit-def: $vgpr25
.LBB22_434:
	ds_load_b32 v25, v115
.LBB22_435:
	s_mov_b32 s1, exec_lo
	v_cmpx_ne_u32_e32 9, v0
	s_cbranch_execz .LBB22_439
; %bb.436:
	v_mov_b64_e32 v[26:27], v[0:1]
	v_lshl_add_u32 v28, v0, 2, 0x64
	s_mov_b32 s2, 0
.LBB22_437:                             ; =>This Inner Loop Header: Depth=1
	s_delay_alu instid0(VALU_DEP_2)
	v_add_nc_u64_e32 v[26:27], 1, v[26:27]
	ds_load_b32 v30, v28
	v_add_nc_u32_e32 v28, 4, v28
	v_cmp_eq_u32_e32 vcc_lo, 1, v26
	v_cndmask_b32_e32 v29, v2, v3, vcc_lo
	v_cmp_eq_u32_e32 vcc_lo, 2, v26
	s_delay_alu instid0(VALU_DEP_2) | instskip(SKIP_1) | instid1(VALU_DEP_2)
	v_cndmask_b32_e32 v29, v29, v4, vcc_lo
	v_cmp_eq_u32_e32 vcc_lo, 3, v26
	v_cndmask_b32_e32 v29, v29, v5, vcc_lo
	v_cmp_eq_u32_e32 vcc_lo, 4, v26
	s_delay_alu instid0(VALU_DEP_2) | instskip(SKIP_1) | instid1(VALU_DEP_2)
	v_cndmask_b32_e32 v29, v29, v6, vcc_lo
	v_cmp_eq_u32_e32 vcc_lo, 5, v26
	v_cndmask_b32_e32 v29, v29, v7, vcc_lo
	v_cmp_eq_u32_e32 vcc_lo, 6, v26
	s_delay_alu instid0(VALU_DEP_2) | instskip(SKIP_1) | instid1(VALU_DEP_2)
	v_cndmask_b32_e32 v29, v29, v8, vcc_lo
	v_cmp_eq_u32_e32 vcc_lo, 7, v26
	v_cndmask_b32_e32 v29, v29, v9, vcc_lo
	v_cmp_eq_u32_e32 vcc_lo, 8, v26
	s_delay_alu instid0(VALU_DEP_2) | instskip(SKIP_1) | instid1(VALU_DEP_2)
	v_cndmask_b32_e32 v29, v29, v10, vcc_lo
	v_cmp_eq_u32_e32 vcc_lo, 9, v26
	v_cndmask_b32_e32 v29, v29, v11, vcc_lo
	v_cmp_eq_u32_e32 vcc_lo, 10, v26
	s_delay_alu instid0(VALU_DEP_2) | instskip(SKIP_1) | instid1(VALU_DEP_2)
	v_cndmask_b32_e32 v29, v29, v12, vcc_lo
	v_cmp_eq_u32_e32 vcc_lo, 11, v26
	v_cndmask_b32_e32 v29, v29, v13, vcc_lo
	v_cmp_eq_u32_e32 vcc_lo, 12, v26
	s_delay_alu instid0(VALU_DEP_2) | instskip(SKIP_1) | instid1(VALU_DEP_2)
	v_cndmask_b32_e32 v29, v29, v14, vcc_lo
	v_cmp_eq_u32_e32 vcc_lo, 13, v26
	v_cndmask_b32_e32 v29, v29, v15, vcc_lo
	v_cmp_eq_u32_e32 vcc_lo, 14, v26
	s_delay_alu instid0(VALU_DEP_2) | instskip(SKIP_1) | instid1(VALU_DEP_2)
	v_cndmask_b32_e32 v29, v29, v16, vcc_lo
	v_cmp_eq_u32_e32 vcc_lo, 15, v26
	v_cndmask_b32_e32 v29, v29, v17, vcc_lo
	v_cmp_eq_u32_e32 vcc_lo, 16, v26
	s_delay_alu instid0(VALU_DEP_2) | instskip(SKIP_1) | instid1(VALU_DEP_2)
	v_cndmask_b32_e32 v29, v29, v18, vcc_lo
	v_cmp_eq_u32_e32 vcc_lo, 17, v26
	v_cndmask_b32_e32 v29, v29, v19, vcc_lo
	v_cmp_eq_u32_e32 vcc_lo, 18, v26
	s_delay_alu instid0(VALU_DEP_2) | instskip(SKIP_1) | instid1(VALU_DEP_2)
	v_cndmask_b32_e32 v29, v29, v20, vcc_lo
	v_cmp_eq_u32_e32 vcc_lo, 19, v26
	v_cndmask_b32_e32 v29, v29, v21, vcc_lo
	v_cmp_eq_u32_e32 vcc_lo, 20, v26
	s_delay_alu instid0(VALU_DEP_2) | instskip(SKIP_1) | instid1(VALU_DEP_2)
	v_cndmask_b32_e32 v29, v29, v22, vcc_lo
	v_cmp_eq_u32_e32 vcc_lo, 21, v26
	v_cndmask_b32_e32 v29, v29, v23, vcc_lo
	v_cmp_eq_u32_e32 vcc_lo, 22, v26
	s_delay_alu instid0(VALU_DEP_2) | instskip(SKIP_2) | instid1(VALU_DEP_2)
	v_cndmask_b32_e32 v29, v29, v24, vcc_lo
	v_cmp_lt_u32_e32 vcc_lo, 8, v26
	s_wait_dscnt 0x0
	v_fmac_f32_e32 v25, v29, v30
	s_or_b32 s2, vcc_lo, s2
	s_delay_alu instid0(SALU_CYCLE_1)
	s_and_not1_b32 exec_lo, exec_lo, s2
	s_cbranch_execnz .LBB22_437
; %bb.438:
	s_or_b32 exec_lo, exec_lo, s2
.LBB22_439:
	s_delay_alu instid0(SALU_CYCLE_1)
	s_or_b32 exec_lo, exec_lo, s1
	v_mov_b32_e32 v12, 0
	ds_load_b32 v12, v12 offset:40
	s_wait_dscnt 0x0
	v_mul_f32_e32 v12, v25, v12
.LBB22_440:
	s_or_b32 exec_lo, exec_lo, s0
	s_delay_alu instid0(SALU_CYCLE_1)
	s_mov_b32 s0, exec_lo
	ds_store_b32 v115, v13
	s_wait_dscnt 0x0
	s_barrier_signal -1
	s_barrier_wait -1
	v_cmpx_gt_u32_e32 11, v0
	s_cbranch_execz .LBB22_450
; %bb.441:
	v_cmp_ne_u32_e32 vcc_lo, 1, v34
	s_cbranch_vccnz .LBB22_443
; %bb.442:
	v_cmp_eq_u32_e32 vcc_lo, 1, v0
	ds_load_b32 v26, v115
	v_cndmask_b32_e32 v25, v2, v3, vcc_lo
	v_cmp_eq_u32_e32 vcc_lo, 2, v0
	s_delay_alu instid0(VALU_DEP_2) | instskip(SKIP_1) | instid1(VALU_DEP_2)
	v_cndmask_b32_e32 v25, v25, v4, vcc_lo
	v_cmp_eq_u32_e32 vcc_lo, 3, v0
	v_cndmask_b32_e32 v25, v25, v5, vcc_lo
	v_cmp_eq_u32_e32 vcc_lo, 4, v0
	s_delay_alu instid0(VALU_DEP_2) | instskip(SKIP_1) | instid1(VALU_DEP_2)
	v_cndmask_b32_e32 v25, v25, v6, vcc_lo
	v_cmp_eq_u32_e32 vcc_lo, 5, v0
	;; [unrolled: 5-line block ×10, first 2 shown]
	v_cndmask_b32_e32 v25, v25, v23, vcc_lo
	v_cmp_eq_u32_e32 vcc_lo, 22, v0
	s_delay_alu instid0(VALU_DEP_2) | instskip(SKIP_1) | instid1(VALU_DEP_1)
	v_cndmask_b32_e32 v25, v25, v24, vcc_lo
	s_wait_dscnt 0x0
	v_mul_f32_e32 v25, v25, v26
	s_cbranch_execz .LBB22_444
	s_branch .LBB22_445
.LBB22_443:
                                        ; implicit-def: $vgpr25
.LBB22_444:
	ds_load_b32 v25, v115
.LBB22_445:
	s_mov_b32 s1, exec_lo
	v_cmpx_ne_u32_e32 10, v0
	s_cbranch_execz .LBB22_449
; %bb.446:
	v_mov_b64_e32 v[26:27], v[0:1]
	v_lshl_add_u32 v28, v0, 2, 0x64
	s_mov_b32 s2, 0
.LBB22_447:                             ; =>This Inner Loop Header: Depth=1
	s_delay_alu instid0(VALU_DEP_2)
	v_add_nc_u64_e32 v[26:27], 1, v[26:27]
	ds_load_b32 v30, v28
	v_add_nc_u32_e32 v28, 4, v28
	v_cmp_eq_u32_e32 vcc_lo, 1, v26
	v_cndmask_b32_e32 v29, v2, v3, vcc_lo
	v_cmp_eq_u32_e32 vcc_lo, 2, v26
	s_delay_alu instid0(VALU_DEP_2) | instskip(SKIP_1) | instid1(VALU_DEP_2)
	v_cndmask_b32_e32 v29, v29, v4, vcc_lo
	v_cmp_eq_u32_e32 vcc_lo, 3, v26
	v_cndmask_b32_e32 v29, v29, v5, vcc_lo
	v_cmp_eq_u32_e32 vcc_lo, 4, v26
	s_delay_alu instid0(VALU_DEP_2) | instskip(SKIP_1) | instid1(VALU_DEP_2)
	v_cndmask_b32_e32 v29, v29, v6, vcc_lo
	;; [unrolled: 5-line block ×10, first 2 shown]
	v_cmp_eq_u32_e32 vcc_lo, 21, v26
	v_cndmask_b32_e32 v29, v29, v23, vcc_lo
	v_cmp_eq_u32_e32 vcc_lo, 22, v26
	s_delay_alu instid0(VALU_DEP_2) | instskip(SKIP_2) | instid1(VALU_DEP_2)
	v_cndmask_b32_e32 v29, v29, v24, vcc_lo
	v_cmp_lt_u32_e32 vcc_lo, 9, v26
	s_wait_dscnt 0x0
	v_fmac_f32_e32 v25, v29, v30
	s_or_b32 s2, vcc_lo, s2
	s_delay_alu instid0(SALU_CYCLE_1)
	s_and_not1_b32 exec_lo, exec_lo, s2
	s_cbranch_execnz .LBB22_447
; %bb.448:
	s_or_b32 exec_lo, exec_lo, s2
.LBB22_449:
	s_delay_alu instid0(SALU_CYCLE_1)
	s_or_b32 exec_lo, exec_lo, s1
	v_mov_b32_e32 v13, 0
	ds_load_b32 v13, v13 offset:44
	s_wait_dscnt 0x0
	v_mul_f32_e32 v13, v25, v13
.LBB22_450:
	s_or_b32 exec_lo, exec_lo, s0
	s_delay_alu instid0(SALU_CYCLE_1)
	s_mov_b32 s0, exec_lo
	ds_store_b32 v115, v14
	s_wait_dscnt 0x0
	s_barrier_signal -1
	s_barrier_wait -1
	v_cmpx_gt_u32_e32 12, v0
	s_cbranch_execz .LBB22_460
; %bb.451:
	v_cmp_ne_u32_e32 vcc_lo, 1, v34
	s_cbranch_vccnz .LBB22_453
; %bb.452:
	v_cmp_eq_u32_e32 vcc_lo, 1, v0
	ds_load_b32 v26, v115
	v_cndmask_b32_e32 v25, v2, v3, vcc_lo
	v_cmp_eq_u32_e32 vcc_lo, 2, v0
	s_delay_alu instid0(VALU_DEP_2) | instskip(SKIP_1) | instid1(VALU_DEP_2)
	v_cndmask_b32_e32 v25, v25, v4, vcc_lo
	v_cmp_eq_u32_e32 vcc_lo, 3, v0
	v_cndmask_b32_e32 v25, v25, v5, vcc_lo
	v_cmp_eq_u32_e32 vcc_lo, 4, v0
	s_delay_alu instid0(VALU_DEP_2) | instskip(SKIP_1) | instid1(VALU_DEP_2)
	v_cndmask_b32_e32 v25, v25, v6, vcc_lo
	v_cmp_eq_u32_e32 vcc_lo, 5, v0
	;; [unrolled: 5-line block ×10, first 2 shown]
	v_cndmask_b32_e32 v25, v25, v23, vcc_lo
	v_cmp_eq_u32_e32 vcc_lo, 22, v0
	s_delay_alu instid0(VALU_DEP_2) | instskip(SKIP_1) | instid1(VALU_DEP_1)
	v_cndmask_b32_e32 v25, v25, v24, vcc_lo
	s_wait_dscnt 0x0
	v_mul_f32_e32 v25, v25, v26
	s_cbranch_execz .LBB22_454
	s_branch .LBB22_455
.LBB22_453:
                                        ; implicit-def: $vgpr25
.LBB22_454:
	ds_load_b32 v25, v115
.LBB22_455:
	s_mov_b32 s1, exec_lo
	v_cmpx_ne_u32_e32 11, v0
	s_cbranch_execz .LBB22_459
; %bb.456:
	v_mov_b64_e32 v[26:27], v[0:1]
	v_lshl_add_u32 v28, v0, 2, 0x64
	s_mov_b32 s2, 0
.LBB22_457:                             ; =>This Inner Loop Header: Depth=1
	s_delay_alu instid0(VALU_DEP_2)
	v_add_nc_u64_e32 v[26:27], 1, v[26:27]
	ds_load_b32 v30, v28
	v_add_nc_u32_e32 v28, 4, v28
	v_cmp_eq_u32_e32 vcc_lo, 1, v26
	v_cndmask_b32_e32 v29, v2, v3, vcc_lo
	v_cmp_eq_u32_e32 vcc_lo, 2, v26
	s_delay_alu instid0(VALU_DEP_2) | instskip(SKIP_1) | instid1(VALU_DEP_2)
	v_cndmask_b32_e32 v29, v29, v4, vcc_lo
	v_cmp_eq_u32_e32 vcc_lo, 3, v26
	v_cndmask_b32_e32 v29, v29, v5, vcc_lo
	v_cmp_eq_u32_e32 vcc_lo, 4, v26
	s_delay_alu instid0(VALU_DEP_2) | instskip(SKIP_1) | instid1(VALU_DEP_2)
	v_cndmask_b32_e32 v29, v29, v6, vcc_lo
	;; [unrolled: 5-line block ×10, first 2 shown]
	v_cmp_eq_u32_e32 vcc_lo, 21, v26
	v_cndmask_b32_e32 v29, v29, v23, vcc_lo
	v_cmp_eq_u32_e32 vcc_lo, 22, v26
	s_delay_alu instid0(VALU_DEP_2) | instskip(SKIP_2) | instid1(VALU_DEP_2)
	v_cndmask_b32_e32 v29, v29, v24, vcc_lo
	v_cmp_lt_u32_e32 vcc_lo, 10, v26
	s_wait_dscnt 0x0
	v_fmac_f32_e32 v25, v29, v30
	s_or_b32 s2, vcc_lo, s2
	s_delay_alu instid0(SALU_CYCLE_1)
	s_and_not1_b32 exec_lo, exec_lo, s2
	s_cbranch_execnz .LBB22_457
; %bb.458:
	s_or_b32 exec_lo, exec_lo, s2
.LBB22_459:
	s_delay_alu instid0(SALU_CYCLE_1)
	s_or_b32 exec_lo, exec_lo, s1
	v_mov_b32_e32 v14, 0
	ds_load_b32 v14, v14 offset:48
	s_wait_dscnt 0x0
	v_mul_f32_e32 v14, v25, v14
.LBB22_460:
	s_or_b32 exec_lo, exec_lo, s0
	s_delay_alu instid0(SALU_CYCLE_1)
	s_mov_b32 s0, exec_lo
	ds_store_b32 v115, v15
	s_wait_dscnt 0x0
	s_barrier_signal -1
	s_barrier_wait -1
	v_cmpx_gt_u32_e32 13, v0
	s_cbranch_execz .LBB22_470
; %bb.461:
	v_cmp_ne_u32_e32 vcc_lo, 1, v34
	s_cbranch_vccnz .LBB22_463
; %bb.462:
	v_cmp_eq_u32_e32 vcc_lo, 1, v0
	ds_load_b32 v26, v115
	v_cndmask_b32_e32 v25, v2, v3, vcc_lo
	v_cmp_eq_u32_e32 vcc_lo, 2, v0
	s_delay_alu instid0(VALU_DEP_2) | instskip(SKIP_1) | instid1(VALU_DEP_2)
	v_cndmask_b32_e32 v25, v25, v4, vcc_lo
	v_cmp_eq_u32_e32 vcc_lo, 3, v0
	v_cndmask_b32_e32 v25, v25, v5, vcc_lo
	v_cmp_eq_u32_e32 vcc_lo, 4, v0
	s_delay_alu instid0(VALU_DEP_2) | instskip(SKIP_1) | instid1(VALU_DEP_2)
	v_cndmask_b32_e32 v25, v25, v6, vcc_lo
	v_cmp_eq_u32_e32 vcc_lo, 5, v0
	;; [unrolled: 5-line block ×10, first 2 shown]
	v_cndmask_b32_e32 v25, v25, v23, vcc_lo
	v_cmp_eq_u32_e32 vcc_lo, 22, v0
	s_delay_alu instid0(VALU_DEP_2) | instskip(SKIP_1) | instid1(VALU_DEP_1)
	v_cndmask_b32_e32 v25, v25, v24, vcc_lo
	s_wait_dscnt 0x0
	v_mul_f32_e32 v25, v25, v26
	s_cbranch_execz .LBB22_464
	s_branch .LBB22_465
.LBB22_463:
                                        ; implicit-def: $vgpr25
.LBB22_464:
	ds_load_b32 v25, v115
.LBB22_465:
	s_mov_b32 s1, exec_lo
	v_cmpx_ne_u32_e32 12, v0
	s_cbranch_execz .LBB22_469
; %bb.466:
	v_mov_b64_e32 v[26:27], v[0:1]
	v_lshl_add_u32 v28, v0, 2, 0x64
	s_mov_b32 s2, 0
.LBB22_467:                             ; =>This Inner Loop Header: Depth=1
	s_delay_alu instid0(VALU_DEP_2)
	v_add_nc_u64_e32 v[26:27], 1, v[26:27]
	ds_load_b32 v30, v28
	v_add_nc_u32_e32 v28, 4, v28
	v_cmp_eq_u32_e32 vcc_lo, 1, v26
	v_cndmask_b32_e32 v29, v2, v3, vcc_lo
	v_cmp_eq_u32_e32 vcc_lo, 2, v26
	s_delay_alu instid0(VALU_DEP_2) | instskip(SKIP_1) | instid1(VALU_DEP_2)
	v_cndmask_b32_e32 v29, v29, v4, vcc_lo
	v_cmp_eq_u32_e32 vcc_lo, 3, v26
	v_cndmask_b32_e32 v29, v29, v5, vcc_lo
	v_cmp_eq_u32_e32 vcc_lo, 4, v26
	s_delay_alu instid0(VALU_DEP_2) | instskip(SKIP_1) | instid1(VALU_DEP_2)
	v_cndmask_b32_e32 v29, v29, v6, vcc_lo
	;; [unrolled: 5-line block ×10, first 2 shown]
	v_cmp_eq_u32_e32 vcc_lo, 21, v26
	v_cndmask_b32_e32 v29, v29, v23, vcc_lo
	v_cmp_eq_u32_e32 vcc_lo, 22, v26
	s_delay_alu instid0(VALU_DEP_2) | instskip(SKIP_2) | instid1(VALU_DEP_2)
	v_cndmask_b32_e32 v29, v29, v24, vcc_lo
	v_cmp_lt_u32_e32 vcc_lo, 11, v26
	s_wait_dscnt 0x0
	v_fmac_f32_e32 v25, v29, v30
	s_or_b32 s2, vcc_lo, s2
	s_delay_alu instid0(SALU_CYCLE_1)
	s_and_not1_b32 exec_lo, exec_lo, s2
	s_cbranch_execnz .LBB22_467
; %bb.468:
	s_or_b32 exec_lo, exec_lo, s2
.LBB22_469:
	s_delay_alu instid0(SALU_CYCLE_1)
	s_or_b32 exec_lo, exec_lo, s1
	v_mov_b32_e32 v15, 0
	ds_load_b32 v15, v15 offset:52
	s_wait_dscnt 0x0
	v_mul_f32_e32 v15, v25, v15
.LBB22_470:
	s_or_b32 exec_lo, exec_lo, s0
	s_delay_alu instid0(SALU_CYCLE_1)
	s_mov_b32 s0, exec_lo
	ds_store_b32 v115, v16
	s_wait_dscnt 0x0
	s_barrier_signal -1
	s_barrier_wait -1
	v_cmpx_gt_u32_e32 14, v0
	s_cbranch_execz .LBB22_480
; %bb.471:
	v_cmp_ne_u32_e32 vcc_lo, 1, v34
	s_cbranch_vccnz .LBB22_473
; %bb.472:
	v_cmp_eq_u32_e32 vcc_lo, 1, v0
	ds_load_b32 v26, v115
	v_cndmask_b32_e32 v25, v2, v3, vcc_lo
	v_cmp_eq_u32_e32 vcc_lo, 2, v0
	s_delay_alu instid0(VALU_DEP_2) | instskip(SKIP_1) | instid1(VALU_DEP_2)
	v_cndmask_b32_e32 v25, v25, v4, vcc_lo
	v_cmp_eq_u32_e32 vcc_lo, 3, v0
	v_cndmask_b32_e32 v25, v25, v5, vcc_lo
	v_cmp_eq_u32_e32 vcc_lo, 4, v0
	s_delay_alu instid0(VALU_DEP_2) | instskip(SKIP_1) | instid1(VALU_DEP_2)
	v_cndmask_b32_e32 v25, v25, v6, vcc_lo
	v_cmp_eq_u32_e32 vcc_lo, 5, v0
	;; [unrolled: 5-line block ×10, first 2 shown]
	v_cndmask_b32_e32 v25, v25, v23, vcc_lo
	v_cmp_eq_u32_e32 vcc_lo, 22, v0
	s_delay_alu instid0(VALU_DEP_2) | instskip(SKIP_1) | instid1(VALU_DEP_1)
	v_cndmask_b32_e32 v25, v25, v24, vcc_lo
	s_wait_dscnt 0x0
	v_mul_f32_e32 v25, v25, v26
	s_cbranch_execz .LBB22_474
	s_branch .LBB22_475
.LBB22_473:
                                        ; implicit-def: $vgpr25
.LBB22_474:
	ds_load_b32 v25, v115
.LBB22_475:
	s_mov_b32 s1, exec_lo
	v_cmpx_ne_u32_e32 13, v0
	s_cbranch_execz .LBB22_479
; %bb.476:
	v_mov_b64_e32 v[26:27], v[0:1]
	v_lshl_add_u32 v28, v0, 2, 0x64
	s_mov_b32 s2, 0
.LBB22_477:                             ; =>This Inner Loop Header: Depth=1
	s_delay_alu instid0(VALU_DEP_2)
	v_add_nc_u64_e32 v[26:27], 1, v[26:27]
	ds_load_b32 v30, v28
	v_add_nc_u32_e32 v28, 4, v28
	v_cmp_eq_u32_e32 vcc_lo, 1, v26
	v_cndmask_b32_e32 v29, v2, v3, vcc_lo
	v_cmp_eq_u32_e32 vcc_lo, 2, v26
	s_delay_alu instid0(VALU_DEP_2) | instskip(SKIP_1) | instid1(VALU_DEP_2)
	v_cndmask_b32_e32 v29, v29, v4, vcc_lo
	v_cmp_eq_u32_e32 vcc_lo, 3, v26
	v_cndmask_b32_e32 v29, v29, v5, vcc_lo
	v_cmp_eq_u32_e32 vcc_lo, 4, v26
	s_delay_alu instid0(VALU_DEP_2) | instskip(SKIP_1) | instid1(VALU_DEP_2)
	v_cndmask_b32_e32 v29, v29, v6, vcc_lo
	v_cmp_eq_u32_e32 vcc_lo, 5, v26
	v_cndmask_b32_e32 v29, v29, v7, vcc_lo
	v_cmp_eq_u32_e32 vcc_lo, 6, v26
	s_delay_alu instid0(VALU_DEP_2) | instskip(SKIP_1) | instid1(VALU_DEP_2)
	v_cndmask_b32_e32 v29, v29, v8, vcc_lo
	v_cmp_eq_u32_e32 vcc_lo, 7, v26
	v_cndmask_b32_e32 v29, v29, v9, vcc_lo
	v_cmp_eq_u32_e32 vcc_lo, 8, v26
	s_delay_alu instid0(VALU_DEP_2) | instskip(SKIP_1) | instid1(VALU_DEP_2)
	v_cndmask_b32_e32 v29, v29, v10, vcc_lo
	v_cmp_eq_u32_e32 vcc_lo, 9, v26
	v_cndmask_b32_e32 v29, v29, v11, vcc_lo
	v_cmp_eq_u32_e32 vcc_lo, 10, v26
	s_delay_alu instid0(VALU_DEP_2) | instskip(SKIP_1) | instid1(VALU_DEP_2)
	v_cndmask_b32_e32 v29, v29, v12, vcc_lo
	v_cmp_eq_u32_e32 vcc_lo, 11, v26
	v_cndmask_b32_e32 v29, v29, v13, vcc_lo
	v_cmp_eq_u32_e32 vcc_lo, 12, v26
	s_delay_alu instid0(VALU_DEP_2) | instskip(SKIP_1) | instid1(VALU_DEP_2)
	v_cndmask_b32_e32 v29, v29, v14, vcc_lo
	v_cmp_eq_u32_e32 vcc_lo, 13, v26
	v_cndmask_b32_e32 v29, v29, v15, vcc_lo
	v_cmp_eq_u32_e32 vcc_lo, 14, v26
	s_delay_alu instid0(VALU_DEP_2) | instskip(SKIP_1) | instid1(VALU_DEP_2)
	v_cndmask_b32_e32 v29, v29, v16, vcc_lo
	v_cmp_eq_u32_e32 vcc_lo, 15, v26
	v_cndmask_b32_e32 v29, v29, v17, vcc_lo
	v_cmp_eq_u32_e32 vcc_lo, 16, v26
	s_delay_alu instid0(VALU_DEP_2) | instskip(SKIP_1) | instid1(VALU_DEP_2)
	v_cndmask_b32_e32 v29, v29, v18, vcc_lo
	v_cmp_eq_u32_e32 vcc_lo, 17, v26
	v_cndmask_b32_e32 v29, v29, v19, vcc_lo
	v_cmp_eq_u32_e32 vcc_lo, 18, v26
	s_delay_alu instid0(VALU_DEP_2) | instskip(SKIP_1) | instid1(VALU_DEP_2)
	v_cndmask_b32_e32 v29, v29, v20, vcc_lo
	v_cmp_eq_u32_e32 vcc_lo, 19, v26
	v_cndmask_b32_e32 v29, v29, v21, vcc_lo
	v_cmp_eq_u32_e32 vcc_lo, 20, v26
	s_delay_alu instid0(VALU_DEP_2) | instskip(SKIP_1) | instid1(VALU_DEP_2)
	v_cndmask_b32_e32 v29, v29, v22, vcc_lo
	v_cmp_eq_u32_e32 vcc_lo, 21, v26
	v_cndmask_b32_e32 v29, v29, v23, vcc_lo
	v_cmp_eq_u32_e32 vcc_lo, 22, v26
	s_delay_alu instid0(VALU_DEP_2) | instskip(SKIP_2) | instid1(VALU_DEP_2)
	v_cndmask_b32_e32 v29, v29, v24, vcc_lo
	v_cmp_lt_u32_e32 vcc_lo, 12, v26
	s_wait_dscnt 0x0
	v_fmac_f32_e32 v25, v29, v30
	s_or_b32 s2, vcc_lo, s2
	s_delay_alu instid0(SALU_CYCLE_1)
	s_and_not1_b32 exec_lo, exec_lo, s2
	s_cbranch_execnz .LBB22_477
; %bb.478:
	s_or_b32 exec_lo, exec_lo, s2
.LBB22_479:
	s_delay_alu instid0(SALU_CYCLE_1)
	s_or_b32 exec_lo, exec_lo, s1
	v_mov_b32_e32 v16, 0
	ds_load_b32 v16, v16 offset:56
	s_wait_dscnt 0x0
	v_mul_f32_e32 v16, v25, v16
.LBB22_480:
	s_or_b32 exec_lo, exec_lo, s0
	s_delay_alu instid0(SALU_CYCLE_1)
	s_mov_b32 s0, exec_lo
	ds_store_b32 v115, v17
	s_wait_dscnt 0x0
	s_barrier_signal -1
	s_barrier_wait -1
	v_cmpx_gt_u32_e32 15, v0
	s_cbranch_execz .LBB22_490
; %bb.481:
	v_cmp_ne_u32_e32 vcc_lo, 1, v34
	s_cbranch_vccnz .LBB22_483
; %bb.482:
	v_cmp_eq_u32_e32 vcc_lo, 1, v0
	ds_load_b32 v26, v115
	v_cndmask_b32_e32 v25, v2, v3, vcc_lo
	v_cmp_eq_u32_e32 vcc_lo, 2, v0
	s_delay_alu instid0(VALU_DEP_2) | instskip(SKIP_1) | instid1(VALU_DEP_2)
	v_cndmask_b32_e32 v25, v25, v4, vcc_lo
	v_cmp_eq_u32_e32 vcc_lo, 3, v0
	v_cndmask_b32_e32 v25, v25, v5, vcc_lo
	v_cmp_eq_u32_e32 vcc_lo, 4, v0
	s_delay_alu instid0(VALU_DEP_2) | instskip(SKIP_1) | instid1(VALU_DEP_2)
	v_cndmask_b32_e32 v25, v25, v6, vcc_lo
	v_cmp_eq_u32_e32 vcc_lo, 5, v0
	;; [unrolled: 5-line block ×10, first 2 shown]
	v_cndmask_b32_e32 v25, v25, v23, vcc_lo
	v_cmp_eq_u32_e32 vcc_lo, 22, v0
	s_delay_alu instid0(VALU_DEP_2) | instskip(SKIP_1) | instid1(VALU_DEP_1)
	v_cndmask_b32_e32 v25, v25, v24, vcc_lo
	s_wait_dscnt 0x0
	v_mul_f32_e32 v25, v25, v26
	s_cbranch_execz .LBB22_484
	s_branch .LBB22_485
.LBB22_483:
                                        ; implicit-def: $vgpr25
.LBB22_484:
	ds_load_b32 v25, v115
.LBB22_485:
	s_mov_b32 s1, exec_lo
	v_cmpx_ne_u32_e32 14, v0
	s_cbranch_execz .LBB22_489
; %bb.486:
	v_mov_b64_e32 v[26:27], v[0:1]
	v_lshl_add_u32 v28, v0, 2, 0x64
	s_mov_b32 s2, 0
.LBB22_487:                             ; =>This Inner Loop Header: Depth=1
	s_delay_alu instid0(VALU_DEP_2)
	v_add_nc_u64_e32 v[26:27], 1, v[26:27]
	ds_load_b32 v30, v28
	v_add_nc_u32_e32 v28, 4, v28
	v_cmp_eq_u32_e32 vcc_lo, 1, v26
	v_cndmask_b32_e32 v29, v2, v3, vcc_lo
	v_cmp_eq_u32_e32 vcc_lo, 2, v26
	s_delay_alu instid0(VALU_DEP_2) | instskip(SKIP_1) | instid1(VALU_DEP_2)
	v_cndmask_b32_e32 v29, v29, v4, vcc_lo
	v_cmp_eq_u32_e32 vcc_lo, 3, v26
	v_cndmask_b32_e32 v29, v29, v5, vcc_lo
	v_cmp_eq_u32_e32 vcc_lo, 4, v26
	s_delay_alu instid0(VALU_DEP_2) | instskip(SKIP_1) | instid1(VALU_DEP_2)
	v_cndmask_b32_e32 v29, v29, v6, vcc_lo
	;; [unrolled: 5-line block ×10, first 2 shown]
	v_cmp_eq_u32_e32 vcc_lo, 21, v26
	v_cndmask_b32_e32 v29, v29, v23, vcc_lo
	v_cmp_eq_u32_e32 vcc_lo, 22, v26
	s_delay_alu instid0(VALU_DEP_2) | instskip(SKIP_2) | instid1(VALU_DEP_2)
	v_cndmask_b32_e32 v29, v29, v24, vcc_lo
	v_cmp_lt_u32_e32 vcc_lo, 13, v26
	s_wait_dscnt 0x0
	v_fmac_f32_e32 v25, v29, v30
	s_or_b32 s2, vcc_lo, s2
	s_delay_alu instid0(SALU_CYCLE_1)
	s_and_not1_b32 exec_lo, exec_lo, s2
	s_cbranch_execnz .LBB22_487
; %bb.488:
	s_or_b32 exec_lo, exec_lo, s2
.LBB22_489:
	s_delay_alu instid0(SALU_CYCLE_1)
	s_or_b32 exec_lo, exec_lo, s1
	v_mov_b32_e32 v17, 0
	ds_load_b32 v17, v17 offset:60
	s_wait_dscnt 0x0
	v_mul_f32_e32 v17, v25, v17
.LBB22_490:
	s_or_b32 exec_lo, exec_lo, s0
	s_delay_alu instid0(SALU_CYCLE_1)
	s_mov_b32 s0, exec_lo
	ds_store_b32 v115, v18
	s_wait_dscnt 0x0
	s_barrier_signal -1
	s_barrier_wait -1
	v_cmpx_gt_u32_e32 16, v0
	s_cbranch_execz .LBB22_500
; %bb.491:
	v_cmp_ne_u32_e32 vcc_lo, 1, v34
	s_cbranch_vccnz .LBB22_493
; %bb.492:
	v_cmp_eq_u32_e32 vcc_lo, 1, v0
	ds_load_b32 v26, v115
	v_cndmask_b32_e32 v25, v2, v3, vcc_lo
	v_cmp_eq_u32_e32 vcc_lo, 2, v0
	s_delay_alu instid0(VALU_DEP_2) | instskip(SKIP_1) | instid1(VALU_DEP_2)
	v_cndmask_b32_e32 v25, v25, v4, vcc_lo
	v_cmp_eq_u32_e32 vcc_lo, 3, v0
	v_cndmask_b32_e32 v25, v25, v5, vcc_lo
	v_cmp_eq_u32_e32 vcc_lo, 4, v0
	s_delay_alu instid0(VALU_DEP_2) | instskip(SKIP_1) | instid1(VALU_DEP_2)
	v_cndmask_b32_e32 v25, v25, v6, vcc_lo
	v_cmp_eq_u32_e32 vcc_lo, 5, v0
	;; [unrolled: 5-line block ×10, first 2 shown]
	v_cndmask_b32_e32 v25, v25, v23, vcc_lo
	v_cmp_eq_u32_e32 vcc_lo, 22, v0
	s_delay_alu instid0(VALU_DEP_2) | instskip(SKIP_1) | instid1(VALU_DEP_1)
	v_cndmask_b32_e32 v25, v25, v24, vcc_lo
	s_wait_dscnt 0x0
	v_mul_f32_e32 v25, v25, v26
	s_cbranch_execz .LBB22_494
	s_branch .LBB22_495
.LBB22_493:
                                        ; implicit-def: $vgpr25
.LBB22_494:
	ds_load_b32 v25, v115
.LBB22_495:
	s_mov_b32 s1, exec_lo
	v_cmpx_ne_u32_e32 15, v0
	s_cbranch_execz .LBB22_499
; %bb.496:
	v_mov_b64_e32 v[26:27], v[0:1]
	v_lshl_add_u32 v28, v0, 2, 0x64
	s_mov_b32 s2, 0
.LBB22_497:                             ; =>This Inner Loop Header: Depth=1
	s_delay_alu instid0(VALU_DEP_2)
	v_add_nc_u64_e32 v[26:27], 1, v[26:27]
	ds_load_b32 v30, v28
	v_add_nc_u32_e32 v28, 4, v28
	v_cmp_eq_u32_e32 vcc_lo, 1, v26
	v_cndmask_b32_e32 v29, v2, v3, vcc_lo
	v_cmp_eq_u32_e32 vcc_lo, 2, v26
	s_delay_alu instid0(VALU_DEP_2) | instskip(SKIP_1) | instid1(VALU_DEP_2)
	v_cndmask_b32_e32 v29, v29, v4, vcc_lo
	v_cmp_eq_u32_e32 vcc_lo, 3, v26
	v_cndmask_b32_e32 v29, v29, v5, vcc_lo
	v_cmp_eq_u32_e32 vcc_lo, 4, v26
	s_delay_alu instid0(VALU_DEP_2) | instskip(SKIP_1) | instid1(VALU_DEP_2)
	v_cndmask_b32_e32 v29, v29, v6, vcc_lo
	;; [unrolled: 5-line block ×10, first 2 shown]
	v_cmp_eq_u32_e32 vcc_lo, 21, v26
	v_cndmask_b32_e32 v29, v29, v23, vcc_lo
	v_cmp_eq_u32_e32 vcc_lo, 22, v26
	s_delay_alu instid0(VALU_DEP_2) | instskip(SKIP_2) | instid1(VALU_DEP_2)
	v_cndmask_b32_e32 v29, v29, v24, vcc_lo
	v_cmp_lt_u32_e32 vcc_lo, 14, v26
	s_wait_dscnt 0x0
	v_fmac_f32_e32 v25, v29, v30
	s_or_b32 s2, vcc_lo, s2
	s_delay_alu instid0(SALU_CYCLE_1)
	s_and_not1_b32 exec_lo, exec_lo, s2
	s_cbranch_execnz .LBB22_497
; %bb.498:
	s_or_b32 exec_lo, exec_lo, s2
.LBB22_499:
	s_delay_alu instid0(SALU_CYCLE_1)
	s_or_b32 exec_lo, exec_lo, s1
	v_mov_b32_e32 v18, 0
	ds_load_b32 v18, v18 offset:64
	s_wait_dscnt 0x0
	v_mul_f32_e32 v18, v25, v18
.LBB22_500:
	s_or_b32 exec_lo, exec_lo, s0
	s_delay_alu instid0(SALU_CYCLE_1)
	s_mov_b32 s0, exec_lo
	ds_store_b32 v115, v19
	s_wait_dscnt 0x0
	s_barrier_signal -1
	s_barrier_wait -1
	v_cmpx_gt_u32_e32 17, v0
	s_cbranch_execz .LBB22_510
; %bb.501:
	v_cmp_ne_u32_e32 vcc_lo, 1, v34
	s_cbranch_vccnz .LBB22_503
; %bb.502:
	v_cmp_eq_u32_e32 vcc_lo, 1, v0
	ds_load_b32 v26, v115
	v_cndmask_b32_e32 v25, v2, v3, vcc_lo
	v_cmp_eq_u32_e32 vcc_lo, 2, v0
	s_delay_alu instid0(VALU_DEP_2) | instskip(SKIP_1) | instid1(VALU_DEP_2)
	v_cndmask_b32_e32 v25, v25, v4, vcc_lo
	v_cmp_eq_u32_e32 vcc_lo, 3, v0
	v_cndmask_b32_e32 v25, v25, v5, vcc_lo
	v_cmp_eq_u32_e32 vcc_lo, 4, v0
	s_delay_alu instid0(VALU_DEP_2) | instskip(SKIP_1) | instid1(VALU_DEP_2)
	v_cndmask_b32_e32 v25, v25, v6, vcc_lo
	v_cmp_eq_u32_e32 vcc_lo, 5, v0
	;; [unrolled: 5-line block ×10, first 2 shown]
	v_cndmask_b32_e32 v25, v25, v23, vcc_lo
	v_cmp_eq_u32_e32 vcc_lo, 22, v0
	s_delay_alu instid0(VALU_DEP_2) | instskip(SKIP_1) | instid1(VALU_DEP_1)
	v_cndmask_b32_e32 v25, v25, v24, vcc_lo
	s_wait_dscnt 0x0
	v_mul_f32_e32 v25, v25, v26
	s_cbranch_execz .LBB22_504
	s_branch .LBB22_505
.LBB22_503:
                                        ; implicit-def: $vgpr25
.LBB22_504:
	ds_load_b32 v25, v115
.LBB22_505:
	s_mov_b32 s1, exec_lo
	v_cmpx_ne_u32_e32 16, v0
	s_cbranch_execz .LBB22_509
; %bb.506:
	v_mov_b64_e32 v[26:27], v[0:1]
	v_lshl_add_u32 v28, v0, 2, 0x64
	s_mov_b32 s2, 0
.LBB22_507:                             ; =>This Inner Loop Header: Depth=1
	s_delay_alu instid0(VALU_DEP_2)
	v_add_nc_u64_e32 v[26:27], 1, v[26:27]
	ds_load_b32 v30, v28
	v_add_nc_u32_e32 v28, 4, v28
	v_cmp_eq_u32_e32 vcc_lo, 1, v26
	v_cndmask_b32_e32 v29, v2, v3, vcc_lo
	v_cmp_eq_u32_e32 vcc_lo, 2, v26
	s_delay_alu instid0(VALU_DEP_2) | instskip(SKIP_1) | instid1(VALU_DEP_2)
	v_cndmask_b32_e32 v29, v29, v4, vcc_lo
	v_cmp_eq_u32_e32 vcc_lo, 3, v26
	v_cndmask_b32_e32 v29, v29, v5, vcc_lo
	v_cmp_eq_u32_e32 vcc_lo, 4, v26
	s_delay_alu instid0(VALU_DEP_2) | instskip(SKIP_1) | instid1(VALU_DEP_2)
	v_cndmask_b32_e32 v29, v29, v6, vcc_lo
	;; [unrolled: 5-line block ×10, first 2 shown]
	v_cmp_eq_u32_e32 vcc_lo, 21, v26
	v_cndmask_b32_e32 v29, v29, v23, vcc_lo
	v_cmp_eq_u32_e32 vcc_lo, 22, v26
	s_delay_alu instid0(VALU_DEP_2) | instskip(SKIP_2) | instid1(VALU_DEP_2)
	v_cndmask_b32_e32 v29, v29, v24, vcc_lo
	v_cmp_lt_u32_e32 vcc_lo, 15, v26
	s_wait_dscnt 0x0
	v_fmac_f32_e32 v25, v29, v30
	s_or_b32 s2, vcc_lo, s2
	s_delay_alu instid0(SALU_CYCLE_1)
	s_and_not1_b32 exec_lo, exec_lo, s2
	s_cbranch_execnz .LBB22_507
; %bb.508:
	s_or_b32 exec_lo, exec_lo, s2
.LBB22_509:
	s_delay_alu instid0(SALU_CYCLE_1)
	s_or_b32 exec_lo, exec_lo, s1
	v_mov_b32_e32 v19, 0
	ds_load_b32 v19, v19 offset:68
	s_wait_dscnt 0x0
	v_mul_f32_e32 v19, v25, v19
.LBB22_510:
	s_or_b32 exec_lo, exec_lo, s0
	s_delay_alu instid0(SALU_CYCLE_1)
	s_mov_b32 s0, exec_lo
	ds_store_b32 v115, v20
	s_wait_dscnt 0x0
	s_barrier_signal -1
	s_barrier_wait -1
	v_cmpx_gt_u32_e32 18, v0
	s_cbranch_execz .LBB22_520
; %bb.511:
	v_cmp_ne_u32_e32 vcc_lo, 1, v34
	s_cbranch_vccnz .LBB22_513
; %bb.512:
	v_cmp_eq_u32_e32 vcc_lo, 1, v0
	ds_load_b32 v26, v115
	v_cndmask_b32_e32 v25, v2, v3, vcc_lo
	v_cmp_eq_u32_e32 vcc_lo, 2, v0
	s_delay_alu instid0(VALU_DEP_2) | instskip(SKIP_1) | instid1(VALU_DEP_2)
	v_cndmask_b32_e32 v25, v25, v4, vcc_lo
	v_cmp_eq_u32_e32 vcc_lo, 3, v0
	v_cndmask_b32_e32 v25, v25, v5, vcc_lo
	v_cmp_eq_u32_e32 vcc_lo, 4, v0
	s_delay_alu instid0(VALU_DEP_2) | instskip(SKIP_1) | instid1(VALU_DEP_2)
	v_cndmask_b32_e32 v25, v25, v6, vcc_lo
	v_cmp_eq_u32_e32 vcc_lo, 5, v0
	;; [unrolled: 5-line block ×10, first 2 shown]
	v_cndmask_b32_e32 v25, v25, v23, vcc_lo
	v_cmp_eq_u32_e32 vcc_lo, 22, v0
	s_delay_alu instid0(VALU_DEP_2) | instskip(SKIP_1) | instid1(VALU_DEP_1)
	v_cndmask_b32_e32 v25, v25, v24, vcc_lo
	s_wait_dscnt 0x0
	v_mul_f32_e32 v25, v25, v26
	s_cbranch_execz .LBB22_514
	s_branch .LBB22_515
.LBB22_513:
                                        ; implicit-def: $vgpr25
.LBB22_514:
	ds_load_b32 v25, v115
.LBB22_515:
	s_mov_b32 s1, exec_lo
	v_cmpx_ne_u32_e32 17, v0
	s_cbranch_execz .LBB22_519
; %bb.516:
	v_mov_b64_e32 v[26:27], v[0:1]
	v_lshl_add_u32 v28, v0, 2, 0x64
	s_mov_b32 s2, 0
.LBB22_517:                             ; =>This Inner Loop Header: Depth=1
	s_delay_alu instid0(VALU_DEP_2)
	v_add_nc_u64_e32 v[26:27], 1, v[26:27]
	ds_load_b32 v30, v28
	v_add_nc_u32_e32 v28, 4, v28
	v_cmp_eq_u32_e32 vcc_lo, 1, v26
	v_cndmask_b32_e32 v29, v2, v3, vcc_lo
	v_cmp_eq_u32_e32 vcc_lo, 2, v26
	s_delay_alu instid0(VALU_DEP_2) | instskip(SKIP_1) | instid1(VALU_DEP_2)
	v_cndmask_b32_e32 v29, v29, v4, vcc_lo
	v_cmp_eq_u32_e32 vcc_lo, 3, v26
	v_cndmask_b32_e32 v29, v29, v5, vcc_lo
	v_cmp_eq_u32_e32 vcc_lo, 4, v26
	s_delay_alu instid0(VALU_DEP_2) | instskip(SKIP_1) | instid1(VALU_DEP_2)
	v_cndmask_b32_e32 v29, v29, v6, vcc_lo
	;; [unrolled: 5-line block ×10, first 2 shown]
	v_cmp_eq_u32_e32 vcc_lo, 21, v26
	v_cndmask_b32_e32 v29, v29, v23, vcc_lo
	v_cmp_eq_u32_e32 vcc_lo, 22, v26
	s_delay_alu instid0(VALU_DEP_2) | instskip(SKIP_2) | instid1(VALU_DEP_2)
	v_cndmask_b32_e32 v29, v29, v24, vcc_lo
	v_cmp_lt_u32_e32 vcc_lo, 16, v26
	s_wait_dscnt 0x0
	v_fmac_f32_e32 v25, v29, v30
	s_or_b32 s2, vcc_lo, s2
	s_delay_alu instid0(SALU_CYCLE_1)
	s_and_not1_b32 exec_lo, exec_lo, s2
	s_cbranch_execnz .LBB22_517
; %bb.518:
	s_or_b32 exec_lo, exec_lo, s2
.LBB22_519:
	s_delay_alu instid0(SALU_CYCLE_1)
	s_or_b32 exec_lo, exec_lo, s1
	v_mov_b32_e32 v20, 0
	ds_load_b32 v20, v20 offset:72
	s_wait_dscnt 0x0
	v_mul_f32_e32 v20, v25, v20
.LBB22_520:
	s_or_b32 exec_lo, exec_lo, s0
	s_delay_alu instid0(SALU_CYCLE_1)
	s_mov_b32 s0, exec_lo
	ds_store_b32 v115, v21
	s_wait_dscnt 0x0
	s_barrier_signal -1
	s_barrier_wait -1
	v_cmpx_gt_u32_e32 19, v0
	s_cbranch_execz .LBB22_530
; %bb.521:
	v_cmp_ne_u32_e32 vcc_lo, 1, v34
	s_cbranch_vccnz .LBB22_523
; %bb.522:
	v_cmp_eq_u32_e32 vcc_lo, 1, v0
	ds_load_b32 v26, v115
	v_cndmask_b32_e32 v25, v2, v3, vcc_lo
	v_cmp_eq_u32_e32 vcc_lo, 2, v0
	s_delay_alu instid0(VALU_DEP_2) | instskip(SKIP_1) | instid1(VALU_DEP_2)
	v_cndmask_b32_e32 v25, v25, v4, vcc_lo
	v_cmp_eq_u32_e32 vcc_lo, 3, v0
	v_cndmask_b32_e32 v25, v25, v5, vcc_lo
	v_cmp_eq_u32_e32 vcc_lo, 4, v0
	s_delay_alu instid0(VALU_DEP_2) | instskip(SKIP_1) | instid1(VALU_DEP_2)
	v_cndmask_b32_e32 v25, v25, v6, vcc_lo
	v_cmp_eq_u32_e32 vcc_lo, 5, v0
	;; [unrolled: 5-line block ×10, first 2 shown]
	v_cndmask_b32_e32 v25, v25, v23, vcc_lo
	v_cmp_eq_u32_e32 vcc_lo, 22, v0
	s_delay_alu instid0(VALU_DEP_2) | instskip(SKIP_1) | instid1(VALU_DEP_1)
	v_cndmask_b32_e32 v25, v25, v24, vcc_lo
	s_wait_dscnt 0x0
	v_mul_f32_e32 v25, v25, v26
	s_cbranch_execz .LBB22_524
	s_branch .LBB22_525
.LBB22_523:
                                        ; implicit-def: $vgpr25
.LBB22_524:
	ds_load_b32 v25, v115
.LBB22_525:
	s_mov_b32 s1, exec_lo
	v_cmpx_ne_u32_e32 18, v0
	s_cbranch_execz .LBB22_529
; %bb.526:
	v_mov_b64_e32 v[26:27], v[0:1]
	v_lshl_add_u32 v28, v0, 2, 0x64
	s_mov_b32 s2, 0
.LBB22_527:                             ; =>This Inner Loop Header: Depth=1
	s_delay_alu instid0(VALU_DEP_2)
	v_add_nc_u64_e32 v[26:27], 1, v[26:27]
	ds_load_b32 v30, v28
	v_add_nc_u32_e32 v28, 4, v28
	v_cmp_eq_u32_e32 vcc_lo, 1, v26
	v_cndmask_b32_e32 v29, v2, v3, vcc_lo
	v_cmp_eq_u32_e32 vcc_lo, 2, v26
	s_delay_alu instid0(VALU_DEP_2) | instskip(SKIP_1) | instid1(VALU_DEP_2)
	v_cndmask_b32_e32 v29, v29, v4, vcc_lo
	v_cmp_eq_u32_e32 vcc_lo, 3, v26
	v_cndmask_b32_e32 v29, v29, v5, vcc_lo
	v_cmp_eq_u32_e32 vcc_lo, 4, v26
	s_delay_alu instid0(VALU_DEP_2) | instskip(SKIP_1) | instid1(VALU_DEP_2)
	v_cndmask_b32_e32 v29, v29, v6, vcc_lo
	;; [unrolled: 5-line block ×10, first 2 shown]
	v_cmp_eq_u32_e32 vcc_lo, 21, v26
	v_cndmask_b32_e32 v29, v29, v23, vcc_lo
	v_cmp_eq_u32_e32 vcc_lo, 22, v26
	s_delay_alu instid0(VALU_DEP_2) | instskip(SKIP_2) | instid1(VALU_DEP_2)
	v_cndmask_b32_e32 v29, v29, v24, vcc_lo
	v_cmp_lt_u32_e32 vcc_lo, 17, v26
	s_wait_dscnt 0x0
	v_fmac_f32_e32 v25, v29, v30
	s_or_b32 s2, vcc_lo, s2
	s_delay_alu instid0(SALU_CYCLE_1)
	s_and_not1_b32 exec_lo, exec_lo, s2
	s_cbranch_execnz .LBB22_527
; %bb.528:
	s_or_b32 exec_lo, exec_lo, s2
.LBB22_529:
	s_delay_alu instid0(SALU_CYCLE_1)
	s_or_b32 exec_lo, exec_lo, s1
	v_mov_b32_e32 v21, 0
	ds_load_b32 v21, v21 offset:76
	s_wait_dscnt 0x0
	v_mul_f32_e32 v21, v25, v21
.LBB22_530:
	s_or_b32 exec_lo, exec_lo, s0
	s_delay_alu instid0(SALU_CYCLE_1)
	s_mov_b32 s0, exec_lo
	ds_store_b32 v115, v22
	s_wait_dscnt 0x0
	s_barrier_signal -1
	s_barrier_wait -1
	v_cmpx_gt_u32_e32 20, v0
	s_cbranch_execz .LBB22_540
; %bb.531:
	v_cmp_ne_u32_e32 vcc_lo, 1, v34
	s_cbranch_vccnz .LBB22_533
; %bb.532:
	v_cmp_eq_u32_e32 vcc_lo, 1, v0
	ds_load_b32 v26, v115
	v_cndmask_b32_e32 v25, v2, v3, vcc_lo
	v_cmp_eq_u32_e32 vcc_lo, 2, v0
	s_delay_alu instid0(VALU_DEP_2) | instskip(SKIP_1) | instid1(VALU_DEP_2)
	v_cndmask_b32_e32 v25, v25, v4, vcc_lo
	v_cmp_eq_u32_e32 vcc_lo, 3, v0
	v_cndmask_b32_e32 v25, v25, v5, vcc_lo
	v_cmp_eq_u32_e32 vcc_lo, 4, v0
	s_delay_alu instid0(VALU_DEP_2) | instskip(SKIP_1) | instid1(VALU_DEP_2)
	v_cndmask_b32_e32 v25, v25, v6, vcc_lo
	v_cmp_eq_u32_e32 vcc_lo, 5, v0
	v_cndmask_b32_e32 v25, v25, v7, vcc_lo
	v_cmp_eq_u32_e32 vcc_lo, 6, v0
	s_delay_alu instid0(VALU_DEP_2) | instskip(SKIP_1) | instid1(VALU_DEP_2)
	v_cndmask_b32_e32 v25, v25, v8, vcc_lo
	v_cmp_eq_u32_e32 vcc_lo, 7, v0
	v_cndmask_b32_e32 v25, v25, v9, vcc_lo
	v_cmp_eq_u32_e32 vcc_lo, 8, v0
	s_delay_alu instid0(VALU_DEP_2) | instskip(SKIP_1) | instid1(VALU_DEP_2)
	v_cndmask_b32_e32 v25, v25, v10, vcc_lo
	v_cmp_eq_u32_e32 vcc_lo, 9, v0
	v_cndmask_b32_e32 v25, v25, v11, vcc_lo
	v_cmp_eq_u32_e32 vcc_lo, 10, v0
	s_delay_alu instid0(VALU_DEP_2) | instskip(SKIP_1) | instid1(VALU_DEP_2)
	v_cndmask_b32_e32 v25, v25, v12, vcc_lo
	v_cmp_eq_u32_e32 vcc_lo, 11, v0
	v_cndmask_b32_e32 v25, v25, v13, vcc_lo
	v_cmp_eq_u32_e32 vcc_lo, 12, v0
	s_delay_alu instid0(VALU_DEP_2) | instskip(SKIP_1) | instid1(VALU_DEP_2)
	v_cndmask_b32_e32 v25, v25, v14, vcc_lo
	v_cmp_eq_u32_e32 vcc_lo, 13, v0
	v_cndmask_b32_e32 v25, v25, v15, vcc_lo
	v_cmp_eq_u32_e32 vcc_lo, 14, v0
	s_delay_alu instid0(VALU_DEP_2) | instskip(SKIP_1) | instid1(VALU_DEP_2)
	v_cndmask_b32_e32 v25, v25, v16, vcc_lo
	v_cmp_eq_u32_e32 vcc_lo, 15, v0
	v_cndmask_b32_e32 v25, v25, v17, vcc_lo
	v_cmp_eq_u32_e32 vcc_lo, 16, v0
	s_delay_alu instid0(VALU_DEP_2) | instskip(SKIP_1) | instid1(VALU_DEP_2)
	v_cndmask_b32_e32 v25, v25, v18, vcc_lo
	v_cmp_eq_u32_e32 vcc_lo, 17, v0
	v_cndmask_b32_e32 v25, v25, v19, vcc_lo
	v_cmp_eq_u32_e32 vcc_lo, 18, v0
	s_delay_alu instid0(VALU_DEP_2) | instskip(SKIP_1) | instid1(VALU_DEP_2)
	v_cndmask_b32_e32 v25, v25, v20, vcc_lo
	v_cmp_eq_u32_e32 vcc_lo, 19, v0
	v_cndmask_b32_e32 v25, v25, v21, vcc_lo
	v_cmp_eq_u32_e32 vcc_lo, 20, v0
	s_delay_alu instid0(VALU_DEP_2) | instskip(SKIP_1) | instid1(VALU_DEP_2)
	v_cndmask_b32_e32 v25, v25, v22, vcc_lo
	v_cmp_eq_u32_e32 vcc_lo, 21, v0
	v_cndmask_b32_e32 v25, v25, v23, vcc_lo
	v_cmp_eq_u32_e32 vcc_lo, 22, v0
	s_delay_alu instid0(VALU_DEP_2) | instskip(SKIP_1) | instid1(VALU_DEP_1)
	v_cndmask_b32_e32 v25, v25, v24, vcc_lo
	s_wait_dscnt 0x0
	v_mul_f32_e32 v25, v25, v26
	s_cbranch_execz .LBB22_534
	s_branch .LBB22_535
.LBB22_533:
                                        ; implicit-def: $vgpr25
.LBB22_534:
	ds_load_b32 v25, v115
.LBB22_535:
	s_mov_b32 s1, exec_lo
	v_cmpx_ne_u32_e32 19, v0
	s_cbranch_execz .LBB22_539
; %bb.536:
	v_mov_b64_e32 v[26:27], v[0:1]
	v_lshl_add_u32 v28, v0, 2, 0x64
	s_mov_b32 s2, 0
.LBB22_537:                             ; =>This Inner Loop Header: Depth=1
	s_delay_alu instid0(VALU_DEP_2)
	v_add_nc_u64_e32 v[26:27], 1, v[26:27]
	ds_load_b32 v30, v28
	v_add_nc_u32_e32 v28, 4, v28
	v_cmp_eq_u32_e32 vcc_lo, 1, v26
	v_cndmask_b32_e32 v29, v2, v3, vcc_lo
	v_cmp_eq_u32_e32 vcc_lo, 2, v26
	s_delay_alu instid0(VALU_DEP_2) | instskip(SKIP_1) | instid1(VALU_DEP_2)
	v_cndmask_b32_e32 v29, v29, v4, vcc_lo
	v_cmp_eq_u32_e32 vcc_lo, 3, v26
	v_cndmask_b32_e32 v29, v29, v5, vcc_lo
	v_cmp_eq_u32_e32 vcc_lo, 4, v26
	s_delay_alu instid0(VALU_DEP_2) | instskip(SKIP_1) | instid1(VALU_DEP_2)
	v_cndmask_b32_e32 v29, v29, v6, vcc_lo
	;; [unrolled: 5-line block ×10, first 2 shown]
	v_cmp_eq_u32_e32 vcc_lo, 21, v26
	v_cndmask_b32_e32 v29, v29, v23, vcc_lo
	v_cmp_eq_u32_e32 vcc_lo, 22, v26
	s_delay_alu instid0(VALU_DEP_2) | instskip(SKIP_2) | instid1(VALU_DEP_2)
	v_cndmask_b32_e32 v29, v29, v24, vcc_lo
	v_cmp_lt_u32_e32 vcc_lo, 18, v26
	s_wait_dscnt 0x0
	v_fmac_f32_e32 v25, v29, v30
	s_or_b32 s2, vcc_lo, s2
	s_delay_alu instid0(SALU_CYCLE_1)
	s_and_not1_b32 exec_lo, exec_lo, s2
	s_cbranch_execnz .LBB22_537
; %bb.538:
	s_or_b32 exec_lo, exec_lo, s2
.LBB22_539:
	s_delay_alu instid0(SALU_CYCLE_1)
	s_or_b32 exec_lo, exec_lo, s1
	v_mov_b32_e32 v22, 0
	ds_load_b32 v22, v22 offset:80
	s_wait_dscnt 0x0
	v_mul_f32_e32 v22, v25, v22
.LBB22_540:
	s_or_b32 exec_lo, exec_lo, s0
	v_cmp_gt_u32_e64 s0, 21, v0
	ds_store_b32 v115, v23
	s_wait_dscnt 0x0
	s_barrier_signal -1
	s_barrier_wait -1
	s_and_saveexec_b32 s1, s0
	s_cbranch_execz .LBB22_550
; %bb.541:
	v_cmp_ne_u32_e32 vcc_lo, 1, v34
	s_cbranch_vccnz .LBB22_543
; %bb.542:
	v_cmp_eq_u32_e32 vcc_lo, 1, v0
	ds_load_b32 v26, v115
	v_cndmask_b32_e32 v25, v2, v3, vcc_lo
	v_cmp_eq_u32_e32 vcc_lo, 2, v0
	s_delay_alu instid0(VALU_DEP_2) | instskip(SKIP_1) | instid1(VALU_DEP_2)
	v_cndmask_b32_e32 v25, v25, v4, vcc_lo
	v_cmp_eq_u32_e32 vcc_lo, 3, v0
	v_cndmask_b32_e32 v25, v25, v5, vcc_lo
	v_cmp_eq_u32_e32 vcc_lo, 4, v0
	s_delay_alu instid0(VALU_DEP_2) | instskip(SKIP_1) | instid1(VALU_DEP_2)
	v_cndmask_b32_e32 v25, v25, v6, vcc_lo
	v_cmp_eq_u32_e32 vcc_lo, 5, v0
	;; [unrolled: 5-line block ×10, first 2 shown]
	v_cndmask_b32_e32 v25, v25, v23, vcc_lo
	v_cmp_eq_u32_e32 vcc_lo, 22, v0
	s_delay_alu instid0(VALU_DEP_2) | instskip(SKIP_1) | instid1(VALU_DEP_1)
	v_cndmask_b32_e32 v25, v25, v24, vcc_lo
	s_wait_dscnt 0x0
	v_mul_f32_e32 v25, v25, v26
	s_cbranch_execz .LBB22_544
	s_branch .LBB22_545
.LBB22_543:
                                        ; implicit-def: $vgpr25
.LBB22_544:
	ds_load_b32 v25, v115
.LBB22_545:
	s_mov_b32 s2, exec_lo
	v_cmpx_ne_u32_e32 20, v0
	s_cbranch_execz .LBB22_549
; %bb.546:
	v_mov_b64_e32 v[26:27], v[0:1]
	v_lshl_add_u32 v28, v0, 2, 0x64
	s_mov_b32 s3, 0
.LBB22_547:                             ; =>This Inner Loop Header: Depth=1
	s_delay_alu instid0(VALU_DEP_2)
	v_add_nc_u64_e32 v[26:27], 1, v[26:27]
	ds_load_b32 v30, v28
	v_add_nc_u32_e32 v28, 4, v28
	v_cmp_eq_u32_e32 vcc_lo, 1, v26
	v_cndmask_b32_e32 v29, v2, v3, vcc_lo
	v_cmp_eq_u32_e32 vcc_lo, 2, v26
	s_delay_alu instid0(VALU_DEP_2) | instskip(SKIP_1) | instid1(VALU_DEP_2)
	v_cndmask_b32_e32 v29, v29, v4, vcc_lo
	v_cmp_eq_u32_e32 vcc_lo, 3, v26
	v_cndmask_b32_e32 v29, v29, v5, vcc_lo
	v_cmp_eq_u32_e32 vcc_lo, 4, v26
	s_delay_alu instid0(VALU_DEP_2) | instskip(SKIP_1) | instid1(VALU_DEP_2)
	v_cndmask_b32_e32 v29, v29, v6, vcc_lo
	;; [unrolled: 5-line block ×10, first 2 shown]
	v_cmp_eq_u32_e32 vcc_lo, 21, v26
	v_cndmask_b32_e32 v29, v29, v23, vcc_lo
	v_cmp_eq_u32_e32 vcc_lo, 22, v26
	s_delay_alu instid0(VALU_DEP_2) | instskip(SKIP_2) | instid1(VALU_DEP_2)
	v_cndmask_b32_e32 v29, v29, v24, vcc_lo
	v_cmp_lt_u32_e32 vcc_lo, 19, v26
	s_wait_dscnt 0x0
	v_fmac_f32_e32 v25, v29, v30
	s_or_b32 s3, vcc_lo, s3
	s_delay_alu instid0(SALU_CYCLE_1)
	s_and_not1_b32 exec_lo, exec_lo, s3
	s_cbranch_execnz .LBB22_547
; %bb.548:
	s_or_b32 exec_lo, exec_lo, s3
.LBB22_549:
	s_delay_alu instid0(SALU_CYCLE_1)
	s_or_b32 exec_lo, exec_lo, s2
	v_mov_b32_e32 v23, 0
	ds_load_b32 v23, v23 offset:84
	s_wait_dscnt 0x0
	v_mul_f32_e32 v23, v25, v23
.LBB22_550:
	s_or_b32 exec_lo, exec_lo, s1
	s_delay_alu instid0(SALU_CYCLE_1)
	s_mov_b32 s1, exec_lo
	ds_store_b32 v115, v24
	s_wait_dscnt 0x0
	s_barrier_signal -1
	s_barrier_wait -1
	v_cmpx_ne_u32_e32 22, v0
	s_cbranch_execz .LBB22_560
; %bb.551:
	v_cmp_ne_u32_e32 vcc_lo, 1, v34
	s_cbranch_vccnz .LBB22_553
; %bb.552:
	v_cmp_eq_u32_e32 vcc_lo, 1, v0
	ds_load_b32 v26, v115
	v_cndmask_b32_e32 v25, v2, v3, vcc_lo
	v_cmp_eq_u32_e32 vcc_lo, 2, v0
	s_delay_alu instid0(VALU_DEP_2) | instskip(SKIP_1) | instid1(VALU_DEP_2)
	v_cndmask_b32_e32 v25, v25, v4, vcc_lo
	v_cmp_eq_u32_e32 vcc_lo, 3, v0
	v_cndmask_b32_e32 v25, v25, v5, vcc_lo
	v_cmp_eq_u32_e32 vcc_lo, 4, v0
	s_delay_alu instid0(VALU_DEP_2) | instskip(SKIP_1) | instid1(VALU_DEP_2)
	v_cndmask_b32_e32 v25, v25, v6, vcc_lo
	v_cmp_eq_u32_e32 vcc_lo, 5, v0
	;; [unrolled: 5-line block ×10, first 2 shown]
	v_cndmask_b32_e32 v25, v25, v23, vcc_lo
	v_cmp_eq_u32_e32 vcc_lo, 22, v0
	s_delay_alu instid0(VALU_DEP_2) | instskip(SKIP_1) | instid1(VALU_DEP_1)
	v_cndmask_b32_e32 v25, v25, v24, vcc_lo
	s_wait_dscnt 0x0
	v_mul_f32_e32 v25, v25, v26
	s_cbranch_execz .LBB22_554
	s_branch .LBB22_555
.LBB22_553:
                                        ; implicit-def: $vgpr25
.LBB22_554:
	ds_load_b32 v25, v115
.LBB22_555:
	s_and_saveexec_b32 s2, s0
	s_cbranch_execz .LBB22_559
; %bb.556:
	v_lshl_add_u32 v26, v0, 2, 0x64
	s_mov_b32 s0, 0
.LBB22_557:                             ; =>This Inner Loop Header: Depth=1
	v_add_nc_u64_e32 v[0:1], 1, v[0:1]
	ds_load_b32 v28, v26
	v_add_nc_u32_e32 v26, 4, v26
	v_cmp_eq_u32_e32 vcc_lo, 1, v0
	v_cndmask_b32_e32 v27, v2, v3, vcc_lo
	v_cmp_eq_u32_e32 vcc_lo, 2, v0
	s_delay_alu instid0(VALU_DEP_2) | instskip(SKIP_1) | instid1(VALU_DEP_2)
	v_cndmask_b32_e32 v27, v27, v4, vcc_lo
	v_cmp_eq_u32_e32 vcc_lo, 3, v0
	v_cndmask_b32_e32 v27, v27, v5, vcc_lo
	v_cmp_eq_u32_e32 vcc_lo, 4, v0
	s_delay_alu instid0(VALU_DEP_2) | instskip(SKIP_1) | instid1(VALU_DEP_2)
	v_cndmask_b32_e32 v27, v27, v6, vcc_lo
	;; [unrolled: 5-line block ×10, first 2 shown]
	v_cmp_eq_u32_e32 vcc_lo, 21, v0
	v_cndmask_b32_e32 v27, v27, v23, vcc_lo
	v_cmp_eq_u32_e32 vcc_lo, 22, v0
	s_delay_alu instid0(VALU_DEP_2) | instskip(SKIP_2) | instid1(VALU_DEP_2)
	v_cndmask_b32_e32 v27, v27, v24, vcc_lo
	v_cmp_lt_u32_e32 vcc_lo, 20, v0
	s_wait_dscnt 0x0
	v_fmac_f32_e32 v25, v27, v28
	s_or_b32 s0, vcc_lo, s0
	s_delay_alu instid0(SALU_CYCLE_1)
	s_and_not1_b32 exec_lo, exec_lo, s0
	s_cbranch_execnz .LBB22_557
; %bb.558:
	s_or_b32 exec_lo, exec_lo, s0
.LBB22_559:
	s_delay_alu instid0(SALU_CYCLE_1)
	s_or_b32 exec_lo, exec_lo, s2
	v_mov_b32_e32 v0, 0
	ds_load_b32 v0, v0 offset:88
	s_wait_dscnt 0x0
	v_mul_f32_e32 v24, v25, v0
.LBB22_560:
	s_or_b32 exec_lo, exec_lo, s1
	v_mov_b64_e32 v[64:65], v[32:33]
	s_delay_alu instid0(VALU_DEP_2)
	v_mov_b64_e32 v[56:57], v[24:25]
	v_mov_b64_e32 v[54:55], v[22:23]
	;; [unrolled: 1-line block ×15, first 2 shown]
.LBB22_561:
	s_wait_xcnt 0x6
	v_lshl_add_u64 v[0:1], v[66:67], 2, s[26:27]
	s_wait_loadcnt 0x6
	v_lshl_add_u64 v[2:3], v[68:69], 2, s[26:27]
	v_lshl_add_u64 v[4:5], v[70:71], 2, s[26:27]
	;; [unrolled: 1-line block ×8, first 2 shown]
	s_wait_loadcnt 0x5
	v_lshl_add_u64 v[18:19], v[84:85], 2, s[26:27]
	s_wait_loadcnt 0x3
	v_lshl_add_u64 v[20:21], v[86:87], 2, s[26:27]
	;; [unrolled: 2-line block ×4, first 2 shown]
	v_lshl_add_u64 v[26:27], v[92:93], 2, s[26:27]
	v_lshl_add_u64 v[28:29], v[96:97], 2, s[26:27]
	;; [unrolled: 1-line block ×8, first 2 shown]
	s_clause 0x16
	global_store_b32 v[94:95], v34, off
	global_store_b32 v[98:99], v35, off
	;; [unrolled: 1-line block ×23, first 2 shown]
.LBB22_562:
	s_sendmsg sendmsg(MSG_DEALLOC_VGPRS)
	s_endpgm
	.section	.rodata,"a",@progbits
	.p2align	6, 0x0
	.amdhsa_kernel _ZN9rocsolver6v33100L18trti2_kernel_smallILi23EfPfEEv13rocblas_fill_17rocblas_diagonal_T1_iil
		.amdhsa_group_segment_fixed_size 188
		.amdhsa_private_segment_fixed_size 0
		.amdhsa_kernarg_size 32
		.amdhsa_user_sgpr_count 2
		.amdhsa_user_sgpr_dispatch_ptr 0
		.amdhsa_user_sgpr_queue_ptr 0
		.amdhsa_user_sgpr_kernarg_segment_ptr 1
		.amdhsa_user_sgpr_dispatch_id 0
		.amdhsa_user_sgpr_kernarg_preload_length 0
		.amdhsa_user_sgpr_kernarg_preload_offset 0
		.amdhsa_user_sgpr_private_segment_size 0
		.amdhsa_wavefront_size32 1
		.amdhsa_uses_dynamic_stack 0
		.amdhsa_enable_private_segment 0
		.amdhsa_system_sgpr_workgroup_id_x 1
		.amdhsa_system_sgpr_workgroup_id_y 0
		.amdhsa_system_sgpr_workgroup_id_z 0
		.amdhsa_system_sgpr_workgroup_info 0
		.amdhsa_system_vgpr_workitem_id 0
		.amdhsa_next_free_vgpr 127
		.amdhsa_next_free_sgpr 32
		.amdhsa_named_barrier_count 0
		.amdhsa_reserve_vcc 1
		.amdhsa_float_round_mode_32 0
		.amdhsa_float_round_mode_16_64 0
		.amdhsa_float_denorm_mode_32 3
		.amdhsa_float_denorm_mode_16_64 3
		.amdhsa_fp16_overflow 0
		.amdhsa_memory_ordered 1
		.amdhsa_forward_progress 1
		.amdhsa_inst_pref_size 255
		.amdhsa_round_robin_scheduling 0
		.amdhsa_exception_fp_ieee_invalid_op 0
		.amdhsa_exception_fp_denorm_src 0
		.amdhsa_exception_fp_ieee_div_zero 0
		.amdhsa_exception_fp_ieee_overflow 0
		.amdhsa_exception_fp_ieee_underflow 0
		.amdhsa_exception_fp_ieee_inexact 0
		.amdhsa_exception_int_div_zero 0
	.end_amdhsa_kernel
	.section	.text._ZN9rocsolver6v33100L18trti2_kernel_smallILi23EfPfEEv13rocblas_fill_17rocblas_diagonal_T1_iil,"axG",@progbits,_ZN9rocsolver6v33100L18trti2_kernel_smallILi23EfPfEEv13rocblas_fill_17rocblas_diagonal_T1_iil,comdat
.Lfunc_end22:
	.size	_ZN9rocsolver6v33100L18trti2_kernel_smallILi23EfPfEEv13rocblas_fill_17rocblas_diagonal_T1_iil, .Lfunc_end22-_ZN9rocsolver6v33100L18trti2_kernel_smallILi23EfPfEEv13rocblas_fill_17rocblas_diagonal_T1_iil
                                        ; -- End function
	.set _ZN9rocsolver6v33100L18trti2_kernel_smallILi23EfPfEEv13rocblas_fill_17rocblas_diagonal_T1_iil.num_vgpr, 127
	.set _ZN9rocsolver6v33100L18trti2_kernel_smallILi23EfPfEEv13rocblas_fill_17rocblas_diagonal_T1_iil.num_agpr, 0
	.set _ZN9rocsolver6v33100L18trti2_kernel_smallILi23EfPfEEv13rocblas_fill_17rocblas_diagonal_T1_iil.numbered_sgpr, 32
	.set _ZN9rocsolver6v33100L18trti2_kernel_smallILi23EfPfEEv13rocblas_fill_17rocblas_diagonal_T1_iil.num_named_barrier, 0
	.set _ZN9rocsolver6v33100L18trti2_kernel_smallILi23EfPfEEv13rocblas_fill_17rocblas_diagonal_T1_iil.private_seg_size, 0
	.set _ZN9rocsolver6v33100L18trti2_kernel_smallILi23EfPfEEv13rocblas_fill_17rocblas_diagonal_T1_iil.uses_vcc, 1
	.set _ZN9rocsolver6v33100L18trti2_kernel_smallILi23EfPfEEv13rocblas_fill_17rocblas_diagonal_T1_iil.uses_flat_scratch, 0
	.set _ZN9rocsolver6v33100L18trti2_kernel_smallILi23EfPfEEv13rocblas_fill_17rocblas_diagonal_T1_iil.has_dyn_sized_stack, 0
	.set _ZN9rocsolver6v33100L18trti2_kernel_smallILi23EfPfEEv13rocblas_fill_17rocblas_diagonal_T1_iil.has_recursion, 0
	.set _ZN9rocsolver6v33100L18trti2_kernel_smallILi23EfPfEEv13rocblas_fill_17rocblas_diagonal_T1_iil.has_indirect_call, 0
	.section	.AMDGPU.csdata,"",@progbits
; Kernel info:
; codeLenInByte = 35872
; TotalNumSgprs: 34
; NumVgprs: 127
; ScratchSize: 0
; MemoryBound: 0
; FloatMode: 240
; IeeeMode: 1
; LDSByteSize: 188 bytes/workgroup (compile time only)
; SGPRBlocks: 0
; VGPRBlocks: 7
; NumSGPRsForWavesPerEU: 34
; NumVGPRsForWavesPerEU: 127
; NamedBarCnt: 0
; Occupancy: 8
; WaveLimiterHint : 0
; COMPUTE_PGM_RSRC2:SCRATCH_EN: 0
; COMPUTE_PGM_RSRC2:USER_SGPR: 2
; COMPUTE_PGM_RSRC2:TRAP_HANDLER: 0
; COMPUTE_PGM_RSRC2:TGID_X_EN: 1
; COMPUTE_PGM_RSRC2:TGID_Y_EN: 0
; COMPUTE_PGM_RSRC2:TGID_Z_EN: 0
; COMPUTE_PGM_RSRC2:TIDIG_COMP_CNT: 0
	.section	.text._ZN9rocsolver6v33100L18trti2_kernel_smallILi24EfPfEEv13rocblas_fill_17rocblas_diagonal_T1_iil,"axG",@progbits,_ZN9rocsolver6v33100L18trti2_kernel_smallILi24EfPfEEv13rocblas_fill_17rocblas_diagonal_T1_iil,comdat
	.globl	_ZN9rocsolver6v33100L18trti2_kernel_smallILi24EfPfEEv13rocblas_fill_17rocblas_diagonal_T1_iil ; -- Begin function _ZN9rocsolver6v33100L18trti2_kernel_smallILi24EfPfEEv13rocblas_fill_17rocblas_diagonal_T1_iil
	.p2align	8
	.type	_ZN9rocsolver6v33100L18trti2_kernel_smallILi24EfPfEEv13rocblas_fill_17rocblas_diagonal_T1_iil,@function
_ZN9rocsolver6v33100L18trti2_kernel_smallILi24EfPfEEv13rocblas_fill_17rocblas_diagonal_T1_iil: ; @_ZN9rocsolver6v33100L18trti2_kernel_smallILi24EfPfEEv13rocblas_fill_17rocblas_diagonal_T1_iil
; %bb.0:
	s_mov_b32 s2, exec_lo
	v_cmpx_gt_u32_e32 24, v0
	s_cbranch_execz .LBB23_588
; %bb.1:
	s_load_b256 s[24:31], s[0:1], 0x0
	s_wait_xcnt 0x0
	s_bfe_u32 s0, ttmp6, 0x4000c
	s_and_b32 s1, ttmp6, 15
	s_add_co_i32 s0, s0, 1
	s_getreg_b32 s2, hwreg(HW_REG_IB_STS2, 6, 4)
	s_mul_i32 s0, ttmp9, s0
	v_mov_b32_e32 v1, 0
	s_add_co_i32 s0, s1, s0
	s_delay_alu instid0(VALU_DEP_1)
	v_mov_b32_e32 v35, v1
	s_wait_kmcnt 0x0
	v_add3_u32 v66, s29, s29, v0
	s_ashr_i32 s1, s28, 31
	s_cmp_eq_u32 s2, 0
	s_cselect_b32 s2, ttmp9, s0
	s_delay_alu instid0(VALU_DEP_1)
	v_add_nc_u32_e32 v68, s29, v66
	s_ashr_i32 s3, s2, 31
	s_mov_b32 s0, s28
	s_mul_u64 s[2:3], s[30:31], s[2:3]
	s_lshl_b64 s[0:1], s[0:1], 2
	v_add_nc_u32_e32 v70, s29, v68
	s_lshl_b64 s[2:3], s[2:3], 2
	s_delay_alu instid0(SALU_CYCLE_1) | instskip(NEXT) | instid1(VALU_DEP_1)
	s_add_nc_u64 s[2:3], s[26:27], s[2:3]
	v_add_nc_u32_e32 v72, s29, v70
	s_add_nc_u64 s[26:27], s[2:3], s[0:1]
	s_mov_b32 s0, s29
	s_ashr_i32 s1, s29, 31
	s_cmp_lg_u32 s25, 0x84
	v_add_nc_u32_e32 v74, s29, v72
	s_cselect_b32 s28, -1, 0
	s_cmp_eq_u32 s25, 0x84
	s_delay_alu instid0(VALU_DEP_1) | instskip(NEXT) | instid1(VALU_DEP_1)
	v_add_nc_u32_e32 v76, s29, v74
	v_add_nc_u32_e32 v78, s29, v76
	s_delay_alu instid0(VALU_DEP_1) | instskip(NEXT) | instid1(VALU_DEP_1)
	v_add_nc_u32_e32 v80, s29, v78
	v_add_nc_u32_e32 v82, s29, v80
	;; [unrolled: 3-line block ×5, first 2 shown]
	s_delay_alu instid0(VALU_DEP_1) | instskip(NEXT) | instid1(VALU_DEP_1)
	v_dual_lshlrev_b32 v34, 2, v0 :: v_dual_add_nc_u32 v98, s29, v94
	v_add_nc_u64_e32 v[96:97], s[26:27], v[34:35]
	s_delay_alu instid0(VALU_DEP_2) | instskip(NEXT) | instid1(VALU_DEP_2)
	v_dual_mov_b32 v35, -1.0 :: v_dual_add_nc_u32 v102, s29, v98
	v_lshl_add_u64 v[100:101], s[0:1], 2, v[96:97]
	s_clause 0x7
	global_load_b32 v3, v[100:101], off
	global_load_b32 v4, v66, s[26:27] scale_offset
	global_load_b32 v5, v68, s[26:27] scale_offset
	;; [unrolled: 1-line block ×7, first 2 shown]
	v_add_nc_u32_e32 v104, s29, v102
	s_clause 0x7
	global_load_b32 v11, v80, s[26:27] scale_offset
	global_load_b32 v12, v82, s[26:27] scale_offset
	;; [unrolled: 1-line block ×8, first 2 shown]
	v_cmp_eq_u32_e64 s0, 0, v0
	v_add_nc_u32_e32 v106, s29, v104
	s_delay_alu instid0(VALU_DEP_1) | instskip(NEXT) | instid1(VALU_DEP_1)
	v_add_nc_u32_e32 v108, s29, v106
	v_add_nc_u32_e32 v110, s29, v108
	s_delay_alu instid0(VALU_DEP_1)
	v_add_nc_u32_e32 v112, s29, v110
	s_clause 0x7
	global_load_b32 v2, v0, s[26:27] scale_offset
	global_load_b32 v19, v98, s[26:27] scale_offset
	;; [unrolled: 1-line block ×8, first 2 shown]
	s_cbranch_scc1 .LBB23_3
; %bb.2:
	v_cmp_eq_u32_e64 s1, 1, v0
	v_cmp_eq_u32_e64 s2, 2, v0
	v_cmp_eq_u32_e64 s3, 3, v0
	v_cmp_eq_u32_e64 s4, 4, v0
	v_cmp_eq_u32_e64 s5, 5, v0
	s_wait_loadcnt 0x7
	v_cndmask_b32_e64 v26, v2, v3, s1
	v_cmp_eq_u32_e64 s6, 6, v0
	v_cmp_eq_u32_e64 s7, 7, v0
	v_cmp_eq_u32_e64 s8, 8, v0
	v_cmp_eq_u32_e64 s9, 9, v0
	v_cndmask_b32_e64 v26, v26, v4, s2
	v_cmp_eq_u32_e64 s10, 10, v0
	v_cmp_eq_u32_e64 s11, 11, v0
	v_cmp_eq_u32_e64 s12, 12, v0
	v_cmp_eq_u32_e64 s13, 13, v0
	;; [unrolled: 5-line block ×4, first 2 shown]
	v_cndmask_b32_e64 v26, v26, v7, s5
	v_cmp_eq_u32_e64 s22, 22, v0
	v_cmp_eq_u32_e64 s23, 23, v0
	s_delay_alu instid0(VALU_DEP_3) | instskip(NEXT) | instid1(VALU_DEP_1)
	v_cndmask_b32_e64 v26, v26, v8, s6
	v_cndmask_b32_e64 v26, v26, v9, s7
	s_delay_alu instid0(VALU_DEP_1) | instskip(NEXT) | instid1(VALU_DEP_1)
	v_cndmask_b32_e64 v26, v26, v10, s8
	v_cndmask_b32_e64 v26, v26, v11, s9
	s_delay_alu instid0(VALU_DEP_1) | instskip(NEXT) | instid1(VALU_DEP_1)
	;; [unrolled: 3-line block ×4, first 2 shown]
	v_cndmask_b32_e64 v26, v26, v16, s14
	v_cndmask_b32_e64 v26, v26, v17, s15
	s_delay_alu instid0(VALU_DEP_1) | instskip(SKIP_1) | instid1(VALU_DEP_1)
	v_cndmask_b32_e64 v26, v26, v18, s16
	s_wait_loadcnt 0x6
	v_cndmask_b32_e64 v26, v26, v19, s17
	s_wait_loadcnt 0x5
	s_delay_alu instid0(VALU_DEP_1) | instskip(SKIP_1) | instid1(VALU_DEP_1)
	v_cndmask_b32_e64 v26, v26, v20, s18
	s_wait_loadcnt 0x4
	v_cndmask_b32_e64 v26, v26, v21, s19
	s_wait_loadcnt 0x3
	;; [unrolled: 5-line block ×3, first 2 shown]
	s_delay_alu instid0(VALU_DEP_1) | instskip(SKIP_1) | instid1(VALU_DEP_1)
	v_cndmask_b32_e64 v26, v26, v24, s22
	s_wait_loadcnt 0x0
	v_cndmask_b32_e64 v26, v26, v25, s23
	s_delay_alu instid0(VALU_DEP_1) | instskip(SKIP_1) | instid1(VALU_DEP_2)
	v_div_scale_f32 v27, null, v26, v26, 1.0
	v_div_scale_f32 v30, vcc_lo, 1.0, v26, 1.0
	v_rcp_f32_e32 v28, v27
	v_nop
	s_delay_alu instid0(TRANS32_DEP_1) | instskip(NEXT) | instid1(VALU_DEP_1)
	v_fma_f32 v29, -v27, v28, 1.0
	v_fmac_f32_e32 v28, v29, v28
	s_delay_alu instid0(VALU_DEP_1) | instskip(NEXT) | instid1(VALU_DEP_1)
	v_mul_f32_e32 v29, v30, v28
	v_fma_f32 v31, -v27, v29, v30
	s_delay_alu instid0(VALU_DEP_1) | instskip(NEXT) | instid1(VALU_DEP_1)
	v_fmac_f32_e32 v29, v31, v28
	v_fma_f32 v27, -v27, v29, v30
	s_delay_alu instid0(VALU_DEP_1) | instskip(NEXT) | instid1(VALU_DEP_1)
	v_div_fmas_f32 v27, v27, v28, v29
	v_div_fixup_f32 v26, v27, v26, 1.0
	s_delay_alu instid0(VALU_DEP_1)
	v_dual_cndmask_b32 v25, v25, v26, s23 :: v_dual_cndmask_b32 v24, v24, v26, s22
	v_dual_cndmask_b32 v23, v23, v26, s21 :: v_dual_cndmask_b32 v22, v22, v26, s20
	;; [unrolled: 1-line block ×12, first 2 shown]
	v_xor_b32_e32 v35, 0x80000000, v26
.LBB23_3:
	v_dual_ashrrev_i32 v67, 31, v66 :: v_dual_ashrrev_i32 v69, 31, v68
	v_dual_ashrrev_i32 v71, 31, v70 :: v_dual_ashrrev_i32 v73, 31, v72
	;; [unrolled: 1-line block ×10, first 2 shown]
	v_ashrrev_i32_e32 v107, 31, v106
	v_ashrrev_i32_e32 v111, 31, v110
	v_add_nc_u32_e32 v117, 0x60, v34
	s_cmp_eq_u32 s24, 0x79
	ds_store_b32 v34, v35
	s_cbranch_scc1 .LBB23_7
; %bb.4:
	s_wait_loadcnt 0x0
	v_mov_b64_e32 v[64:65], v[32:33]
	v_mov_b64_e32 v[62:63], v[30:31]
	;; [unrolled: 1-line block ×16, first 2 shown]
	v_cmp_eq_u32_e64 s0, 23, v0
	ds_store_b32 v117, v24
	s_wait_dscnt 0x0
	s_barrier_signal -1
	s_barrier_wait -1
	s_and_saveexec_b32 s1, s0
	s_cbranch_execz .LBB23_11
; %bb.5:
	s_and_b32 vcc_lo, exec_lo, s28
	s_cbranch_vccz .LBB23_8
; %bb.6:
	v_cmp_eq_u32_e32 vcc_lo, 1, v0
	ds_load_b32 v35, v117
	v_cndmask_b32_e32 v34, v2, v3, vcc_lo
	v_cmp_eq_u32_e32 vcc_lo, 2, v0
	s_delay_alu instid0(VALU_DEP_2) | instskip(SKIP_1) | instid1(VALU_DEP_2)
	v_cndmask_b32_e32 v34, v34, v4, vcc_lo
	v_cmp_eq_u32_e32 vcc_lo, 3, v0
	v_cndmask_b32_e32 v34, v34, v5, vcc_lo
	v_cmp_eq_u32_e32 vcc_lo, 4, v0
	s_delay_alu instid0(VALU_DEP_2) | instskip(SKIP_1) | instid1(VALU_DEP_2)
	v_cndmask_b32_e32 v34, v34, v6, vcc_lo
	v_cmp_eq_u32_e32 vcc_lo, 5, v0
	;; [unrolled: 5-line block ×11, first 2 shown]
	v_cndmask_b32_e32 v34, v34, v25, vcc_lo
	s_wait_dscnt 0x0
	s_delay_alu instid0(VALU_DEP_1)
	v_mul_f32_e32 v56, v34, v35
	s_cbranch_execz .LBB23_9
	s_branch .LBB23_10
.LBB23_7:
                                        ; implicit-def: $vgpr34_vgpr35_vgpr36_vgpr37_vgpr38_vgpr39_vgpr40_vgpr41_vgpr42_vgpr43_vgpr44_vgpr45_vgpr46_vgpr47_vgpr48_vgpr49_vgpr50_vgpr51_vgpr52_vgpr53_vgpr54_vgpr55_vgpr56_vgpr57_vgpr58_vgpr59_vgpr60_vgpr61_vgpr62_vgpr63_vgpr64_vgpr65
	s_cbranch_execnz .LBB23_354
	s_branch .LBB23_587
.LBB23_8:
                                        ; implicit-def: $vgpr56
.LBB23_9:
	ds_load_b32 v56, v117
.LBB23_10:
	v_dual_mov_b32 v37, 0 :: v_dual_mov_b32 v34, v2
	v_dual_mov_b32 v35, v3 :: v_dual_mov_b32 v36, v4
	;; [unrolled: 1-line block ×3, first 2 shown]
	ds_load_b32 v57, v37 offset:88
	v_dual_mov_b32 v37, v5 :: v_dual_mov_b32 v38, v6
	v_dual_mov_b32 v41, v9 :: v_dual_mov_b32 v42, v10
	;; [unrolled: 1-line block ×8, first 2 shown]
	s_wait_dscnt 0x0
	v_dual_mov_b32 v55, v23 :: v_dual_mul_f32 v56, v56, v57
	v_mov_b32_e32 v57, v25
.LBB23_11:
	s_or_b32 exec_lo, exec_lo, s1
	v_cmp_lt_u32_e64 s1, 21, v0
	ds_store_b32 v117, v55
	s_wait_dscnt 0x0
	s_barrier_signal -1
	s_barrier_wait -1
	s_and_saveexec_b32 s2, s1
	s_cbranch_execz .LBB23_17
; %bb.12:
	s_and_not1_b32 vcc_lo, exec_lo, s28
	s_cbranch_vccnz .LBB23_14
; %bb.13:
	v_cmp_eq_u32_e32 vcc_lo, 1, v0
	ds_load_b32 v59, v117
	v_cndmask_b32_e32 v58, v34, v35, vcc_lo
	v_cmp_eq_u32_e32 vcc_lo, 2, v0
	s_delay_alu instid0(VALU_DEP_2) | instskip(SKIP_1) | instid1(VALU_DEP_2)
	v_cndmask_b32_e32 v58, v58, v36, vcc_lo
	v_cmp_eq_u32_e32 vcc_lo, 3, v0
	v_cndmask_b32_e32 v58, v58, v37, vcc_lo
	v_cmp_eq_u32_e32 vcc_lo, 4, v0
	s_delay_alu instid0(VALU_DEP_2) | instskip(SKIP_1) | instid1(VALU_DEP_2)
	v_cndmask_b32_e32 v58, v58, v38, vcc_lo
	v_cmp_eq_u32_e32 vcc_lo, 5, v0
	;; [unrolled: 5-line block ×11, first 2 shown]
	v_cndmask_b32_e32 v55, v55, v57, vcc_lo
	s_wait_dscnt 0x0
	s_delay_alu instid0(VALU_DEP_1)
	v_mul_f32_e32 v55, v55, v59
	s_cbranch_execz .LBB23_15
	s_branch .LBB23_16
.LBB23_14:
                                        ; implicit-def: $vgpr55
.LBB23_15:
	ds_load_b32 v55, v117
.LBB23_16:
	v_mov_b32_e32 v58, 0
	ds_load_2addr_b32 v[58:59], v58 offset0:21 offset1:46
	s_wait_dscnt 0x0
	v_fma_f32 v59, v56, v59, v55
	s_delay_alu instid0(VALU_DEP_1) | instskip(NEXT) | instid1(VALU_DEP_1)
	v_cndmask_b32_e64 v55, v55, v59, s0
	v_mul_f32_e32 v55, v55, v58
.LBB23_17:
	s_or_b32 exec_lo, exec_lo, s2
	v_cmp_lt_u32_e64 s0, 20, v0
	ds_store_b32 v117, v54
	s_wait_dscnt 0x0
	s_barrier_signal -1
	s_barrier_wait -1
	s_and_saveexec_b32 s4, s0
	s_cbranch_execz .LBB23_33
; %bb.18:
	s_and_not1_b32 vcc_lo, exec_lo, s28
	s_cbranch_vccnz .LBB23_20
; %bb.19:
	v_cmp_eq_u32_e32 vcc_lo, 1, v0
	ds_load_b32 v115, v117
	v_cndmask_b32_e32 v114, v34, v35, vcc_lo
	v_cmp_eq_u32_e32 vcc_lo, 2, v0
	s_delay_alu instid0(VALU_DEP_2) | instskip(SKIP_1) | instid1(VALU_DEP_2)
	v_cndmask_b32_e32 v114, v114, v36, vcc_lo
	v_cmp_eq_u32_e32 vcc_lo, 3, v0
	v_cndmask_b32_e32 v114, v114, v37, vcc_lo
	v_cmp_eq_u32_e32 vcc_lo, 4, v0
	s_delay_alu instid0(VALU_DEP_2) | instskip(SKIP_1) | instid1(VALU_DEP_2)
	v_cndmask_b32_e32 v114, v114, v38, vcc_lo
	v_cmp_eq_u32_e32 vcc_lo, 5, v0
	;; [unrolled: 5-line block ×11, first 2 shown]
	v_cndmask_b32_e32 v114, v114, v57, vcc_lo
	s_wait_dscnt 0x0
	s_delay_alu instid0(VALU_DEP_1)
	v_mul_f32_e32 v118, v114, v115
	s_cbranch_execz .LBB23_21
	s_branch .LBB23_22
.LBB23_20:
                                        ; implicit-def: $vgpr118
.LBB23_21:
	ds_load_b32 v118, v117
.LBB23_22:
	s_and_saveexec_b32 s5, s1
	s_cbranch_execz .LBB23_32
; %bb.23:
	v_subrev_nc_u32_e32 v116, 22, v0
	v_mov_b32_e32 v114, 21
	v_subrev_nc_u32_e32 v115, 21, v0
	s_mov_b32 s1, exec_lo
	s_delay_alu instid0(VALU_DEP_3)
	v_cmpx_lt_u32_e32 6, v116
	s_cbranch_execz .LBB23_27
; %bb.24:
	s_delay_alu instid0(VALU_DEP_2) | instskip(SKIP_3) | instid1(VALU_DEP_1)
	v_and_b32_e32 v114, -8, v115
	s_mov_b32 s6, 0
	s_mov_b64 s[2:3], 28
	s_movk_i32 s7, 0xb4
	v_sub_nc_u32_e32 v116, 0, v114
.LBB23_25:                              ; =>This Inner Loop Header: Depth=1
	s_add_co_i32 m0, s2, -7
	v_movrels_b32_e32 v114, v34
	v_mov_b32_e32 v119, s7
	s_add_co_i32 m0, s2, -6
	s_add_co_i32 s7, s7, 32
	ds_load_2addr_b32 v[120:121], v119 offset1:1
	s_wait_dscnt 0x0
	v_fmac_f32_e32 v118, v114, v120
	v_movrels_b32_e32 v114, v34
	s_add_co_i32 m0, s2, -5
	s_delay_alu instid0(VALU_DEP_1) | instskip(SKIP_4) | instid1(VALU_DEP_1)
	v_fmac_f32_e32 v118, v114, v121
	ds_load_2addr_b32 v[120:121], v119 offset0:2 offset1:3
	v_movrels_b32_e32 v114, v34
	s_add_co_i32 m0, s2, -4
	s_wait_dscnt 0x0
	v_fmac_f32_e32 v118, v114, v120
	v_movrels_b32_e32 v114, v34
	s_add_co_i32 m0, s2, -3
	s_delay_alu instid0(VALU_DEP_1) | instskip(SKIP_4) | instid1(VALU_DEP_1)
	v_fmac_f32_e32 v118, v114, v121
	ds_load_2addr_b32 v[120:121], v119 offset0:4 offset1:5
	v_movrels_b32_e32 v114, v34
	s_add_co_i32 m0, s2, -2
	s_wait_dscnt 0x0
	v_fmac_f32_e32 v118, v114, v120
	v_movrels_b32_e32 v114, v34
	s_add_co_i32 m0, s2, -1
	s_delay_alu instid0(VALU_DEP_1) | instskip(SKIP_4) | instid1(SALU_CYCLE_1)
	v_fmac_f32_e32 v118, v114, v121
	ds_load_2addr_b32 v[120:121], v119 offset0:6 offset1:7
	v_movrels_b32_e32 v114, v34
	s_mov_b32 m0, s2
	s_add_nc_u64 s[2:3], s[2:3], 8
	s_add_co_i32 s8, s2, -7
	s_wait_dscnt 0x0
	v_fmac_f32_e32 v118, v114, v120
	v_movrels_b32_e32 v114, v34
	s_delay_alu instid0(VALU_DEP_1) | instskip(NEXT) | instid1(VALU_DEP_1)
	v_dual_fmac_f32 v118, v114, v121 :: v_dual_add_nc_u32 v114, s2, v116
	v_cmp_eq_u32_e32 vcc_lo, 28, v114
	v_mov_b32_e32 v114, s8
	s_or_b32 s6, vcc_lo, s6
	s_delay_alu instid0(SALU_CYCLE_1)
	s_and_not1_b32 exec_lo, exec_lo, s6
	s_cbranch_execnz .LBB23_25
; %bb.26:
	s_or_b32 exec_lo, exec_lo, s6
.LBB23_27:
	s_delay_alu instid0(SALU_CYCLE_1) | instskip(SKIP_3) | instid1(VALU_DEP_1)
	s_or_b32 exec_lo, exec_lo, s1
	v_and_b32_e32 v58, 7, v115
	s_mov_b32 s2, 0
	s_mov_b32 s1, exec_lo
	v_cmpx_ne_u32_e32 0, v58
	s_cbranch_execz .LBB23_31
; %bb.28:
	v_lshl_add_u32 v59, v114, 2, 0x60
	v_mov_b32_e32 v115, 0
.LBB23_29:                              ; =>This Inner Loop Header: Depth=1
	v_cmp_eq_u32_e32 vcc_lo, 1, v114
	ds_load_b32 v61, v59
	v_dual_add_nc_u32 v58, -1, v58 :: v_dual_add_nc_u32 v59, 4, v59
	v_cndmask_b32_e32 v60, v34, v35, vcc_lo
	v_cmp_eq_u32_e32 vcc_lo, 2, v114
	s_delay_alu instid0(VALU_DEP_2) | instskip(SKIP_1) | instid1(VALU_DEP_2)
	v_cndmask_b32_e32 v60, v60, v36, vcc_lo
	v_cmp_eq_u32_e32 vcc_lo, 3, v114
	v_cndmask_b32_e32 v60, v60, v37, vcc_lo
	v_cmp_eq_u32_e32 vcc_lo, 4, v114
	s_delay_alu instid0(VALU_DEP_2) | instskip(SKIP_1) | instid1(VALU_DEP_2)
	v_cndmask_b32_e32 v60, v60, v38, vcc_lo
	v_cmp_eq_u32_e32 vcc_lo, 5, v114
	;; [unrolled: 5-line block ×10, first 2 shown]
	v_cndmask_b32_e32 v60, v60, v55, vcc_lo
	v_cmp_eq_u32_e32 vcc_lo, 22, v114
	s_delay_alu instid0(VALU_DEP_2) | instskip(SKIP_2) | instid1(VALU_DEP_3)
	v_cndmask_b32_e32 v60, v60, v56, vcc_lo
	v_cmp_eq_u32_e32 vcc_lo, 23, v114
	v_add_nc_u64_e32 v[114:115], 1, v[114:115]
	v_cndmask_b32_e32 v60, v60, v57, vcc_lo
	v_cmp_eq_u32_e32 vcc_lo, 0, v58
	s_wait_dscnt 0x0
	s_delay_alu instid0(VALU_DEP_2) | instskip(SKIP_1) | instid1(SALU_CYCLE_1)
	v_fmac_f32_e32 v118, v60, v61
	s_or_b32 s2, vcc_lo, s2
	s_and_not1_b32 exec_lo, exec_lo, s2
	s_cbranch_execnz .LBB23_29
; %bb.30:
	s_or_b32 exec_lo, exec_lo, s2
.LBB23_31:
	s_delay_alu instid0(SALU_CYCLE_1)
	s_or_b32 exec_lo, exec_lo, s1
.LBB23_32:
	s_delay_alu instid0(SALU_CYCLE_1)
	s_or_b32 exec_lo, exec_lo, s5
	v_mov_b32_e32 v54, 0
	ds_load_b32 v54, v54 offset:80
	s_wait_dscnt 0x0
	v_mul_f32_e32 v54, v118, v54
.LBB23_33:
	s_or_b32 exec_lo, exec_lo, s4
	v_cmp_lt_u32_e64 s1, 19, v0
	ds_store_b32 v117, v53
	s_wait_dscnt 0x0
	s_barrier_signal -1
	s_barrier_wait -1
	s_and_saveexec_b32 s4, s1
	s_cbranch_execz .LBB23_49
; %bb.34:
	s_and_not1_b32 vcc_lo, exec_lo, s28
	s_cbranch_vccnz .LBB23_36
; %bb.35:
	v_cmp_eq_u32_e32 vcc_lo, 1, v0
	ds_load_b32 v115, v117
	v_cndmask_b32_e32 v114, v34, v35, vcc_lo
	v_cmp_eq_u32_e32 vcc_lo, 2, v0
	s_delay_alu instid0(VALU_DEP_2) | instskip(SKIP_1) | instid1(VALU_DEP_2)
	v_cndmask_b32_e32 v114, v114, v36, vcc_lo
	v_cmp_eq_u32_e32 vcc_lo, 3, v0
	v_cndmask_b32_e32 v114, v114, v37, vcc_lo
	v_cmp_eq_u32_e32 vcc_lo, 4, v0
	s_delay_alu instid0(VALU_DEP_2) | instskip(SKIP_1) | instid1(VALU_DEP_2)
	v_cndmask_b32_e32 v114, v114, v38, vcc_lo
	v_cmp_eq_u32_e32 vcc_lo, 5, v0
	;; [unrolled: 5-line block ×11, first 2 shown]
	v_cndmask_b32_e32 v114, v114, v57, vcc_lo
	s_wait_dscnt 0x0
	s_delay_alu instid0(VALU_DEP_1)
	v_mul_f32_e32 v118, v114, v115
	s_cbranch_execz .LBB23_37
	s_branch .LBB23_38
.LBB23_36:
                                        ; implicit-def: $vgpr118
.LBB23_37:
	ds_load_b32 v118, v117
.LBB23_38:
	s_and_saveexec_b32 s5, s0
	s_cbranch_execz .LBB23_48
; %bb.39:
	v_subrev_nc_u32_e32 v116, 21, v0
	v_mov_b32_e32 v114, 20
	v_subrev_nc_u32_e32 v115, 20, v0
	s_mov_b32 s0, exec_lo
	s_delay_alu instid0(VALU_DEP_3)
	v_cmpx_lt_u32_e32 6, v116
	s_cbranch_execz .LBB23_43
; %bb.40:
	s_delay_alu instid0(VALU_DEP_2) | instskip(SKIP_3) | instid1(VALU_DEP_1)
	v_and_b32_e32 v114, -8, v115
	s_mov_b32 s6, 0
	s_mov_b64 s[2:3], 27
	s_movk_i32 s7, 0xb0
	v_sub_nc_u32_e32 v116, 0, v114
.LBB23_41:                              ; =>This Inner Loop Header: Depth=1
	s_add_co_i32 m0, s2, -7
	v_movrels_b32_e32 v114, v34
	v_mov_b32_e32 v119, s7
	s_add_co_i32 m0, s2, -6
	s_add_co_i32 s7, s7, 32
	ds_load_b128 v[120:123], v119
	ds_load_b128 v[124:127], v119 offset:16
	s_wait_dscnt 0x1
	v_fmac_f32_e32 v118, v114, v120
	v_movrels_b32_e32 v114, v34
	s_add_co_i32 m0, s2, -5
	s_delay_alu instid0(VALU_DEP_1) | instskip(SKIP_2) | instid1(VALU_DEP_1)
	v_fmac_f32_e32 v118, v114, v121
	v_movrels_b32_e32 v114, v34
	s_add_co_i32 m0, s2, -4
	v_fmac_f32_e32 v118, v114, v122
	v_movrels_b32_e32 v114, v34
	s_add_co_i32 m0, s2, -3
	s_delay_alu instid0(VALU_DEP_1) | instskip(SKIP_3) | instid1(VALU_DEP_1)
	v_fmac_f32_e32 v118, v114, v123
	v_movrels_b32_e32 v114, v34
	s_add_co_i32 m0, s2, -2
	s_wait_dscnt 0x0
	v_fmac_f32_e32 v118, v114, v124
	v_movrels_b32_e32 v114, v34
	s_add_co_i32 m0, s2, -1
	s_delay_alu instid0(VALU_DEP_1) | instskip(SKIP_3) | instid1(SALU_CYCLE_1)
	v_fmac_f32_e32 v118, v114, v125
	v_movrels_b32_e32 v114, v34
	s_mov_b32 m0, s2
	s_add_nc_u64 s[2:3], s[2:3], 8
	s_add_co_i32 s8, s2, -7
	s_delay_alu instid0(VALU_DEP_1) | instskip(SKIP_1) | instid1(VALU_DEP_1)
	v_fmac_f32_e32 v118, v114, v126
	v_movrels_b32_e32 v114, v34
	v_dual_fmac_f32 v118, v114, v127 :: v_dual_add_nc_u32 v114, s2, v116
	s_delay_alu instid0(VALU_DEP_1) | instskip(SKIP_2) | instid1(SALU_CYCLE_1)
	v_cmp_eq_u32_e32 vcc_lo, 27, v114
	v_mov_b32_e32 v114, s8
	s_or_b32 s6, vcc_lo, s6
	s_and_not1_b32 exec_lo, exec_lo, s6
	s_cbranch_execnz .LBB23_41
; %bb.42:
	s_or_b32 exec_lo, exec_lo, s6
.LBB23_43:
	s_delay_alu instid0(SALU_CYCLE_1) | instskip(SKIP_3) | instid1(VALU_DEP_1)
	s_or_b32 exec_lo, exec_lo, s0
	v_and_b32_e32 v58, 7, v115
	s_mov_b32 s2, 0
	s_mov_b32 s0, exec_lo
	v_cmpx_ne_u32_e32 0, v58
	s_cbranch_execz .LBB23_47
; %bb.44:
	v_lshl_add_u32 v59, v114, 2, 0x60
	v_mov_b32_e32 v115, 0
.LBB23_45:                              ; =>This Inner Loop Header: Depth=1
	v_cmp_eq_u32_e32 vcc_lo, 1, v114
	ds_load_b32 v61, v59
	v_dual_add_nc_u32 v58, -1, v58 :: v_dual_add_nc_u32 v59, 4, v59
	v_cndmask_b32_e32 v60, v34, v35, vcc_lo
	v_cmp_eq_u32_e32 vcc_lo, 2, v114
	s_delay_alu instid0(VALU_DEP_2) | instskip(SKIP_1) | instid1(VALU_DEP_2)
	v_cndmask_b32_e32 v60, v60, v36, vcc_lo
	v_cmp_eq_u32_e32 vcc_lo, 3, v114
	v_cndmask_b32_e32 v60, v60, v37, vcc_lo
	v_cmp_eq_u32_e32 vcc_lo, 4, v114
	s_delay_alu instid0(VALU_DEP_2) | instskip(SKIP_1) | instid1(VALU_DEP_2)
	v_cndmask_b32_e32 v60, v60, v38, vcc_lo
	v_cmp_eq_u32_e32 vcc_lo, 5, v114
	;; [unrolled: 5-line block ×10, first 2 shown]
	v_cndmask_b32_e32 v60, v60, v55, vcc_lo
	v_cmp_eq_u32_e32 vcc_lo, 22, v114
	s_delay_alu instid0(VALU_DEP_2) | instskip(SKIP_2) | instid1(VALU_DEP_3)
	v_cndmask_b32_e32 v60, v60, v56, vcc_lo
	v_cmp_eq_u32_e32 vcc_lo, 23, v114
	v_add_nc_u64_e32 v[114:115], 1, v[114:115]
	v_cndmask_b32_e32 v60, v60, v57, vcc_lo
	v_cmp_eq_u32_e32 vcc_lo, 0, v58
	s_wait_dscnt 0x0
	s_delay_alu instid0(VALU_DEP_2) | instskip(SKIP_1) | instid1(SALU_CYCLE_1)
	v_fmac_f32_e32 v118, v60, v61
	s_or_b32 s2, vcc_lo, s2
	s_and_not1_b32 exec_lo, exec_lo, s2
	s_cbranch_execnz .LBB23_45
; %bb.46:
	s_or_b32 exec_lo, exec_lo, s2
.LBB23_47:
	s_delay_alu instid0(SALU_CYCLE_1)
	s_or_b32 exec_lo, exec_lo, s0
.LBB23_48:
	s_delay_alu instid0(SALU_CYCLE_1)
	s_or_b32 exec_lo, exec_lo, s5
	v_mov_b32_e32 v53, 0
	ds_load_b32 v53, v53 offset:76
	s_wait_dscnt 0x0
	v_mul_f32_e32 v53, v118, v53
.LBB23_49:
	s_or_b32 exec_lo, exec_lo, s4
	v_cmp_lt_u32_e64 s0, 18, v0
	ds_store_b32 v117, v52
	s_wait_dscnt 0x0
	s_barrier_signal -1
	s_barrier_wait -1
	s_and_saveexec_b32 s4, s0
	s_cbranch_execz .LBB23_65
; %bb.50:
	s_and_not1_b32 vcc_lo, exec_lo, s28
	s_cbranch_vccnz .LBB23_52
; %bb.51:
	v_cmp_eq_u32_e32 vcc_lo, 1, v0
	ds_load_b32 v115, v117
	v_cndmask_b32_e32 v114, v34, v35, vcc_lo
	v_cmp_eq_u32_e32 vcc_lo, 2, v0
	s_delay_alu instid0(VALU_DEP_2) | instskip(SKIP_1) | instid1(VALU_DEP_2)
	v_cndmask_b32_e32 v114, v114, v36, vcc_lo
	v_cmp_eq_u32_e32 vcc_lo, 3, v0
	v_cndmask_b32_e32 v114, v114, v37, vcc_lo
	v_cmp_eq_u32_e32 vcc_lo, 4, v0
	s_delay_alu instid0(VALU_DEP_2) | instskip(SKIP_1) | instid1(VALU_DEP_2)
	v_cndmask_b32_e32 v114, v114, v38, vcc_lo
	v_cmp_eq_u32_e32 vcc_lo, 5, v0
	;; [unrolled: 5-line block ×11, first 2 shown]
	v_cndmask_b32_e32 v114, v114, v57, vcc_lo
	s_wait_dscnt 0x0
	s_delay_alu instid0(VALU_DEP_1)
	v_mul_f32_e32 v118, v114, v115
	s_cbranch_execz .LBB23_53
	s_branch .LBB23_54
.LBB23_52:
                                        ; implicit-def: $vgpr118
.LBB23_53:
	ds_load_b32 v118, v117
.LBB23_54:
	s_and_saveexec_b32 s5, s1
	s_cbranch_execz .LBB23_64
; %bb.55:
	v_subrev_nc_u32_e32 v116, 20, v0
	v_mov_b32_e32 v114, 19
	v_subrev_nc_u32_e32 v115, 19, v0
	s_mov_b32 s1, exec_lo
	s_delay_alu instid0(VALU_DEP_3)
	v_cmpx_lt_u32_e32 6, v116
	s_cbranch_execz .LBB23_59
; %bb.56:
	s_delay_alu instid0(VALU_DEP_2) | instskip(SKIP_3) | instid1(VALU_DEP_1)
	v_and_b32_e32 v114, -8, v115
	s_mov_b32 s6, 0
	s_mov_b64 s[2:3], 26
	s_movk_i32 s7, 0xac
	v_sub_nc_u32_e32 v116, 0, v114
.LBB23_57:                              ; =>This Inner Loop Header: Depth=1
	s_add_co_i32 m0, s2, -7
	v_movrels_b32_e32 v114, v34
	v_mov_b32_e32 v119, s7
	s_add_co_i32 m0, s2, -6
	s_add_co_i32 s7, s7, 32
	ds_load_2addr_b32 v[120:121], v119 offset1:1
	s_wait_dscnt 0x0
	v_fmac_f32_e32 v118, v114, v120
	v_movrels_b32_e32 v114, v34
	s_add_co_i32 m0, s2, -5
	s_delay_alu instid0(VALU_DEP_1) | instskip(SKIP_4) | instid1(VALU_DEP_1)
	v_fmac_f32_e32 v118, v114, v121
	ds_load_2addr_b32 v[120:121], v119 offset0:2 offset1:3
	v_movrels_b32_e32 v114, v34
	s_add_co_i32 m0, s2, -4
	s_wait_dscnt 0x0
	v_fmac_f32_e32 v118, v114, v120
	v_movrels_b32_e32 v114, v34
	s_add_co_i32 m0, s2, -3
	s_delay_alu instid0(VALU_DEP_1) | instskip(SKIP_4) | instid1(VALU_DEP_1)
	v_fmac_f32_e32 v118, v114, v121
	ds_load_2addr_b32 v[120:121], v119 offset0:4 offset1:5
	v_movrels_b32_e32 v114, v34
	s_add_co_i32 m0, s2, -2
	s_wait_dscnt 0x0
	v_fmac_f32_e32 v118, v114, v120
	v_movrels_b32_e32 v114, v34
	s_add_co_i32 m0, s2, -1
	s_delay_alu instid0(VALU_DEP_1) | instskip(SKIP_4) | instid1(SALU_CYCLE_1)
	v_fmac_f32_e32 v118, v114, v121
	ds_load_2addr_b32 v[120:121], v119 offset0:6 offset1:7
	v_movrels_b32_e32 v114, v34
	s_mov_b32 m0, s2
	s_add_nc_u64 s[2:3], s[2:3], 8
	s_add_co_i32 s8, s2, -7
	s_wait_dscnt 0x0
	v_fmac_f32_e32 v118, v114, v120
	v_movrels_b32_e32 v114, v34
	s_delay_alu instid0(VALU_DEP_1) | instskip(NEXT) | instid1(VALU_DEP_1)
	v_dual_fmac_f32 v118, v114, v121 :: v_dual_add_nc_u32 v114, s2, v116
	v_cmp_eq_u32_e32 vcc_lo, 26, v114
	v_mov_b32_e32 v114, s8
	s_or_b32 s6, vcc_lo, s6
	s_delay_alu instid0(SALU_CYCLE_1)
	s_and_not1_b32 exec_lo, exec_lo, s6
	s_cbranch_execnz .LBB23_57
; %bb.58:
	s_or_b32 exec_lo, exec_lo, s6
.LBB23_59:
	s_delay_alu instid0(SALU_CYCLE_1) | instskip(SKIP_3) | instid1(VALU_DEP_1)
	s_or_b32 exec_lo, exec_lo, s1
	v_and_b32_e32 v58, 7, v115
	s_mov_b32 s2, 0
	s_mov_b32 s1, exec_lo
	v_cmpx_ne_u32_e32 0, v58
	s_cbranch_execz .LBB23_63
; %bb.60:
	v_lshl_add_u32 v59, v114, 2, 0x60
	v_mov_b32_e32 v115, 0
.LBB23_61:                              ; =>This Inner Loop Header: Depth=1
	v_cmp_eq_u32_e32 vcc_lo, 1, v114
	ds_load_b32 v61, v59
	v_dual_add_nc_u32 v58, -1, v58 :: v_dual_add_nc_u32 v59, 4, v59
	v_cndmask_b32_e32 v60, v34, v35, vcc_lo
	v_cmp_eq_u32_e32 vcc_lo, 2, v114
	s_delay_alu instid0(VALU_DEP_2) | instskip(SKIP_1) | instid1(VALU_DEP_2)
	v_cndmask_b32_e32 v60, v60, v36, vcc_lo
	v_cmp_eq_u32_e32 vcc_lo, 3, v114
	v_cndmask_b32_e32 v60, v60, v37, vcc_lo
	v_cmp_eq_u32_e32 vcc_lo, 4, v114
	s_delay_alu instid0(VALU_DEP_2) | instskip(SKIP_1) | instid1(VALU_DEP_2)
	v_cndmask_b32_e32 v60, v60, v38, vcc_lo
	v_cmp_eq_u32_e32 vcc_lo, 5, v114
	;; [unrolled: 5-line block ×10, first 2 shown]
	v_cndmask_b32_e32 v60, v60, v55, vcc_lo
	v_cmp_eq_u32_e32 vcc_lo, 22, v114
	s_delay_alu instid0(VALU_DEP_2) | instskip(SKIP_2) | instid1(VALU_DEP_3)
	v_cndmask_b32_e32 v60, v60, v56, vcc_lo
	v_cmp_eq_u32_e32 vcc_lo, 23, v114
	v_add_nc_u64_e32 v[114:115], 1, v[114:115]
	v_cndmask_b32_e32 v60, v60, v57, vcc_lo
	v_cmp_eq_u32_e32 vcc_lo, 0, v58
	s_wait_dscnt 0x0
	s_delay_alu instid0(VALU_DEP_2) | instskip(SKIP_1) | instid1(SALU_CYCLE_1)
	v_fmac_f32_e32 v118, v60, v61
	s_or_b32 s2, vcc_lo, s2
	s_and_not1_b32 exec_lo, exec_lo, s2
	s_cbranch_execnz .LBB23_61
; %bb.62:
	s_or_b32 exec_lo, exec_lo, s2
.LBB23_63:
	s_delay_alu instid0(SALU_CYCLE_1)
	s_or_b32 exec_lo, exec_lo, s1
.LBB23_64:
	s_delay_alu instid0(SALU_CYCLE_1)
	s_or_b32 exec_lo, exec_lo, s5
	v_mov_b32_e32 v52, 0
	ds_load_b32 v52, v52 offset:72
	s_wait_dscnt 0x0
	v_mul_f32_e32 v52, v118, v52
.LBB23_65:
	s_or_b32 exec_lo, exec_lo, s4
	v_cmp_lt_u32_e64 s1, 17, v0
	ds_store_b32 v117, v51
	s_wait_dscnt 0x0
	s_barrier_signal -1
	s_barrier_wait -1
	s_and_saveexec_b32 s4, s1
	s_cbranch_execz .LBB23_81
; %bb.66:
	s_and_not1_b32 vcc_lo, exec_lo, s28
	s_cbranch_vccnz .LBB23_68
; %bb.67:
	v_cmp_eq_u32_e32 vcc_lo, 1, v0
	ds_load_b32 v115, v117
	v_cndmask_b32_e32 v114, v34, v35, vcc_lo
	v_cmp_eq_u32_e32 vcc_lo, 2, v0
	s_delay_alu instid0(VALU_DEP_2) | instskip(SKIP_1) | instid1(VALU_DEP_2)
	v_cndmask_b32_e32 v114, v114, v36, vcc_lo
	v_cmp_eq_u32_e32 vcc_lo, 3, v0
	v_cndmask_b32_e32 v114, v114, v37, vcc_lo
	v_cmp_eq_u32_e32 vcc_lo, 4, v0
	s_delay_alu instid0(VALU_DEP_2) | instskip(SKIP_1) | instid1(VALU_DEP_2)
	v_cndmask_b32_e32 v114, v114, v38, vcc_lo
	v_cmp_eq_u32_e32 vcc_lo, 5, v0
	;; [unrolled: 5-line block ×11, first 2 shown]
	v_cndmask_b32_e32 v114, v114, v57, vcc_lo
	s_wait_dscnt 0x0
	s_delay_alu instid0(VALU_DEP_1)
	v_mul_f32_e32 v118, v114, v115
	s_cbranch_execz .LBB23_69
	s_branch .LBB23_70
.LBB23_68:
                                        ; implicit-def: $vgpr118
.LBB23_69:
	ds_load_b32 v118, v117
.LBB23_70:
	s_and_saveexec_b32 s5, s0
	s_cbranch_execz .LBB23_80
; %bb.71:
	v_subrev_nc_u32_e32 v116, 19, v0
	v_mov_b32_e32 v114, 18
	v_subrev_nc_u32_e32 v115, 18, v0
	s_mov_b32 s0, exec_lo
	s_delay_alu instid0(VALU_DEP_3)
	v_cmpx_lt_u32_e32 6, v116
	s_cbranch_execz .LBB23_75
; %bb.72:
	s_delay_alu instid0(VALU_DEP_2) | instskip(SKIP_3) | instid1(VALU_DEP_1)
	v_and_b32_e32 v114, -8, v115
	s_mov_b32 s6, 0
	s_mov_b64 s[2:3], 25
	s_movk_i32 s7, 0xa8
	v_sub_nc_u32_e32 v116, 0, v114
.LBB23_73:                              ; =>This Inner Loop Header: Depth=1
	s_add_co_i32 m0, s2, -7
	v_movrels_b32_e32 v114, v34
	v_mov_b32_e32 v119, s7
	s_add_co_i32 m0, s2, -6
	s_add_co_i32 s7, s7, 32
	ds_load_2addr_b64 v[120:123], v119 offset1:1
	s_wait_dscnt 0x0
	v_fmac_f32_e32 v118, v114, v120
	v_movrels_b32_e32 v114, v34
	s_add_co_i32 m0, s2, -5
	s_delay_alu instid0(VALU_DEP_1) | instskip(SKIP_2) | instid1(VALU_DEP_1)
	v_fmac_f32_e32 v118, v114, v121
	v_movrels_b32_e32 v114, v34
	s_add_co_i32 m0, s2, -4
	v_fmac_f32_e32 v118, v114, v122
	v_movrels_b32_e32 v114, v34
	s_add_co_i32 m0, s2, -3
	s_delay_alu instid0(VALU_DEP_1) | instskip(SKIP_4) | instid1(VALU_DEP_1)
	v_fmac_f32_e32 v118, v114, v123
	ds_load_2addr_b64 v[120:123], v119 offset0:2 offset1:3
	v_movrels_b32_e32 v114, v34
	s_add_co_i32 m0, s2, -2
	s_wait_dscnt 0x0
	v_fmac_f32_e32 v118, v114, v120
	v_movrels_b32_e32 v114, v34
	s_add_co_i32 m0, s2, -1
	s_delay_alu instid0(VALU_DEP_1) | instskip(SKIP_3) | instid1(SALU_CYCLE_1)
	v_fmac_f32_e32 v118, v114, v121
	v_movrels_b32_e32 v114, v34
	s_mov_b32 m0, s2
	s_add_nc_u64 s[2:3], s[2:3], 8
	s_add_co_i32 s8, s2, -7
	s_delay_alu instid0(VALU_DEP_1) | instskip(SKIP_1) | instid1(VALU_DEP_1)
	v_fmac_f32_e32 v118, v114, v122
	v_movrels_b32_e32 v114, v34
	v_dual_fmac_f32 v118, v114, v123 :: v_dual_add_nc_u32 v114, s2, v116
	s_delay_alu instid0(VALU_DEP_1) | instskip(SKIP_2) | instid1(SALU_CYCLE_1)
	v_cmp_eq_u32_e32 vcc_lo, 25, v114
	v_mov_b32_e32 v114, s8
	s_or_b32 s6, vcc_lo, s6
	s_and_not1_b32 exec_lo, exec_lo, s6
	s_cbranch_execnz .LBB23_73
; %bb.74:
	s_or_b32 exec_lo, exec_lo, s6
.LBB23_75:
	s_delay_alu instid0(SALU_CYCLE_1) | instskip(SKIP_3) | instid1(VALU_DEP_1)
	s_or_b32 exec_lo, exec_lo, s0
	v_and_b32_e32 v58, 7, v115
	s_mov_b32 s2, 0
	s_mov_b32 s0, exec_lo
	v_cmpx_ne_u32_e32 0, v58
	s_cbranch_execz .LBB23_79
; %bb.76:
	v_lshl_add_u32 v59, v114, 2, 0x60
	v_mov_b32_e32 v115, 0
.LBB23_77:                              ; =>This Inner Loop Header: Depth=1
	v_cmp_eq_u32_e32 vcc_lo, 1, v114
	ds_load_b32 v61, v59
	v_dual_add_nc_u32 v58, -1, v58 :: v_dual_add_nc_u32 v59, 4, v59
	v_cndmask_b32_e32 v60, v34, v35, vcc_lo
	v_cmp_eq_u32_e32 vcc_lo, 2, v114
	s_delay_alu instid0(VALU_DEP_2) | instskip(SKIP_1) | instid1(VALU_DEP_2)
	v_cndmask_b32_e32 v60, v60, v36, vcc_lo
	v_cmp_eq_u32_e32 vcc_lo, 3, v114
	v_cndmask_b32_e32 v60, v60, v37, vcc_lo
	v_cmp_eq_u32_e32 vcc_lo, 4, v114
	s_delay_alu instid0(VALU_DEP_2) | instskip(SKIP_1) | instid1(VALU_DEP_2)
	v_cndmask_b32_e32 v60, v60, v38, vcc_lo
	v_cmp_eq_u32_e32 vcc_lo, 5, v114
	v_cndmask_b32_e32 v60, v60, v39, vcc_lo
	v_cmp_eq_u32_e32 vcc_lo, 6, v114
	s_delay_alu instid0(VALU_DEP_2) | instskip(SKIP_1) | instid1(VALU_DEP_2)
	v_cndmask_b32_e32 v60, v60, v40, vcc_lo
	v_cmp_eq_u32_e32 vcc_lo, 7, v114
	v_cndmask_b32_e32 v60, v60, v41, vcc_lo
	v_cmp_eq_u32_e32 vcc_lo, 8, v114
	s_delay_alu instid0(VALU_DEP_2) | instskip(SKIP_1) | instid1(VALU_DEP_2)
	v_cndmask_b32_e32 v60, v60, v42, vcc_lo
	v_cmp_eq_u32_e32 vcc_lo, 9, v114
	v_cndmask_b32_e32 v60, v60, v43, vcc_lo
	v_cmp_eq_u32_e32 vcc_lo, 10, v114
	s_delay_alu instid0(VALU_DEP_2) | instskip(SKIP_1) | instid1(VALU_DEP_2)
	v_cndmask_b32_e32 v60, v60, v44, vcc_lo
	v_cmp_eq_u32_e32 vcc_lo, 11, v114
	v_cndmask_b32_e32 v60, v60, v45, vcc_lo
	v_cmp_eq_u32_e32 vcc_lo, 12, v114
	s_delay_alu instid0(VALU_DEP_2) | instskip(SKIP_1) | instid1(VALU_DEP_2)
	v_cndmask_b32_e32 v60, v60, v46, vcc_lo
	v_cmp_eq_u32_e32 vcc_lo, 13, v114
	v_cndmask_b32_e32 v60, v60, v47, vcc_lo
	v_cmp_eq_u32_e32 vcc_lo, 14, v114
	s_delay_alu instid0(VALU_DEP_2) | instskip(SKIP_1) | instid1(VALU_DEP_2)
	v_cndmask_b32_e32 v60, v60, v48, vcc_lo
	v_cmp_eq_u32_e32 vcc_lo, 15, v114
	v_cndmask_b32_e32 v60, v60, v49, vcc_lo
	v_cmp_eq_u32_e32 vcc_lo, 16, v114
	s_delay_alu instid0(VALU_DEP_2) | instskip(SKIP_1) | instid1(VALU_DEP_2)
	v_cndmask_b32_e32 v60, v60, v50, vcc_lo
	v_cmp_eq_u32_e32 vcc_lo, 17, v114
	v_cndmask_b32_e32 v60, v60, v51, vcc_lo
	v_cmp_eq_u32_e32 vcc_lo, 18, v114
	s_delay_alu instid0(VALU_DEP_2) | instskip(SKIP_1) | instid1(VALU_DEP_2)
	v_cndmask_b32_e32 v60, v60, v52, vcc_lo
	v_cmp_eq_u32_e32 vcc_lo, 19, v114
	v_cndmask_b32_e32 v60, v60, v53, vcc_lo
	v_cmp_eq_u32_e32 vcc_lo, 20, v114
	s_delay_alu instid0(VALU_DEP_2) | instskip(SKIP_1) | instid1(VALU_DEP_2)
	v_cndmask_b32_e32 v60, v60, v54, vcc_lo
	v_cmp_eq_u32_e32 vcc_lo, 21, v114
	v_cndmask_b32_e32 v60, v60, v55, vcc_lo
	v_cmp_eq_u32_e32 vcc_lo, 22, v114
	s_delay_alu instid0(VALU_DEP_2) | instskip(SKIP_2) | instid1(VALU_DEP_3)
	v_cndmask_b32_e32 v60, v60, v56, vcc_lo
	v_cmp_eq_u32_e32 vcc_lo, 23, v114
	v_add_nc_u64_e32 v[114:115], 1, v[114:115]
	v_cndmask_b32_e32 v60, v60, v57, vcc_lo
	v_cmp_eq_u32_e32 vcc_lo, 0, v58
	s_wait_dscnt 0x0
	s_delay_alu instid0(VALU_DEP_2) | instskip(SKIP_1) | instid1(SALU_CYCLE_1)
	v_fmac_f32_e32 v118, v60, v61
	s_or_b32 s2, vcc_lo, s2
	s_and_not1_b32 exec_lo, exec_lo, s2
	s_cbranch_execnz .LBB23_77
; %bb.78:
	s_or_b32 exec_lo, exec_lo, s2
.LBB23_79:
	s_delay_alu instid0(SALU_CYCLE_1)
	s_or_b32 exec_lo, exec_lo, s0
.LBB23_80:
	s_delay_alu instid0(SALU_CYCLE_1)
	s_or_b32 exec_lo, exec_lo, s5
	v_mov_b32_e32 v51, 0
	ds_load_b32 v51, v51 offset:68
	s_wait_dscnt 0x0
	v_mul_f32_e32 v51, v118, v51
.LBB23_81:
	s_or_b32 exec_lo, exec_lo, s4
	v_cmp_lt_u32_e64 s0, 16, v0
	ds_store_b32 v117, v50
	s_wait_dscnt 0x0
	s_barrier_signal -1
	s_barrier_wait -1
	s_and_saveexec_b32 s4, s0
	s_cbranch_execz .LBB23_97
; %bb.82:
	s_and_not1_b32 vcc_lo, exec_lo, s28
	s_cbranch_vccnz .LBB23_84
; %bb.83:
	v_cmp_eq_u32_e32 vcc_lo, 1, v0
	ds_load_b32 v115, v117
	v_cndmask_b32_e32 v114, v34, v35, vcc_lo
	v_cmp_eq_u32_e32 vcc_lo, 2, v0
	s_delay_alu instid0(VALU_DEP_2) | instskip(SKIP_1) | instid1(VALU_DEP_2)
	v_cndmask_b32_e32 v114, v114, v36, vcc_lo
	v_cmp_eq_u32_e32 vcc_lo, 3, v0
	v_cndmask_b32_e32 v114, v114, v37, vcc_lo
	v_cmp_eq_u32_e32 vcc_lo, 4, v0
	s_delay_alu instid0(VALU_DEP_2) | instskip(SKIP_1) | instid1(VALU_DEP_2)
	v_cndmask_b32_e32 v114, v114, v38, vcc_lo
	v_cmp_eq_u32_e32 vcc_lo, 5, v0
	;; [unrolled: 5-line block ×11, first 2 shown]
	v_cndmask_b32_e32 v114, v114, v57, vcc_lo
	s_wait_dscnt 0x0
	s_delay_alu instid0(VALU_DEP_1)
	v_mul_f32_e32 v118, v114, v115
	s_cbranch_execz .LBB23_85
	s_branch .LBB23_86
.LBB23_84:
                                        ; implicit-def: $vgpr118
.LBB23_85:
	ds_load_b32 v118, v117
.LBB23_86:
	s_and_saveexec_b32 s5, s1
	s_cbranch_execz .LBB23_96
; %bb.87:
	v_subrev_nc_u32_e32 v116, 18, v0
	v_mov_b32_e32 v114, 17
	v_subrev_nc_u32_e32 v115, 17, v0
	s_mov_b32 s1, exec_lo
	s_delay_alu instid0(VALU_DEP_3)
	v_cmpx_lt_u32_e32 6, v116
	s_cbranch_execz .LBB23_91
; %bb.88:
	s_delay_alu instid0(VALU_DEP_2) | instskip(SKIP_3) | instid1(VALU_DEP_1)
	v_and_b32_e32 v114, -8, v115
	s_mov_b32 s6, 0
	s_mov_b64 s[2:3], 24
	s_movk_i32 s7, 0xa4
	v_sub_nc_u32_e32 v116, 0, v114
.LBB23_89:                              ; =>This Inner Loop Header: Depth=1
	s_add_co_i32 m0, s2, -7
	v_movrels_b32_e32 v114, v34
	v_mov_b32_e32 v119, s7
	s_add_co_i32 m0, s2, -6
	s_add_co_i32 s7, s7, 32
	ds_load_2addr_b32 v[120:121], v119 offset1:1
	s_wait_dscnt 0x0
	v_fmac_f32_e32 v118, v114, v120
	v_movrels_b32_e32 v114, v34
	s_add_co_i32 m0, s2, -5
	s_delay_alu instid0(VALU_DEP_1) | instskip(SKIP_4) | instid1(VALU_DEP_1)
	v_fmac_f32_e32 v118, v114, v121
	ds_load_2addr_b32 v[120:121], v119 offset0:2 offset1:3
	v_movrels_b32_e32 v114, v34
	s_add_co_i32 m0, s2, -4
	s_wait_dscnt 0x0
	v_fmac_f32_e32 v118, v114, v120
	v_movrels_b32_e32 v114, v34
	s_add_co_i32 m0, s2, -3
	s_delay_alu instid0(VALU_DEP_1) | instskip(SKIP_4) | instid1(VALU_DEP_1)
	v_fmac_f32_e32 v118, v114, v121
	ds_load_2addr_b32 v[120:121], v119 offset0:4 offset1:5
	v_movrels_b32_e32 v114, v34
	s_add_co_i32 m0, s2, -2
	s_wait_dscnt 0x0
	v_fmac_f32_e32 v118, v114, v120
	v_movrels_b32_e32 v114, v34
	s_add_co_i32 m0, s2, -1
	s_delay_alu instid0(VALU_DEP_1) | instskip(SKIP_4) | instid1(SALU_CYCLE_1)
	v_fmac_f32_e32 v118, v114, v121
	ds_load_2addr_b32 v[120:121], v119 offset0:6 offset1:7
	v_movrels_b32_e32 v114, v34
	s_mov_b32 m0, s2
	s_add_nc_u64 s[2:3], s[2:3], 8
	s_add_co_i32 s8, s2, -7
	s_wait_dscnt 0x0
	v_fmac_f32_e32 v118, v114, v120
	v_movrels_b32_e32 v114, v34
	s_delay_alu instid0(VALU_DEP_1) | instskip(NEXT) | instid1(VALU_DEP_1)
	v_dual_fmac_f32 v118, v114, v121 :: v_dual_add_nc_u32 v114, s2, v116
	v_cmp_eq_u32_e32 vcc_lo, 24, v114
	v_mov_b32_e32 v114, s8
	s_or_b32 s6, vcc_lo, s6
	s_delay_alu instid0(SALU_CYCLE_1)
	s_and_not1_b32 exec_lo, exec_lo, s6
	s_cbranch_execnz .LBB23_89
; %bb.90:
	s_or_b32 exec_lo, exec_lo, s6
.LBB23_91:
	s_delay_alu instid0(SALU_CYCLE_1) | instskip(SKIP_3) | instid1(VALU_DEP_1)
	s_or_b32 exec_lo, exec_lo, s1
	v_and_b32_e32 v58, 7, v115
	s_mov_b32 s2, 0
	s_mov_b32 s1, exec_lo
	v_cmpx_ne_u32_e32 0, v58
	s_cbranch_execz .LBB23_95
; %bb.92:
	v_lshl_add_u32 v59, v114, 2, 0x60
	v_mov_b32_e32 v115, 0
.LBB23_93:                              ; =>This Inner Loop Header: Depth=1
	v_cmp_eq_u32_e32 vcc_lo, 1, v114
	ds_load_b32 v61, v59
	v_dual_add_nc_u32 v58, -1, v58 :: v_dual_add_nc_u32 v59, 4, v59
	v_cndmask_b32_e32 v60, v34, v35, vcc_lo
	v_cmp_eq_u32_e32 vcc_lo, 2, v114
	s_delay_alu instid0(VALU_DEP_2) | instskip(SKIP_1) | instid1(VALU_DEP_2)
	v_cndmask_b32_e32 v60, v60, v36, vcc_lo
	v_cmp_eq_u32_e32 vcc_lo, 3, v114
	v_cndmask_b32_e32 v60, v60, v37, vcc_lo
	v_cmp_eq_u32_e32 vcc_lo, 4, v114
	s_delay_alu instid0(VALU_DEP_2) | instskip(SKIP_1) | instid1(VALU_DEP_2)
	v_cndmask_b32_e32 v60, v60, v38, vcc_lo
	v_cmp_eq_u32_e32 vcc_lo, 5, v114
	;; [unrolled: 5-line block ×10, first 2 shown]
	v_cndmask_b32_e32 v60, v60, v55, vcc_lo
	v_cmp_eq_u32_e32 vcc_lo, 22, v114
	s_delay_alu instid0(VALU_DEP_2) | instskip(SKIP_2) | instid1(VALU_DEP_3)
	v_cndmask_b32_e32 v60, v60, v56, vcc_lo
	v_cmp_eq_u32_e32 vcc_lo, 23, v114
	v_add_nc_u64_e32 v[114:115], 1, v[114:115]
	v_cndmask_b32_e32 v60, v60, v57, vcc_lo
	v_cmp_eq_u32_e32 vcc_lo, 0, v58
	s_wait_dscnt 0x0
	s_delay_alu instid0(VALU_DEP_2) | instskip(SKIP_1) | instid1(SALU_CYCLE_1)
	v_fmac_f32_e32 v118, v60, v61
	s_or_b32 s2, vcc_lo, s2
	s_and_not1_b32 exec_lo, exec_lo, s2
	s_cbranch_execnz .LBB23_93
; %bb.94:
	s_or_b32 exec_lo, exec_lo, s2
.LBB23_95:
	s_delay_alu instid0(SALU_CYCLE_1)
	s_or_b32 exec_lo, exec_lo, s1
.LBB23_96:
	s_delay_alu instid0(SALU_CYCLE_1)
	s_or_b32 exec_lo, exec_lo, s5
	v_mov_b32_e32 v50, 0
	ds_load_b32 v50, v50 offset:64
	s_wait_dscnt 0x0
	v_mul_f32_e32 v50, v118, v50
.LBB23_97:
	s_or_b32 exec_lo, exec_lo, s4
	v_cmp_lt_u32_e64 s1, 15, v0
	ds_store_b32 v117, v49
	s_wait_dscnt 0x0
	s_barrier_signal -1
	s_barrier_wait -1
	s_and_saveexec_b32 s4, s1
	s_cbranch_execz .LBB23_113
; %bb.98:
	s_and_not1_b32 vcc_lo, exec_lo, s28
	s_cbranch_vccnz .LBB23_100
; %bb.99:
	v_cmp_eq_u32_e32 vcc_lo, 1, v0
	ds_load_b32 v115, v117
	v_cndmask_b32_e32 v114, v34, v35, vcc_lo
	v_cmp_eq_u32_e32 vcc_lo, 2, v0
	s_delay_alu instid0(VALU_DEP_2) | instskip(SKIP_1) | instid1(VALU_DEP_2)
	v_cndmask_b32_e32 v114, v114, v36, vcc_lo
	v_cmp_eq_u32_e32 vcc_lo, 3, v0
	v_cndmask_b32_e32 v114, v114, v37, vcc_lo
	v_cmp_eq_u32_e32 vcc_lo, 4, v0
	s_delay_alu instid0(VALU_DEP_2) | instskip(SKIP_1) | instid1(VALU_DEP_2)
	v_cndmask_b32_e32 v114, v114, v38, vcc_lo
	v_cmp_eq_u32_e32 vcc_lo, 5, v0
	;; [unrolled: 5-line block ×11, first 2 shown]
	v_cndmask_b32_e32 v114, v114, v57, vcc_lo
	s_wait_dscnt 0x0
	s_delay_alu instid0(VALU_DEP_1)
	v_mul_f32_e32 v118, v114, v115
	s_cbranch_execz .LBB23_101
	s_branch .LBB23_102
.LBB23_100:
                                        ; implicit-def: $vgpr118
.LBB23_101:
	ds_load_b32 v118, v117
.LBB23_102:
	s_and_saveexec_b32 s5, s0
	s_cbranch_execz .LBB23_112
; %bb.103:
	v_subrev_nc_u32_e32 v114, 17, v0
	s_delay_alu instid0(VALU_DEP_1)
	v_cmp_lt_u32_e32 vcc_lo, 6, v114
	v_mov_b32_e32 v114, 16
	s_and_saveexec_b32 s0, vcc_lo
	s_cbranch_execz .LBB23_107
; %bb.104:
	v_and_b32_e32 v114, 24, v0
	s_mov_b32 s6, 0
	s_mov_b64 s[2:3], 23
	s_movk_i32 s7, 0xa0
	s_delay_alu instid0(VALU_DEP_1)
	v_sub_nc_u32_e32 v116, 0, v114
.LBB23_105:                             ; =>This Inner Loop Header: Depth=1
	s_add_co_i32 m0, s2, -7
	v_movrels_b32_e32 v115, v34
	v_mov_b32_e32 v114, s7
	s_add_co_i32 m0, s2, -6
	s_add_co_i32 s7, s7, 32
	v_movrels_b32_e32 v119, v34
	s_add_co_i32 m0, s2, -5
	ds_load_b128 v[120:123], v114
	ds_load_b128 v[124:127], v114 offset:16
	v_movrels_b32_e32 v114, v34
	s_add_co_i32 m0, s2, -4
	s_wait_dscnt 0x1
	v_fmac_f32_e32 v118, v115, v120
	v_movrels_b32_e32 v115, v34
	s_add_co_i32 m0, s2, -3
	s_delay_alu instid0(VALU_DEP_2) | instskip(NEXT) | instid1(VALU_DEP_1)
	v_fmac_f32_e32 v118, v119, v121
	v_fmac_f32_e32 v118, v114, v122
	v_movrels_b32_e32 v114, v34
	s_add_co_i32 m0, s2, -2
	s_delay_alu instid0(VALU_DEP_2) | instskip(SKIP_3) | instid1(VALU_DEP_2)
	v_fmac_f32_e32 v118, v115, v123
	v_movrels_b32_e32 v115, v34
	s_add_co_i32 m0, s2, -1
	s_wait_dscnt 0x0
	v_fmac_f32_e32 v118, v114, v124
	v_movrels_b32_e32 v114, v34
	s_mov_b32 m0, s2
	s_add_nc_u64 s[2:3], s[2:3], 8
	v_movrels_b32_e32 v119, v34
	v_dual_fmac_f32 v118, v115, v125 :: v_dual_add_nc_u32 v115, s2, v116
	s_add_co_i32 s8, s2, -7
	s_delay_alu instid0(VALU_DEP_1) | instskip(NEXT) | instid1(VALU_DEP_2)
	v_fmac_f32_e32 v118, v114, v126
	v_cmp_eq_u32_e32 vcc_lo, 7, v115
	s_delay_alu instid0(VALU_DEP_2) | instskip(SKIP_1) | instid1(SALU_CYCLE_1)
	v_dual_mov_b32 v114, s8 :: v_dual_fmac_f32 v118, v119, v127
	s_or_b32 s6, vcc_lo, s6
	s_and_not1_b32 exec_lo, exec_lo, s6
	s_cbranch_execnz .LBB23_105
; %bb.106:
	s_or_b32 exec_lo, exec_lo, s6
.LBB23_107:
	s_delay_alu instid0(SALU_CYCLE_1) | instskip(SKIP_3) | instid1(VALU_DEP_1)
	s_or_b32 exec_lo, exec_lo, s0
	v_and_b32_e32 v58, 7, v0
	s_mov_b32 s2, 0
	s_mov_b32 s0, exec_lo
	v_cmpx_ne_u32_e32 0, v58
	s_cbranch_execz .LBB23_111
; %bb.108:
	v_lshl_add_u32 v59, v114, 2, 0x60
	v_mov_b32_e32 v115, 0
.LBB23_109:                             ; =>This Inner Loop Header: Depth=1
	v_cmp_eq_u32_e32 vcc_lo, 1, v114
	ds_load_b32 v61, v59
	v_dual_add_nc_u32 v58, -1, v58 :: v_dual_add_nc_u32 v59, 4, v59
	v_cndmask_b32_e32 v60, v34, v35, vcc_lo
	v_cmp_eq_u32_e32 vcc_lo, 2, v114
	s_delay_alu instid0(VALU_DEP_2) | instskip(SKIP_1) | instid1(VALU_DEP_2)
	v_cndmask_b32_e32 v60, v60, v36, vcc_lo
	v_cmp_eq_u32_e32 vcc_lo, 3, v114
	v_cndmask_b32_e32 v60, v60, v37, vcc_lo
	v_cmp_eq_u32_e32 vcc_lo, 4, v114
	s_delay_alu instid0(VALU_DEP_2) | instskip(SKIP_1) | instid1(VALU_DEP_2)
	v_cndmask_b32_e32 v60, v60, v38, vcc_lo
	v_cmp_eq_u32_e32 vcc_lo, 5, v114
	;; [unrolled: 5-line block ×10, first 2 shown]
	v_cndmask_b32_e32 v60, v60, v55, vcc_lo
	v_cmp_eq_u32_e32 vcc_lo, 22, v114
	s_delay_alu instid0(VALU_DEP_2) | instskip(SKIP_2) | instid1(VALU_DEP_3)
	v_cndmask_b32_e32 v60, v60, v56, vcc_lo
	v_cmp_eq_u32_e32 vcc_lo, 23, v114
	v_add_nc_u64_e32 v[114:115], 1, v[114:115]
	v_cndmask_b32_e32 v60, v60, v57, vcc_lo
	v_cmp_eq_u32_e32 vcc_lo, 0, v58
	s_wait_dscnt 0x0
	s_delay_alu instid0(VALU_DEP_2) | instskip(SKIP_1) | instid1(SALU_CYCLE_1)
	v_fmac_f32_e32 v118, v60, v61
	s_or_b32 s2, vcc_lo, s2
	s_and_not1_b32 exec_lo, exec_lo, s2
	s_cbranch_execnz .LBB23_109
; %bb.110:
	s_or_b32 exec_lo, exec_lo, s2
.LBB23_111:
	s_delay_alu instid0(SALU_CYCLE_1)
	s_or_b32 exec_lo, exec_lo, s0
.LBB23_112:
	s_delay_alu instid0(SALU_CYCLE_1)
	s_or_b32 exec_lo, exec_lo, s5
	v_mov_b32_e32 v49, 0
	ds_load_b32 v49, v49 offset:60
	s_wait_dscnt 0x0
	v_mul_f32_e32 v49, v118, v49
.LBB23_113:
	s_or_b32 exec_lo, exec_lo, s4
	v_cmp_lt_u32_e64 s0, 14, v0
	ds_store_b32 v117, v48
	s_wait_dscnt 0x0
	s_barrier_signal -1
	s_barrier_wait -1
	s_and_saveexec_b32 s4, s0
	s_cbranch_execz .LBB23_129
; %bb.114:
	s_and_not1_b32 vcc_lo, exec_lo, s28
	s_cbranch_vccnz .LBB23_116
; %bb.115:
	v_cmp_eq_u32_e32 vcc_lo, 1, v0
	ds_load_b32 v115, v117
	v_cndmask_b32_e32 v114, v34, v35, vcc_lo
	v_cmp_eq_u32_e32 vcc_lo, 2, v0
	s_delay_alu instid0(VALU_DEP_2) | instskip(SKIP_1) | instid1(VALU_DEP_2)
	v_cndmask_b32_e32 v114, v114, v36, vcc_lo
	v_cmp_eq_u32_e32 vcc_lo, 3, v0
	v_cndmask_b32_e32 v114, v114, v37, vcc_lo
	v_cmp_eq_u32_e32 vcc_lo, 4, v0
	s_delay_alu instid0(VALU_DEP_2) | instskip(SKIP_1) | instid1(VALU_DEP_2)
	v_cndmask_b32_e32 v114, v114, v38, vcc_lo
	v_cmp_eq_u32_e32 vcc_lo, 5, v0
	;; [unrolled: 5-line block ×11, first 2 shown]
	v_cndmask_b32_e32 v114, v114, v57, vcc_lo
	s_wait_dscnt 0x0
	s_delay_alu instid0(VALU_DEP_1)
	v_mul_f32_e32 v118, v114, v115
	s_cbranch_execz .LBB23_117
	s_branch .LBB23_118
.LBB23_116:
                                        ; implicit-def: $vgpr118
.LBB23_117:
	ds_load_b32 v118, v117
.LBB23_118:
	s_and_saveexec_b32 s5, s1
	s_cbranch_execz .LBB23_128
; %bb.119:
	v_dual_add_nc_u32 v114, -16, v0 :: v_dual_add_nc_u32 v115, -15, v0
	s_delay_alu instid0(VALU_DEP_1)
	v_cmp_lt_u32_e32 vcc_lo, 6, v114
	v_mov_b32_e32 v114, 15
	s_and_saveexec_b32 s1, vcc_lo
	s_cbranch_execz .LBB23_123
; %bb.120:
	v_and_b32_e32 v114, -8, v115
	s_mov_b32 s6, 0
	s_mov_b64 s[2:3], 22
	s_movk_i32 s7, 0x9c
	s_delay_alu instid0(VALU_DEP_1)
	v_sub_nc_u32_e32 v116, 0, v114
.LBB23_121:                             ; =>This Inner Loop Header: Depth=1
	s_add_co_i32 m0, s2, -7
	v_movrels_b32_e32 v114, v34
	v_mov_b32_e32 v119, s7
	s_add_co_i32 m0, s2, -6
	s_add_co_i32 s7, s7, 32
	ds_load_2addr_b32 v[120:121], v119 offset1:1
	s_wait_dscnt 0x0
	v_fmac_f32_e32 v118, v114, v120
	v_movrels_b32_e32 v114, v34
	s_add_co_i32 m0, s2, -5
	s_delay_alu instid0(VALU_DEP_1) | instskip(SKIP_4) | instid1(VALU_DEP_1)
	v_fmac_f32_e32 v118, v114, v121
	ds_load_2addr_b32 v[120:121], v119 offset0:2 offset1:3
	v_movrels_b32_e32 v114, v34
	s_add_co_i32 m0, s2, -4
	s_wait_dscnt 0x0
	v_fmac_f32_e32 v118, v114, v120
	v_movrels_b32_e32 v114, v34
	s_add_co_i32 m0, s2, -3
	s_delay_alu instid0(VALU_DEP_1) | instskip(SKIP_4) | instid1(VALU_DEP_1)
	v_fmac_f32_e32 v118, v114, v121
	ds_load_2addr_b32 v[120:121], v119 offset0:4 offset1:5
	v_movrels_b32_e32 v114, v34
	s_add_co_i32 m0, s2, -2
	s_wait_dscnt 0x0
	v_fmac_f32_e32 v118, v114, v120
	v_movrels_b32_e32 v114, v34
	s_add_co_i32 m0, s2, -1
	s_delay_alu instid0(VALU_DEP_1) | instskip(SKIP_4) | instid1(SALU_CYCLE_1)
	v_fmac_f32_e32 v118, v114, v121
	ds_load_2addr_b32 v[120:121], v119 offset0:6 offset1:7
	v_movrels_b32_e32 v114, v34
	s_mov_b32 m0, s2
	s_add_nc_u64 s[2:3], s[2:3], 8
	s_add_co_i32 s8, s2, -7
	s_wait_dscnt 0x0
	v_fmac_f32_e32 v118, v114, v120
	v_movrels_b32_e32 v114, v34
	s_delay_alu instid0(VALU_DEP_1) | instskip(NEXT) | instid1(VALU_DEP_1)
	v_dual_fmac_f32 v118, v114, v121 :: v_dual_add_nc_u32 v114, s2, v116
	v_cmp_eq_u32_e32 vcc_lo, 22, v114
	v_mov_b32_e32 v114, s8
	s_or_b32 s6, vcc_lo, s6
	s_delay_alu instid0(SALU_CYCLE_1)
	s_and_not1_b32 exec_lo, exec_lo, s6
	s_cbranch_execnz .LBB23_121
; %bb.122:
	s_or_b32 exec_lo, exec_lo, s6
.LBB23_123:
	s_delay_alu instid0(SALU_CYCLE_1) | instskip(SKIP_3) | instid1(VALU_DEP_1)
	s_or_b32 exec_lo, exec_lo, s1
	v_and_b32_e32 v58, 7, v115
	s_mov_b32 s2, 0
	s_mov_b32 s1, exec_lo
	v_cmpx_ne_u32_e32 0, v58
	s_cbranch_execz .LBB23_127
; %bb.124:
	v_lshl_add_u32 v59, v114, 2, 0x60
	v_mov_b32_e32 v115, 0
.LBB23_125:                             ; =>This Inner Loop Header: Depth=1
	v_cmp_eq_u32_e32 vcc_lo, 1, v114
	ds_load_b32 v61, v59
	v_dual_add_nc_u32 v58, -1, v58 :: v_dual_add_nc_u32 v59, 4, v59
	v_cndmask_b32_e32 v60, v34, v35, vcc_lo
	v_cmp_eq_u32_e32 vcc_lo, 2, v114
	s_delay_alu instid0(VALU_DEP_2) | instskip(SKIP_1) | instid1(VALU_DEP_2)
	v_cndmask_b32_e32 v60, v60, v36, vcc_lo
	v_cmp_eq_u32_e32 vcc_lo, 3, v114
	v_cndmask_b32_e32 v60, v60, v37, vcc_lo
	v_cmp_eq_u32_e32 vcc_lo, 4, v114
	s_delay_alu instid0(VALU_DEP_2) | instskip(SKIP_1) | instid1(VALU_DEP_2)
	v_cndmask_b32_e32 v60, v60, v38, vcc_lo
	v_cmp_eq_u32_e32 vcc_lo, 5, v114
	;; [unrolled: 5-line block ×10, first 2 shown]
	v_cndmask_b32_e32 v60, v60, v55, vcc_lo
	v_cmp_eq_u32_e32 vcc_lo, 22, v114
	s_delay_alu instid0(VALU_DEP_2) | instskip(SKIP_2) | instid1(VALU_DEP_3)
	v_cndmask_b32_e32 v60, v60, v56, vcc_lo
	v_cmp_eq_u32_e32 vcc_lo, 23, v114
	v_add_nc_u64_e32 v[114:115], 1, v[114:115]
	v_cndmask_b32_e32 v60, v60, v57, vcc_lo
	v_cmp_eq_u32_e32 vcc_lo, 0, v58
	s_wait_dscnt 0x0
	s_delay_alu instid0(VALU_DEP_2) | instskip(SKIP_1) | instid1(SALU_CYCLE_1)
	v_fmac_f32_e32 v118, v60, v61
	s_or_b32 s2, vcc_lo, s2
	s_and_not1_b32 exec_lo, exec_lo, s2
	s_cbranch_execnz .LBB23_125
; %bb.126:
	s_or_b32 exec_lo, exec_lo, s2
.LBB23_127:
	s_delay_alu instid0(SALU_CYCLE_1)
	s_or_b32 exec_lo, exec_lo, s1
.LBB23_128:
	s_delay_alu instid0(SALU_CYCLE_1)
	s_or_b32 exec_lo, exec_lo, s5
	v_mov_b32_e32 v48, 0
	ds_load_b32 v48, v48 offset:56
	s_wait_dscnt 0x0
	v_mul_f32_e32 v48, v118, v48
.LBB23_129:
	s_or_b32 exec_lo, exec_lo, s4
	v_cmp_lt_u32_e64 s1, 13, v0
	ds_store_b32 v117, v47
	s_wait_dscnt 0x0
	s_barrier_signal -1
	s_barrier_wait -1
	s_and_saveexec_b32 s4, s1
	s_cbranch_execz .LBB23_145
; %bb.130:
	s_and_not1_b32 vcc_lo, exec_lo, s28
	s_cbranch_vccnz .LBB23_132
; %bb.131:
	v_cmp_eq_u32_e32 vcc_lo, 1, v0
	ds_load_b32 v115, v117
	v_cndmask_b32_e32 v114, v34, v35, vcc_lo
	v_cmp_eq_u32_e32 vcc_lo, 2, v0
	s_delay_alu instid0(VALU_DEP_2) | instskip(SKIP_1) | instid1(VALU_DEP_2)
	v_cndmask_b32_e32 v114, v114, v36, vcc_lo
	v_cmp_eq_u32_e32 vcc_lo, 3, v0
	v_cndmask_b32_e32 v114, v114, v37, vcc_lo
	v_cmp_eq_u32_e32 vcc_lo, 4, v0
	s_delay_alu instid0(VALU_DEP_2) | instskip(SKIP_1) | instid1(VALU_DEP_2)
	v_cndmask_b32_e32 v114, v114, v38, vcc_lo
	v_cmp_eq_u32_e32 vcc_lo, 5, v0
	;; [unrolled: 5-line block ×11, first 2 shown]
	v_cndmask_b32_e32 v114, v114, v57, vcc_lo
	s_wait_dscnt 0x0
	s_delay_alu instid0(VALU_DEP_1)
	v_mul_f32_e32 v118, v114, v115
	s_cbranch_execz .LBB23_133
	s_branch .LBB23_134
.LBB23_132:
                                        ; implicit-def: $vgpr118
.LBB23_133:
	ds_load_b32 v118, v117
.LBB23_134:
	s_and_saveexec_b32 s5, s0
	s_cbranch_execz .LBB23_144
; %bb.135:
	v_dual_add_nc_u32 v114, -15, v0 :: v_dual_add_nc_u32 v115, -14, v0
	s_delay_alu instid0(VALU_DEP_1)
	v_cmp_lt_u32_e32 vcc_lo, 6, v114
	v_mov_b32_e32 v114, 14
	s_and_saveexec_b32 s0, vcc_lo
	s_cbranch_execz .LBB23_139
; %bb.136:
	v_and_b32_e32 v114, -8, v115
	s_mov_b32 s6, 0
	s_mov_b64 s[2:3], 21
	s_movk_i32 s7, 0x98
	s_delay_alu instid0(VALU_DEP_1)
	v_sub_nc_u32_e32 v116, 0, v114
.LBB23_137:                             ; =>This Inner Loop Header: Depth=1
	s_add_co_i32 m0, s2, -7
	v_movrels_b32_e32 v114, v34
	v_mov_b32_e32 v119, s7
	s_add_co_i32 m0, s2, -6
	s_add_co_i32 s7, s7, 32
	ds_load_2addr_b64 v[120:123], v119 offset1:1
	s_wait_dscnt 0x0
	v_fmac_f32_e32 v118, v114, v120
	v_movrels_b32_e32 v114, v34
	s_add_co_i32 m0, s2, -5
	s_delay_alu instid0(VALU_DEP_1) | instskip(SKIP_2) | instid1(VALU_DEP_1)
	v_fmac_f32_e32 v118, v114, v121
	v_movrels_b32_e32 v114, v34
	s_add_co_i32 m0, s2, -4
	v_fmac_f32_e32 v118, v114, v122
	v_movrels_b32_e32 v114, v34
	s_add_co_i32 m0, s2, -3
	s_delay_alu instid0(VALU_DEP_1) | instskip(SKIP_4) | instid1(VALU_DEP_1)
	v_fmac_f32_e32 v118, v114, v123
	ds_load_2addr_b64 v[120:123], v119 offset0:2 offset1:3
	v_movrels_b32_e32 v114, v34
	s_add_co_i32 m0, s2, -2
	s_wait_dscnt 0x0
	v_fmac_f32_e32 v118, v114, v120
	v_movrels_b32_e32 v114, v34
	s_add_co_i32 m0, s2, -1
	s_delay_alu instid0(VALU_DEP_1) | instskip(SKIP_3) | instid1(SALU_CYCLE_1)
	v_fmac_f32_e32 v118, v114, v121
	v_movrels_b32_e32 v114, v34
	s_mov_b32 m0, s2
	s_add_nc_u64 s[2:3], s[2:3], 8
	s_add_co_i32 s8, s2, -7
	s_delay_alu instid0(VALU_DEP_1) | instskip(SKIP_1) | instid1(VALU_DEP_1)
	v_fmac_f32_e32 v118, v114, v122
	v_movrels_b32_e32 v114, v34
	v_dual_fmac_f32 v118, v114, v123 :: v_dual_add_nc_u32 v114, s2, v116
	s_delay_alu instid0(VALU_DEP_1) | instskip(SKIP_2) | instid1(SALU_CYCLE_1)
	v_cmp_eq_u32_e32 vcc_lo, 21, v114
	v_mov_b32_e32 v114, s8
	s_or_b32 s6, vcc_lo, s6
	s_and_not1_b32 exec_lo, exec_lo, s6
	s_cbranch_execnz .LBB23_137
; %bb.138:
	s_or_b32 exec_lo, exec_lo, s6
.LBB23_139:
	s_delay_alu instid0(SALU_CYCLE_1) | instskip(SKIP_3) | instid1(VALU_DEP_1)
	s_or_b32 exec_lo, exec_lo, s0
	v_and_b32_e32 v58, 7, v115
	s_mov_b32 s2, 0
	s_mov_b32 s0, exec_lo
	v_cmpx_ne_u32_e32 0, v58
	s_cbranch_execz .LBB23_143
; %bb.140:
	v_lshl_add_u32 v59, v114, 2, 0x60
	v_mov_b32_e32 v115, 0
.LBB23_141:                             ; =>This Inner Loop Header: Depth=1
	v_cmp_eq_u32_e32 vcc_lo, 1, v114
	ds_load_b32 v61, v59
	v_dual_add_nc_u32 v58, -1, v58 :: v_dual_add_nc_u32 v59, 4, v59
	v_cndmask_b32_e32 v60, v34, v35, vcc_lo
	v_cmp_eq_u32_e32 vcc_lo, 2, v114
	s_delay_alu instid0(VALU_DEP_2) | instskip(SKIP_1) | instid1(VALU_DEP_2)
	v_cndmask_b32_e32 v60, v60, v36, vcc_lo
	v_cmp_eq_u32_e32 vcc_lo, 3, v114
	v_cndmask_b32_e32 v60, v60, v37, vcc_lo
	v_cmp_eq_u32_e32 vcc_lo, 4, v114
	s_delay_alu instid0(VALU_DEP_2) | instskip(SKIP_1) | instid1(VALU_DEP_2)
	v_cndmask_b32_e32 v60, v60, v38, vcc_lo
	v_cmp_eq_u32_e32 vcc_lo, 5, v114
	;; [unrolled: 5-line block ×10, first 2 shown]
	v_cndmask_b32_e32 v60, v60, v55, vcc_lo
	v_cmp_eq_u32_e32 vcc_lo, 22, v114
	s_delay_alu instid0(VALU_DEP_2) | instskip(SKIP_2) | instid1(VALU_DEP_3)
	v_cndmask_b32_e32 v60, v60, v56, vcc_lo
	v_cmp_eq_u32_e32 vcc_lo, 23, v114
	v_add_nc_u64_e32 v[114:115], 1, v[114:115]
	v_cndmask_b32_e32 v60, v60, v57, vcc_lo
	v_cmp_eq_u32_e32 vcc_lo, 0, v58
	s_wait_dscnt 0x0
	s_delay_alu instid0(VALU_DEP_2) | instskip(SKIP_1) | instid1(SALU_CYCLE_1)
	v_fmac_f32_e32 v118, v60, v61
	s_or_b32 s2, vcc_lo, s2
	s_and_not1_b32 exec_lo, exec_lo, s2
	s_cbranch_execnz .LBB23_141
; %bb.142:
	s_or_b32 exec_lo, exec_lo, s2
.LBB23_143:
	s_delay_alu instid0(SALU_CYCLE_1)
	s_or_b32 exec_lo, exec_lo, s0
.LBB23_144:
	s_delay_alu instid0(SALU_CYCLE_1)
	s_or_b32 exec_lo, exec_lo, s5
	v_mov_b32_e32 v47, 0
	ds_load_b32 v47, v47 offset:52
	s_wait_dscnt 0x0
	v_mul_f32_e32 v47, v118, v47
.LBB23_145:
	s_or_b32 exec_lo, exec_lo, s4
	v_cmp_lt_u32_e64 s0, 12, v0
	ds_store_b32 v117, v46
	s_wait_dscnt 0x0
	s_barrier_signal -1
	s_barrier_wait -1
	s_and_saveexec_b32 s4, s0
	s_cbranch_execz .LBB23_161
; %bb.146:
	s_and_not1_b32 vcc_lo, exec_lo, s28
	s_cbranch_vccnz .LBB23_148
; %bb.147:
	v_cmp_eq_u32_e32 vcc_lo, 1, v0
	ds_load_b32 v115, v117
	v_cndmask_b32_e32 v114, v34, v35, vcc_lo
	v_cmp_eq_u32_e32 vcc_lo, 2, v0
	s_delay_alu instid0(VALU_DEP_2) | instskip(SKIP_1) | instid1(VALU_DEP_2)
	v_cndmask_b32_e32 v114, v114, v36, vcc_lo
	v_cmp_eq_u32_e32 vcc_lo, 3, v0
	v_cndmask_b32_e32 v114, v114, v37, vcc_lo
	v_cmp_eq_u32_e32 vcc_lo, 4, v0
	s_delay_alu instid0(VALU_DEP_2) | instskip(SKIP_1) | instid1(VALU_DEP_2)
	v_cndmask_b32_e32 v114, v114, v38, vcc_lo
	v_cmp_eq_u32_e32 vcc_lo, 5, v0
	;; [unrolled: 5-line block ×11, first 2 shown]
	v_cndmask_b32_e32 v114, v114, v57, vcc_lo
	s_wait_dscnt 0x0
	s_delay_alu instid0(VALU_DEP_1)
	v_mul_f32_e32 v118, v114, v115
	s_cbranch_execz .LBB23_149
	s_branch .LBB23_150
.LBB23_148:
                                        ; implicit-def: $vgpr118
.LBB23_149:
	ds_load_b32 v118, v117
.LBB23_150:
	s_and_saveexec_b32 s5, s1
	s_cbranch_execz .LBB23_160
; %bb.151:
	v_dual_add_nc_u32 v114, -14, v0 :: v_dual_add_nc_u32 v115, -13, v0
	s_delay_alu instid0(VALU_DEP_1)
	v_cmp_lt_u32_e32 vcc_lo, 6, v114
	v_mov_b32_e32 v114, 13
	s_and_saveexec_b32 s1, vcc_lo
	s_cbranch_execz .LBB23_155
; %bb.152:
	v_and_b32_e32 v114, -8, v115
	s_mov_b32 s6, 0
	s_mov_b64 s[2:3], 20
	s_movk_i32 s7, 0x94
	s_delay_alu instid0(VALU_DEP_1)
	v_sub_nc_u32_e32 v116, 0, v114
.LBB23_153:                             ; =>This Inner Loop Header: Depth=1
	s_add_co_i32 m0, s2, -7
	v_movrels_b32_e32 v114, v34
	v_mov_b32_e32 v119, s7
	s_add_co_i32 m0, s2, -6
	s_add_co_i32 s7, s7, 32
	ds_load_2addr_b32 v[120:121], v119 offset1:1
	s_wait_dscnt 0x0
	v_fmac_f32_e32 v118, v114, v120
	v_movrels_b32_e32 v114, v34
	s_add_co_i32 m0, s2, -5
	s_delay_alu instid0(VALU_DEP_1) | instskip(SKIP_4) | instid1(VALU_DEP_1)
	v_fmac_f32_e32 v118, v114, v121
	ds_load_2addr_b32 v[120:121], v119 offset0:2 offset1:3
	v_movrels_b32_e32 v114, v34
	s_add_co_i32 m0, s2, -4
	s_wait_dscnt 0x0
	v_fmac_f32_e32 v118, v114, v120
	v_movrels_b32_e32 v114, v34
	s_add_co_i32 m0, s2, -3
	s_delay_alu instid0(VALU_DEP_1) | instskip(SKIP_4) | instid1(VALU_DEP_1)
	v_fmac_f32_e32 v118, v114, v121
	ds_load_2addr_b32 v[120:121], v119 offset0:4 offset1:5
	v_movrels_b32_e32 v114, v34
	s_add_co_i32 m0, s2, -2
	s_wait_dscnt 0x0
	v_fmac_f32_e32 v118, v114, v120
	v_movrels_b32_e32 v114, v34
	s_add_co_i32 m0, s2, -1
	s_delay_alu instid0(VALU_DEP_1) | instskip(SKIP_4) | instid1(SALU_CYCLE_1)
	v_fmac_f32_e32 v118, v114, v121
	ds_load_2addr_b32 v[120:121], v119 offset0:6 offset1:7
	v_movrels_b32_e32 v114, v34
	s_mov_b32 m0, s2
	s_add_nc_u64 s[2:3], s[2:3], 8
	s_add_co_i32 s8, s2, -7
	s_wait_dscnt 0x0
	v_fmac_f32_e32 v118, v114, v120
	v_movrels_b32_e32 v114, v34
	s_delay_alu instid0(VALU_DEP_1) | instskip(NEXT) | instid1(VALU_DEP_1)
	v_dual_fmac_f32 v118, v114, v121 :: v_dual_add_nc_u32 v114, s2, v116
	v_cmp_eq_u32_e32 vcc_lo, 20, v114
	v_mov_b32_e32 v114, s8
	s_or_b32 s6, vcc_lo, s6
	s_delay_alu instid0(SALU_CYCLE_1)
	s_and_not1_b32 exec_lo, exec_lo, s6
	s_cbranch_execnz .LBB23_153
; %bb.154:
	s_or_b32 exec_lo, exec_lo, s6
.LBB23_155:
	s_delay_alu instid0(SALU_CYCLE_1) | instskip(SKIP_3) | instid1(VALU_DEP_1)
	s_or_b32 exec_lo, exec_lo, s1
	v_and_b32_e32 v58, 7, v115
	s_mov_b32 s2, 0
	s_mov_b32 s1, exec_lo
	v_cmpx_ne_u32_e32 0, v58
	s_cbranch_execz .LBB23_159
; %bb.156:
	v_lshl_add_u32 v59, v114, 2, 0x60
	v_mov_b32_e32 v115, 0
.LBB23_157:                             ; =>This Inner Loop Header: Depth=1
	v_cmp_eq_u32_e32 vcc_lo, 1, v114
	ds_load_b32 v61, v59
	v_dual_add_nc_u32 v58, -1, v58 :: v_dual_add_nc_u32 v59, 4, v59
	v_cndmask_b32_e32 v60, v34, v35, vcc_lo
	v_cmp_eq_u32_e32 vcc_lo, 2, v114
	s_delay_alu instid0(VALU_DEP_2) | instskip(SKIP_1) | instid1(VALU_DEP_2)
	v_cndmask_b32_e32 v60, v60, v36, vcc_lo
	v_cmp_eq_u32_e32 vcc_lo, 3, v114
	v_cndmask_b32_e32 v60, v60, v37, vcc_lo
	v_cmp_eq_u32_e32 vcc_lo, 4, v114
	s_delay_alu instid0(VALU_DEP_2) | instskip(SKIP_1) | instid1(VALU_DEP_2)
	v_cndmask_b32_e32 v60, v60, v38, vcc_lo
	v_cmp_eq_u32_e32 vcc_lo, 5, v114
	;; [unrolled: 5-line block ×10, first 2 shown]
	v_cndmask_b32_e32 v60, v60, v55, vcc_lo
	v_cmp_eq_u32_e32 vcc_lo, 22, v114
	s_delay_alu instid0(VALU_DEP_2) | instskip(SKIP_2) | instid1(VALU_DEP_3)
	v_cndmask_b32_e32 v60, v60, v56, vcc_lo
	v_cmp_eq_u32_e32 vcc_lo, 23, v114
	v_add_nc_u64_e32 v[114:115], 1, v[114:115]
	v_cndmask_b32_e32 v60, v60, v57, vcc_lo
	v_cmp_eq_u32_e32 vcc_lo, 0, v58
	s_wait_dscnt 0x0
	s_delay_alu instid0(VALU_DEP_2) | instskip(SKIP_1) | instid1(SALU_CYCLE_1)
	v_fmac_f32_e32 v118, v60, v61
	s_or_b32 s2, vcc_lo, s2
	s_and_not1_b32 exec_lo, exec_lo, s2
	s_cbranch_execnz .LBB23_157
; %bb.158:
	s_or_b32 exec_lo, exec_lo, s2
.LBB23_159:
	s_delay_alu instid0(SALU_CYCLE_1)
	s_or_b32 exec_lo, exec_lo, s1
.LBB23_160:
	s_delay_alu instid0(SALU_CYCLE_1)
	s_or_b32 exec_lo, exec_lo, s5
	v_mov_b32_e32 v46, 0
	ds_load_b32 v46, v46 offset:48
	s_wait_dscnt 0x0
	v_mul_f32_e32 v46, v118, v46
.LBB23_161:
	s_or_b32 exec_lo, exec_lo, s4
	v_cmp_lt_u32_e64 s1, 11, v0
	ds_store_b32 v117, v45
	s_wait_dscnt 0x0
	s_barrier_signal -1
	s_barrier_wait -1
	s_and_saveexec_b32 s4, s1
	s_cbranch_execz .LBB23_177
; %bb.162:
	s_and_not1_b32 vcc_lo, exec_lo, s28
	s_cbranch_vccnz .LBB23_164
; %bb.163:
	v_cmp_eq_u32_e32 vcc_lo, 1, v0
	ds_load_b32 v115, v117
	v_cndmask_b32_e32 v114, v34, v35, vcc_lo
	v_cmp_eq_u32_e32 vcc_lo, 2, v0
	s_delay_alu instid0(VALU_DEP_2) | instskip(SKIP_1) | instid1(VALU_DEP_2)
	v_cndmask_b32_e32 v114, v114, v36, vcc_lo
	v_cmp_eq_u32_e32 vcc_lo, 3, v0
	v_cndmask_b32_e32 v114, v114, v37, vcc_lo
	v_cmp_eq_u32_e32 vcc_lo, 4, v0
	s_delay_alu instid0(VALU_DEP_2) | instskip(SKIP_1) | instid1(VALU_DEP_2)
	v_cndmask_b32_e32 v114, v114, v38, vcc_lo
	v_cmp_eq_u32_e32 vcc_lo, 5, v0
	;; [unrolled: 5-line block ×11, first 2 shown]
	v_cndmask_b32_e32 v114, v114, v57, vcc_lo
	s_wait_dscnt 0x0
	s_delay_alu instid0(VALU_DEP_1)
	v_mul_f32_e32 v118, v114, v115
	s_cbranch_execz .LBB23_165
	s_branch .LBB23_166
.LBB23_164:
                                        ; implicit-def: $vgpr118
.LBB23_165:
	ds_load_b32 v118, v117
.LBB23_166:
	s_and_saveexec_b32 s5, s0
	s_cbranch_execz .LBB23_176
; %bb.167:
	v_dual_add_nc_u32 v114, -13, v0 :: v_dual_add_nc_u32 v115, -12, v0
	s_delay_alu instid0(VALU_DEP_1)
	v_cmp_lt_u32_e32 vcc_lo, 6, v114
	v_mov_b32_e32 v114, 12
	s_and_saveexec_b32 s0, vcc_lo
	s_cbranch_execz .LBB23_171
; %bb.168:
	v_and_b32_e32 v114, -8, v115
	s_mov_b32 s6, 0
	s_mov_b64 s[2:3], 19
	s_movk_i32 s7, 0x90
	s_delay_alu instid0(VALU_DEP_1)
	v_sub_nc_u32_e32 v116, 0, v114
.LBB23_169:                             ; =>This Inner Loop Header: Depth=1
	s_add_co_i32 m0, s2, -7
	v_movrels_b32_e32 v114, v34
	v_mov_b32_e32 v119, s7
	s_add_co_i32 m0, s2, -6
	s_add_co_i32 s7, s7, 32
	ds_load_b128 v[120:123], v119
	ds_load_b128 v[124:127], v119 offset:16
	s_wait_dscnt 0x1
	v_fmac_f32_e32 v118, v114, v120
	v_movrels_b32_e32 v114, v34
	s_add_co_i32 m0, s2, -5
	s_delay_alu instid0(VALU_DEP_1) | instskip(SKIP_2) | instid1(VALU_DEP_1)
	v_fmac_f32_e32 v118, v114, v121
	v_movrels_b32_e32 v114, v34
	s_add_co_i32 m0, s2, -4
	v_fmac_f32_e32 v118, v114, v122
	v_movrels_b32_e32 v114, v34
	s_add_co_i32 m0, s2, -3
	s_delay_alu instid0(VALU_DEP_1) | instskip(SKIP_3) | instid1(VALU_DEP_1)
	v_fmac_f32_e32 v118, v114, v123
	v_movrels_b32_e32 v114, v34
	s_add_co_i32 m0, s2, -2
	s_wait_dscnt 0x0
	v_fmac_f32_e32 v118, v114, v124
	v_movrels_b32_e32 v114, v34
	s_add_co_i32 m0, s2, -1
	s_delay_alu instid0(VALU_DEP_1) | instskip(SKIP_3) | instid1(SALU_CYCLE_1)
	v_fmac_f32_e32 v118, v114, v125
	v_movrels_b32_e32 v114, v34
	s_mov_b32 m0, s2
	s_add_nc_u64 s[2:3], s[2:3], 8
	s_add_co_i32 s8, s2, -7
	s_delay_alu instid0(VALU_DEP_1) | instskip(SKIP_1) | instid1(VALU_DEP_1)
	v_fmac_f32_e32 v118, v114, v126
	v_movrels_b32_e32 v114, v34
	v_dual_fmac_f32 v118, v114, v127 :: v_dual_add_nc_u32 v114, s2, v116
	s_delay_alu instid0(VALU_DEP_1) | instskip(SKIP_2) | instid1(SALU_CYCLE_1)
	v_cmp_eq_u32_e32 vcc_lo, 19, v114
	v_mov_b32_e32 v114, s8
	s_or_b32 s6, vcc_lo, s6
	s_and_not1_b32 exec_lo, exec_lo, s6
	s_cbranch_execnz .LBB23_169
; %bb.170:
	s_or_b32 exec_lo, exec_lo, s6
.LBB23_171:
	s_delay_alu instid0(SALU_CYCLE_1) | instskip(SKIP_3) | instid1(VALU_DEP_1)
	s_or_b32 exec_lo, exec_lo, s0
	v_and_b32_e32 v58, 7, v115
	s_mov_b32 s2, 0
	s_mov_b32 s0, exec_lo
	v_cmpx_ne_u32_e32 0, v58
	s_cbranch_execz .LBB23_175
; %bb.172:
	v_lshl_add_u32 v59, v114, 2, 0x60
	v_mov_b32_e32 v115, 0
.LBB23_173:                             ; =>This Inner Loop Header: Depth=1
	v_cmp_eq_u32_e32 vcc_lo, 1, v114
	ds_load_b32 v61, v59
	v_dual_add_nc_u32 v58, -1, v58 :: v_dual_add_nc_u32 v59, 4, v59
	v_cndmask_b32_e32 v60, v34, v35, vcc_lo
	v_cmp_eq_u32_e32 vcc_lo, 2, v114
	s_delay_alu instid0(VALU_DEP_2) | instskip(SKIP_1) | instid1(VALU_DEP_2)
	v_cndmask_b32_e32 v60, v60, v36, vcc_lo
	v_cmp_eq_u32_e32 vcc_lo, 3, v114
	v_cndmask_b32_e32 v60, v60, v37, vcc_lo
	v_cmp_eq_u32_e32 vcc_lo, 4, v114
	s_delay_alu instid0(VALU_DEP_2) | instskip(SKIP_1) | instid1(VALU_DEP_2)
	v_cndmask_b32_e32 v60, v60, v38, vcc_lo
	v_cmp_eq_u32_e32 vcc_lo, 5, v114
	v_cndmask_b32_e32 v60, v60, v39, vcc_lo
	v_cmp_eq_u32_e32 vcc_lo, 6, v114
	s_delay_alu instid0(VALU_DEP_2) | instskip(SKIP_1) | instid1(VALU_DEP_2)
	v_cndmask_b32_e32 v60, v60, v40, vcc_lo
	v_cmp_eq_u32_e32 vcc_lo, 7, v114
	v_cndmask_b32_e32 v60, v60, v41, vcc_lo
	v_cmp_eq_u32_e32 vcc_lo, 8, v114
	s_delay_alu instid0(VALU_DEP_2) | instskip(SKIP_1) | instid1(VALU_DEP_2)
	v_cndmask_b32_e32 v60, v60, v42, vcc_lo
	v_cmp_eq_u32_e32 vcc_lo, 9, v114
	v_cndmask_b32_e32 v60, v60, v43, vcc_lo
	v_cmp_eq_u32_e32 vcc_lo, 10, v114
	s_delay_alu instid0(VALU_DEP_2) | instskip(SKIP_1) | instid1(VALU_DEP_2)
	v_cndmask_b32_e32 v60, v60, v44, vcc_lo
	v_cmp_eq_u32_e32 vcc_lo, 11, v114
	v_cndmask_b32_e32 v60, v60, v45, vcc_lo
	v_cmp_eq_u32_e32 vcc_lo, 12, v114
	s_delay_alu instid0(VALU_DEP_2) | instskip(SKIP_1) | instid1(VALU_DEP_2)
	v_cndmask_b32_e32 v60, v60, v46, vcc_lo
	v_cmp_eq_u32_e32 vcc_lo, 13, v114
	v_cndmask_b32_e32 v60, v60, v47, vcc_lo
	v_cmp_eq_u32_e32 vcc_lo, 14, v114
	s_delay_alu instid0(VALU_DEP_2) | instskip(SKIP_1) | instid1(VALU_DEP_2)
	v_cndmask_b32_e32 v60, v60, v48, vcc_lo
	v_cmp_eq_u32_e32 vcc_lo, 15, v114
	v_cndmask_b32_e32 v60, v60, v49, vcc_lo
	v_cmp_eq_u32_e32 vcc_lo, 16, v114
	s_delay_alu instid0(VALU_DEP_2) | instskip(SKIP_1) | instid1(VALU_DEP_2)
	v_cndmask_b32_e32 v60, v60, v50, vcc_lo
	v_cmp_eq_u32_e32 vcc_lo, 17, v114
	v_cndmask_b32_e32 v60, v60, v51, vcc_lo
	v_cmp_eq_u32_e32 vcc_lo, 18, v114
	s_delay_alu instid0(VALU_DEP_2) | instskip(SKIP_1) | instid1(VALU_DEP_2)
	v_cndmask_b32_e32 v60, v60, v52, vcc_lo
	v_cmp_eq_u32_e32 vcc_lo, 19, v114
	v_cndmask_b32_e32 v60, v60, v53, vcc_lo
	v_cmp_eq_u32_e32 vcc_lo, 20, v114
	s_delay_alu instid0(VALU_DEP_2) | instskip(SKIP_1) | instid1(VALU_DEP_2)
	v_cndmask_b32_e32 v60, v60, v54, vcc_lo
	v_cmp_eq_u32_e32 vcc_lo, 21, v114
	v_cndmask_b32_e32 v60, v60, v55, vcc_lo
	v_cmp_eq_u32_e32 vcc_lo, 22, v114
	s_delay_alu instid0(VALU_DEP_2) | instskip(SKIP_2) | instid1(VALU_DEP_3)
	v_cndmask_b32_e32 v60, v60, v56, vcc_lo
	v_cmp_eq_u32_e32 vcc_lo, 23, v114
	v_add_nc_u64_e32 v[114:115], 1, v[114:115]
	v_cndmask_b32_e32 v60, v60, v57, vcc_lo
	v_cmp_eq_u32_e32 vcc_lo, 0, v58
	s_wait_dscnt 0x0
	s_delay_alu instid0(VALU_DEP_2) | instskip(SKIP_1) | instid1(SALU_CYCLE_1)
	v_fmac_f32_e32 v118, v60, v61
	s_or_b32 s2, vcc_lo, s2
	s_and_not1_b32 exec_lo, exec_lo, s2
	s_cbranch_execnz .LBB23_173
; %bb.174:
	s_or_b32 exec_lo, exec_lo, s2
.LBB23_175:
	s_delay_alu instid0(SALU_CYCLE_1)
	s_or_b32 exec_lo, exec_lo, s0
.LBB23_176:
	s_delay_alu instid0(SALU_CYCLE_1)
	s_or_b32 exec_lo, exec_lo, s5
	v_mov_b32_e32 v45, 0
	ds_load_b32 v45, v45 offset:44
	s_wait_dscnt 0x0
	v_mul_f32_e32 v45, v118, v45
.LBB23_177:
	s_or_b32 exec_lo, exec_lo, s4
	v_cmp_lt_u32_e64 s0, 10, v0
	ds_store_b32 v117, v44
	s_wait_dscnt 0x0
	s_barrier_signal -1
	s_barrier_wait -1
	s_and_saveexec_b32 s4, s0
	s_cbranch_execz .LBB23_193
; %bb.178:
	s_and_not1_b32 vcc_lo, exec_lo, s28
	s_cbranch_vccnz .LBB23_180
; %bb.179:
	v_cmp_eq_u32_e32 vcc_lo, 1, v0
	ds_load_b32 v115, v117
	v_cndmask_b32_e32 v114, v34, v35, vcc_lo
	v_cmp_eq_u32_e32 vcc_lo, 2, v0
	s_delay_alu instid0(VALU_DEP_2) | instskip(SKIP_1) | instid1(VALU_DEP_2)
	v_cndmask_b32_e32 v114, v114, v36, vcc_lo
	v_cmp_eq_u32_e32 vcc_lo, 3, v0
	v_cndmask_b32_e32 v114, v114, v37, vcc_lo
	v_cmp_eq_u32_e32 vcc_lo, 4, v0
	s_delay_alu instid0(VALU_DEP_2) | instskip(SKIP_1) | instid1(VALU_DEP_2)
	v_cndmask_b32_e32 v114, v114, v38, vcc_lo
	v_cmp_eq_u32_e32 vcc_lo, 5, v0
	;; [unrolled: 5-line block ×11, first 2 shown]
	v_cndmask_b32_e32 v114, v114, v57, vcc_lo
	s_wait_dscnt 0x0
	s_delay_alu instid0(VALU_DEP_1)
	v_mul_f32_e32 v118, v114, v115
	s_cbranch_execz .LBB23_181
	s_branch .LBB23_182
.LBB23_180:
                                        ; implicit-def: $vgpr118
.LBB23_181:
	ds_load_b32 v118, v117
.LBB23_182:
	s_and_saveexec_b32 s5, s1
	s_cbranch_execz .LBB23_192
; %bb.183:
	v_dual_add_nc_u32 v114, -12, v0 :: v_dual_add_nc_u32 v115, -11, v0
	s_delay_alu instid0(VALU_DEP_1)
	v_cmp_lt_u32_e32 vcc_lo, 6, v114
	v_mov_b32_e32 v114, 11
	s_and_saveexec_b32 s1, vcc_lo
	s_cbranch_execz .LBB23_187
; %bb.184:
	v_and_b32_e32 v114, -8, v115
	s_mov_b32 s6, 0
	s_mov_b64 s[2:3], 18
	s_movk_i32 s7, 0x8c
	s_delay_alu instid0(VALU_DEP_1)
	v_sub_nc_u32_e32 v116, 0, v114
.LBB23_185:                             ; =>This Inner Loop Header: Depth=1
	s_add_co_i32 m0, s2, -7
	v_movrels_b32_e32 v114, v34
	v_mov_b32_e32 v119, s7
	s_add_co_i32 m0, s2, -6
	s_add_co_i32 s7, s7, 32
	ds_load_2addr_b32 v[120:121], v119 offset1:1
	s_wait_dscnt 0x0
	v_fmac_f32_e32 v118, v114, v120
	v_movrels_b32_e32 v114, v34
	s_add_co_i32 m0, s2, -5
	s_delay_alu instid0(VALU_DEP_1) | instskip(SKIP_4) | instid1(VALU_DEP_1)
	v_fmac_f32_e32 v118, v114, v121
	ds_load_2addr_b32 v[120:121], v119 offset0:2 offset1:3
	v_movrels_b32_e32 v114, v34
	s_add_co_i32 m0, s2, -4
	s_wait_dscnt 0x0
	v_fmac_f32_e32 v118, v114, v120
	v_movrels_b32_e32 v114, v34
	s_add_co_i32 m0, s2, -3
	s_delay_alu instid0(VALU_DEP_1) | instskip(SKIP_4) | instid1(VALU_DEP_1)
	v_fmac_f32_e32 v118, v114, v121
	ds_load_2addr_b32 v[120:121], v119 offset0:4 offset1:5
	v_movrels_b32_e32 v114, v34
	s_add_co_i32 m0, s2, -2
	s_wait_dscnt 0x0
	v_fmac_f32_e32 v118, v114, v120
	v_movrels_b32_e32 v114, v34
	s_add_co_i32 m0, s2, -1
	s_delay_alu instid0(VALU_DEP_1) | instskip(SKIP_4) | instid1(SALU_CYCLE_1)
	v_fmac_f32_e32 v118, v114, v121
	ds_load_2addr_b32 v[120:121], v119 offset0:6 offset1:7
	v_movrels_b32_e32 v114, v34
	s_mov_b32 m0, s2
	s_add_nc_u64 s[2:3], s[2:3], 8
	s_add_co_i32 s8, s2, -7
	s_wait_dscnt 0x0
	v_fmac_f32_e32 v118, v114, v120
	v_movrels_b32_e32 v114, v34
	s_delay_alu instid0(VALU_DEP_1) | instskip(NEXT) | instid1(VALU_DEP_1)
	v_dual_fmac_f32 v118, v114, v121 :: v_dual_add_nc_u32 v114, s2, v116
	v_cmp_eq_u32_e32 vcc_lo, 18, v114
	v_mov_b32_e32 v114, s8
	s_or_b32 s6, vcc_lo, s6
	s_delay_alu instid0(SALU_CYCLE_1)
	s_and_not1_b32 exec_lo, exec_lo, s6
	s_cbranch_execnz .LBB23_185
; %bb.186:
	s_or_b32 exec_lo, exec_lo, s6
.LBB23_187:
	s_delay_alu instid0(SALU_CYCLE_1) | instskip(SKIP_3) | instid1(VALU_DEP_1)
	s_or_b32 exec_lo, exec_lo, s1
	v_and_b32_e32 v58, 7, v115
	s_mov_b32 s2, 0
	s_mov_b32 s1, exec_lo
	v_cmpx_ne_u32_e32 0, v58
	s_cbranch_execz .LBB23_191
; %bb.188:
	v_lshl_add_u32 v59, v114, 2, 0x60
	v_mov_b32_e32 v115, 0
.LBB23_189:                             ; =>This Inner Loop Header: Depth=1
	v_cmp_eq_u32_e32 vcc_lo, 1, v114
	ds_load_b32 v61, v59
	v_dual_add_nc_u32 v58, -1, v58 :: v_dual_add_nc_u32 v59, 4, v59
	v_cndmask_b32_e32 v60, v34, v35, vcc_lo
	v_cmp_eq_u32_e32 vcc_lo, 2, v114
	s_delay_alu instid0(VALU_DEP_2) | instskip(SKIP_1) | instid1(VALU_DEP_2)
	v_cndmask_b32_e32 v60, v60, v36, vcc_lo
	v_cmp_eq_u32_e32 vcc_lo, 3, v114
	v_cndmask_b32_e32 v60, v60, v37, vcc_lo
	v_cmp_eq_u32_e32 vcc_lo, 4, v114
	s_delay_alu instid0(VALU_DEP_2) | instskip(SKIP_1) | instid1(VALU_DEP_2)
	v_cndmask_b32_e32 v60, v60, v38, vcc_lo
	v_cmp_eq_u32_e32 vcc_lo, 5, v114
	;; [unrolled: 5-line block ×10, first 2 shown]
	v_cndmask_b32_e32 v60, v60, v55, vcc_lo
	v_cmp_eq_u32_e32 vcc_lo, 22, v114
	s_delay_alu instid0(VALU_DEP_2) | instskip(SKIP_2) | instid1(VALU_DEP_3)
	v_cndmask_b32_e32 v60, v60, v56, vcc_lo
	v_cmp_eq_u32_e32 vcc_lo, 23, v114
	v_add_nc_u64_e32 v[114:115], 1, v[114:115]
	v_cndmask_b32_e32 v60, v60, v57, vcc_lo
	v_cmp_eq_u32_e32 vcc_lo, 0, v58
	s_wait_dscnt 0x0
	s_delay_alu instid0(VALU_DEP_2) | instskip(SKIP_1) | instid1(SALU_CYCLE_1)
	v_fmac_f32_e32 v118, v60, v61
	s_or_b32 s2, vcc_lo, s2
	s_and_not1_b32 exec_lo, exec_lo, s2
	s_cbranch_execnz .LBB23_189
; %bb.190:
	s_or_b32 exec_lo, exec_lo, s2
.LBB23_191:
	s_delay_alu instid0(SALU_CYCLE_1)
	s_or_b32 exec_lo, exec_lo, s1
.LBB23_192:
	s_delay_alu instid0(SALU_CYCLE_1)
	s_or_b32 exec_lo, exec_lo, s5
	v_mov_b32_e32 v44, 0
	ds_load_b32 v44, v44 offset:40
	s_wait_dscnt 0x0
	v_mul_f32_e32 v44, v118, v44
.LBB23_193:
	s_or_b32 exec_lo, exec_lo, s4
	v_cmp_lt_u32_e64 s1, 9, v0
	ds_store_b32 v117, v43
	s_wait_dscnt 0x0
	s_barrier_signal -1
	s_barrier_wait -1
	s_and_saveexec_b32 s4, s1
	s_cbranch_execz .LBB23_209
; %bb.194:
	s_and_not1_b32 vcc_lo, exec_lo, s28
	s_cbranch_vccnz .LBB23_196
; %bb.195:
	v_cmp_eq_u32_e32 vcc_lo, 1, v0
	ds_load_b32 v115, v117
	v_cndmask_b32_e32 v114, v34, v35, vcc_lo
	v_cmp_eq_u32_e32 vcc_lo, 2, v0
	s_delay_alu instid0(VALU_DEP_2) | instskip(SKIP_1) | instid1(VALU_DEP_2)
	v_cndmask_b32_e32 v114, v114, v36, vcc_lo
	v_cmp_eq_u32_e32 vcc_lo, 3, v0
	v_cndmask_b32_e32 v114, v114, v37, vcc_lo
	v_cmp_eq_u32_e32 vcc_lo, 4, v0
	s_delay_alu instid0(VALU_DEP_2) | instskip(SKIP_1) | instid1(VALU_DEP_2)
	v_cndmask_b32_e32 v114, v114, v38, vcc_lo
	v_cmp_eq_u32_e32 vcc_lo, 5, v0
	;; [unrolled: 5-line block ×11, first 2 shown]
	v_cndmask_b32_e32 v114, v114, v57, vcc_lo
	s_wait_dscnt 0x0
	s_delay_alu instid0(VALU_DEP_1)
	v_mul_f32_e32 v118, v114, v115
	s_cbranch_execz .LBB23_197
	s_branch .LBB23_198
.LBB23_196:
                                        ; implicit-def: $vgpr118
.LBB23_197:
	ds_load_b32 v118, v117
.LBB23_198:
	s_and_saveexec_b32 s5, s0
	s_cbranch_execz .LBB23_208
; %bb.199:
	v_dual_add_nc_u32 v114, -11, v0 :: v_dual_add_nc_u32 v115, -10, v0
	s_delay_alu instid0(VALU_DEP_1)
	v_cmp_lt_u32_e32 vcc_lo, 6, v114
	v_mov_b32_e32 v114, 10
	s_and_saveexec_b32 s0, vcc_lo
	s_cbranch_execz .LBB23_203
; %bb.200:
	v_and_b32_e32 v114, -8, v115
	s_mov_b32 s6, 0
	s_mov_b64 s[2:3], 17
	s_movk_i32 s7, 0x88
	s_delay_alu instid0(VALU_DEP_1)
	v_sub_nc_u32_e32 v116, 0, v114
.LBB23_201:                             ; =>This Inner Loop Header: Depth=1
	s_add_co_i32 m0, s2, -7
	v_movrels_b32_e32 v114, v34
	v_mov_b32_e32 v119, s7
	s_add_co_i32 m0, s2, -6
	s_add_co_i32 s7, s7, 32
	ds_load_2addr_b64 v[120:123], v119 offset1:1
	s_wait_dscnt 0x0
	v_fmac_f32_e32 v118, v114, v120
	v_movrels_b32_e32 v114, v34
	s_add_co_i32 m0, s2, -5
	s_delay_alu instid0(VALU_DEP_1) | instskip(SKIP_2) | instid1(VALU_DEP_1)
	v_fmac_f32_e32 v118, v114, v121
	v_movrels_b32_e32 v114, v34
	s_add_co_i32 m0, s2, -4
	v_fmac_f32_e32 v118, v114, v122
	v_movrels_b32_e32 v114, v34
	s_add_co_i32 m0, s2, -3
	s_delay_alu instid0(VALU_DEP_1) | instskip(SKIP_4) | instid1(VALU_DEP_1)
	v_fmac_f32_e32 v118, v114, v123
	ds_load_2addr_b64 v[120:123], v119 offset0:2 offset1:3
	v_movrels_b32_e32 v114, v34
	s_add_co_i32 m0, s2, -2
	s_wait_dscnt 0x0
	v_fmac_f32_e32 v118, v114, v120
	v_movrels_b32_e32 v114, v34
	s_add_co_i32 m0, s2, -1
	s_delay_alu instid0(VALU_DEP_1) | instskip(SKIP_3) | instid1(SALU_CYCLE_1)
	v_fmac_f32_e32 v118, v114, v121
	v_movrels_b32_e32 v114, v34
	s_mov_b32 m0, s2
	s_add_nc_u64 s[2:3], s[2:3], 8
	s_add_co_i32 s8, s2, -7
	s_delay_alu instid0(VALU_DEP_1) | instskip(SKIP_1) | instid1(VALU_DEP_1)
	v_fmac_f32_e32 v118, v114, v122
	v_movrels_b32_e32 v114, v34
	v_dual_fmac_f32 v118, v114, v123 :: v_dual_add_nc_u32 v114, s2, v116
	s_delay_alu instid0(VALU_DEP_1) | instskip(SKIP_2) | instid1(SALU_CYCLE_1)
	v_cmp_eq_u32_e32 vcc_lo, 17, v114
	v_mov_b32_e32 v114, s8
	s_or_b32 s6, vcc_lo, s6
	s_and_not1_b32 exec_lo, exec_lo, s6
	s_cbranch_execnz .LBB23_201
; %bb.202:
	s_or_b32 exec_lo, exec_lo, s6
.LBB23_203:
	s_delay_alu instid0(SALU_CYCLE_1) | instskip(SKIP_3) | instid1(VALU_DEP_1)
	s_or_b32 exec_lo, exec_lo, s0
	v_and_b32_e32 v58, 7, v115
	s_mov_b32 s2, 0
	s_mov_b32 s0, exec_lo
	v_cmpx_ne_u32_e32 0, v58
	s_cbranch_execz .LBB23_207
; %bb.204:
	v_lshl_add_u32 v59, v114, 2, 0x60
	v_mov_b32_e32 v115, 0
.LBB23_205:                             ; =>This Inner Loop Header: Depth=1
	v_cmp_eq_u32_e32 vcc_lo, 1, v114
	ds_load_b32 v61, v59
	v_dual_add_nc_u32 v58, -1, v58 :: v_dual_add_nc_u32 v59, 4, v59
	v_cndmask_b32_e32 v60, v34, v35, vcc_lo
	v_cmp_eq_u32_e32 vcc_lo, 2, v114
	s_delay_alu instid0(VALU_DEP_2) | instskip(SKIP_1) | instid1(VALU_DEP_2)
	v_cndmask_b32_e32 v60, v60, v36, vcc_lo
	v_cmp_eq_u32_e32 vcc_lo, 3, v114
	v_cndmask_b32_e32 v60, v60, v37, vcc_lo
	v_cmp_eq_u32_e32 vcc_lo, 4, v114
	s_delay_alu instid0(VALU_DEP_2) | instskip(SKIP_1) | instid1(VALU_DEP_2)
	v_cndmask_b32_e32 v60, v60, v38, vcc_lo
	v_cmp_eq_u32_e32 vcc_lo, 5, v114
	;; [unrolled: 5-line block ×10, first 2 shown]
	v_cndmask_b32_e32 v60, v60, v55, vcc_lo
	v_cmp_eq_u32_e32 vcc_lo, 22, v114
	s_delay_alu instid0(VALU_DEP_2) | instskip(SKIP_2) | instid1(VALU_DEP_3)
	v_cndmask_b32_e32 v60, v60, v56, vcc_lo
	v_cmp_eq_u32_e32 vcc_lo, 23, v114
	v_add_nc_u64_e32 v[114:115], 1, v[114:115]
	v_cndmask_b32_e32 v60, v60, v57, vcc_lo
	v_cmp_eq_u32_e32 vcc_lo, 0, v58
	s_wait_dscnt 0x0
	s_delay_alu instid0(VALU_DEP_2) | instskip(SKIP_1) | instid1(SALU_CYCLE_1)
	v_fmac_f32_e32 v118, v60, v61
	s_or_b32 s2, vcc_lo, s2
	s_and_not1_b32 exec_lo, exec_lo, s2
	s_cbranch_execnz .LBB23_205
; %bb.206:
	s_or_b32 exec_lo, exec_lo, s2
.LBB23_207:
	s_delay_alu instid0(SALU_CYCLE_1)
	s_or_b32 exec_lo, exec_lo, s0
.LBB23_208:
	s_delay_alu instid0(SALU_CYCLE_1)
	s_or_b32 exec_lo, exec_lo, s5
	v_mov_b32_e32 v43, 0
	ds_load_b32 v43, v43 offset:36
	s_wait_dscnt 0x0
	v_mul_f32_e32 v43, v118, v43
.LBB23_209:
	s_or_b32 exec_lo, exec_lo, s4
	v_cmp_lt_u32_e64 s0, 8, v0
	ds_store_b32 v117, v42
	s_wait_dscnt 0x0
	s_barrier_signal -1
	s_barrier_wait -1
	s_and_saveexec_b32 s4, s0
	s_cbranch_execz .LBB23_225
; %bb.210:
	s_and_not1_b32 vcc_lo, exec_lo, s28
	s_cbranch_vccnz .LBB23_212
; %bb.211:
	v_cmp_eq_u32_e32 vcc_lo, 1, v0
	ds_load_b32 v115, v117
	v_cndmask_b32_e32 v114, v34, v35, vcc_lo
	v_cmp_eq_u32_e32 vcc_lo, 2, v0
	s_delay_alu instid0(VALU_DEP_2) | instskip(SKIP_1) | instid1(VALU_DEP_2)
	v_cndmask_b32_e32 v114, v114, v36, vcc_lo
	v_cmp_eq_u32_e32 vcc_lo, 3, v0
	v_cndmask_b32_e32 v114, v114, v37, vcc_lo
	v_cmp_eq_u32_e32 vcc_lo, 4, v0
	s_delay_alu instid0(VALU_DEP_2) | instskip(SKIP_1) | instid1(VALU_DEP_2)
	v_cndmask_b32_e32 v114, v114, v38, vcc_lo
	v_cmp_eq_u32_e32 vcc_lo, 5, v0
	;; [unrolled: 5-line block ×11, first 2 shown]
	v_cndmask_b32_e32 v114, v114, v57, vcc_lo
	s_wait_dscnt 0x0
	s_delay_alu instid0(VALU_DEP_1)
	v_mul_f32_e32 v118, v114, v115
	s_cbranch_execz .LBB23_213
	s_branch .LBB23_214
.LBB23_212:
                                        ; implicit-def: $vgpr118
.LBB23_213:
	ds_load_b32 v118, v117
.LBB23_214:
	s_and_saveexec_b32 s5, s1
	s_cbranch_execz .LBB23_224
; %bb.215:
	v_dual_add_nc_u32 v114, -10, v0 :: v_dual_add_nc_u32 v115, -9, v0
	s_delay_alu instid0(VALU_DEP_1)
	v_cmp_lt_u32_e32 vcc_lo, 6, v114
	v_mov_b32_e32 v114, 9
	s_and_saveexec_b32 s1, vcc_lo
	s_cbranch_execz .LBB23_219
; %bb.216:
	v_and_b32_e32 v114, -8, v115
	s_mov_b32 s6, 0
	s_mov_b64 s[2:3], 16
	s_movk_i32 s7, 0x84
	s_delay_alu instid0(VALU_DEP_1)
	v_sub_nc_u32_e32 v116, 0, v114
.LBB23_217:                             ; =>This Inner Loop Header: Depth=1
	s_add_co_i32 m0, s2, -7
	v_movrels_b32_e32 v114, v34
	v_mov_b32_e32 v119, s7
	s_add_co_i32 m0, s2, -6
	s_add_co_i32 s7, s7, 32
	ds_load_2addr_b32 v[120:121], v119 offset1:1
	s_wait_dscnt 0x0
	v_fmac_f32_e32 v118, v114, v120
	v_movrels_b32_e32 v114, v34
	s_add_co_i32 m0, s2, -5
	s_delay_alu instid0(VALU_DEP_1) | instskip(SKIP_4) | instid1(VALU_DEP_1)
	v_fmac_f32_e32 v118, v114, v121
	ds_load_2addr_b32 v[120:121], v119 offset0:2 offset1:3
	v_movrels_b32_e32 v114, v34
	s_add_co_i32 m0, s2, -4
	s_wait_dscnt 0x0
	v_fmac_f32_e32 v118, v114, v120
	v_movrels_b32_e32 v114, v34
	s_add_co_i32 m0, s2, -3
	s_delay_alu instid0(VALU_DEP_1) | instskip(SKIP_4) | instid1(VALU_DEP_1)
	v_fmac_f32_e32 v118, v114, v121
	ds_load_2addr_b32 v[120:121], v119 offset0:4 offset1:5
	v_movrels_b32_e32 v114, v34
	s_add_co_i32 m0, s2, -2
	s_wait_dscnt 0x0
	v_fmac_f32_e32 v118, v114, v120
	v_movrels_b32_e32 v114, v34
	s_add_co_i32 m0, s2, -1
	s_delay_alu instid0(VALU_DEP_1) | instskip(SKIP_4) | instid1(SALU_CYCLE_1)
	v_fmac_f32_e32 v118, v114, v121
	ds_load_2addr_b32 v[120:121], v119 offset0:6 offset1:7
	v_movrels_b32_e32 v114, v34
	s_mov_b32 m0, s2
	s_add_nc_u64 s[2:3], s[2:3], 8
	s_add_co_i32 s8, s2, -7
	s_wait_dscnt 0x0
	v_fmac_f32_e32 v118, v114, v120
	v_movrels_b32_e32 v114, v34
	s_delay_alu instid0(VALU_DEP_1) | instskip(NEXT) | instid1(VALU_DEP_1)
	v_dual_fmac_f32 v118, v114, v121 :: v_dual_add_nc_u32 v114, s2, v116
	v_cmp_eq_u32_e32 vcc_lo, 16, v114
	v_mov_b32_e32 v114, s8
	s_or_b32 s6, vcc_lo, s6
	s_delay_alu instid0(SALU_CYCLE_1)
	s_and_not1_b32 exec_lo, exec_lo, s6
	s_cbranch_execnz .LBB23_217
; %bb.218:
	s_or_b32 exec_lo, exec_lo, s6
.LBB23_219:
	s_delay_alu instid0(SALU_CYCLE_1) | instskip(SKIP_3) | instid1(VALU_DEP_1)
	s_or_b32 exec_lo, exec_lo, s1
	v_and_b32_e32 v58, 7, v115
	s_mov_b32 s2, 0
	s_mov_b32 s1, exec_lo
	v_cmpx_ne_u32_e32 0, v58
	s_cbranch_execz .LBB23_223
; %bb.220:
	v_lshl_add_u32 v59, v114, 2, 0x60
	v_mov_b32_e32 v115, 0
.LBB23_221:                             ; =>This Inner Loop Header: Depth=1
	v_cmp_eq_u32_e32 vcc_lo, 1, v114
	ds_load_b32 v61, v59
	v_dual_add_nc_u32 v58, -1, v58 :: v_dual_add_nc_u32 v59, 4, v59
	v_cndmask_b32_e32 v60, v34, v35, vcc_lo
	v_cmp_eq_u32_e32 vcc_lo, 2, v114
	s_delay_alu instid0(VALU_DEP_2) | instskip(SKIP_1) | instid1(VALU_DEP_2)
	v_cndmask_b32_e32 v60, v60, v36, vcc_lo
	v_cmp_eq_u32_e32 vcc_lo, 3, v114
	v_cndmask_b32_e32 v60, v60, v37, vcc_lo
	v_cmp_eq_u32_e32 vcc_lo, 4, v114
	s_delay_alu instid0(VALU_DEP_2) | instskip(SKIP_1) | instid1(VALU_DEP_2)
	v_cndmask_b32_e32 v60, v60, v38, vcc_lo
	v_cmp_eq_u32_e32 vcc_lo, 5, v114
	;; [unrolled: 5-line block ×10, first 2 shown]
	v_cndmask_b32_e32 v60, v60, v55, vcc_lo
	v_cmp_eq_u32_e32 vcc_lo, 22, v114
	s_delay_alu instid0(VALU_DEP_2) | instskip(SKIP_2) | instid1(VALU_DEP_3)
	v_cndmask_b32_e32 v60, v60, v56, vcc_lo
	v_cmp_eq_u32_e32 vcc_lo, 23, v114
	v_add_nc_u64_e32 v[114:115], 1, v[114:115]
	v_cndmask_b32_e32 v60, v60, v57, vcc_lo
	v_cmp_eq_u32_e32 vcc_lo, 0, v58
	s_wait_dscnt 0x0
	s_delay_alu instid0(VALU_DEP_2) | instskip(SKIP_1) | instid1(SALU_CYCLE_1)
	v_fmac_f32_e32 v118, v60, v61
	s_or_b32 s2, vcc_lo, s2
	s_and_not1_b32 exec_lo, exec_lo, s2
	s_cbranch_execnz .LBB23_221
; %bb.222:
	s_or_b32 exec_lo, exec_lo, s2
.LBB23_223:
	s_delay_alu instid0(SALU_CYCLE_1)
	s_or_b32 exec_lo, exec_lo, s1
.LBB23_224:
	s_delay_alu instid0(SALU_CYCLE_1)
	s_or_b32 exec_lo, exec_lo, s5
	v_mov_b32_e32 v42, 0
	ds_load_b32 v42, v42 offset:32
	s_wait_dscnt 0x0
	v_mul_f32_e32 v42, v118, v42
.LBB23_225:
	s_or_b32 exec_lo, exec_lo, s4
	v_cmp_lt_u32_e64 s1, 7, v0
	ds_store_b32 v117, v41
	s_wait_dscnt 0x0
	s_barrier_signal -1
	s_barrier_wait -1
	s_and_saveexec_b32 s4, s1
	s_cbranch_execz .LBB23_241
; %bb.226:
	s_and_not1_b32 vcc_lo, exec_lo, s28
	s_cbranch_vccnz .LBB23_228
; %bb.227:
	v_cmp_eq_u32_e32 vcc_lo, 1, v0
	ds_load_b32 v115, v117
	v_cndmask_b32_e32 v114, v34, v35, vcc_lo
	v_cmp_eq_u32_e32 vcc_lo, 2, v0
	s_delay_alu instid0(VALU_DEP_2) | instskip(SKIP_1) | instid1(VALU_DEP_2)
	v_cndmask_b32_e32 v114, v114, v36, vcc_lo
	v_cmp_eq_u32_e32 vcc_lo, 3, v0
	v_cndmask_b32_e32 v114, v114, v37, vcc_lo
	v_cmp_eq_u32_e32 vcc_lo, 4, v0
	s_delay_alu instid0(VALU_DEP_2) | instskip(SKIP_1) | instid1(VALU_DEP_2)
	v_cndmask_b32_e32 v114, v114, v38, vcc_lo
	v_cmp_eq_u32_e32 vcc_lo, 5, v0
	;; [unrolled: 5-line block ×11, first 2 shown]
	v_cndmask_b32_e32 v114, v114, v57, vcc_lo
	s_wait_dscnt 0x0
	s_delay_alu instid0(VALU_DEP_1)
	v_mul_f32_e32 v118, v114, v115
	s_cbranch_execz .LBB23_229
	s_branch .LBB23_230
.LBB23_228:
                                        ; implicit-def: $vgpr118
.LBB23_229:
	ds_load_b32 v118, v117
.LBB23_230:
	s_and_saveexec_b32 s5, s0
	s_cbranch_execz .LBB23_240
; %bb.231:
	v_add_nc_u32_e32 v114, -9, v0
	s_delay_alu instid0(VALU_DEP_1)
	v_cmp_lt_u32_e32 vcc_lo, 6, v114
	v_mov_b32_e32 v114, 8
	s_and_saveexec_b32 s0, vcc_lo
	s_cbranch_execz .LBB23_235
; %bb.232:
	v_and_b32_e32 v114, 24, v0
	s_mov_b32 s6, 0
	s_mov_b64 s[2:3], 15
	s_movk_i32 s7, 0x80
	s_delay_alu instid0(VALU_DEP_1)
	v_sub_nc_u32_e32 v116, 0, v114
.LBB23_233:                             ; =>This Inner Loop Header: Depth=1
	s_add_co_i32 m0, s2, -7
	v_movrels_b32_e32 v115, v34
	v_mov_b32_e32 v114, s7
	s_add_co_i32 m0, s2, -6
	s_add_co_i32 s7, s7, 32
	v_movrels_b32_e32 v119, v34
	s_add_co_i32 m0, s2, -5
	ds_load_b128 v[120:123], v114
	ds_load_b128 v[124:127], v114 offset:16
	v_movrels_b32_e32 v114, v34
	s_add_co_i32 m0, s2, -4
	s_wait_dscnt 0x1
	v_fmac_f32_e32 v118, v115, v120
	v_movrels_b32_e32 v115, v34
	s_add_co_i32 m0, s2, -3
	s_delay_alu instid0(VALU_DEP_2) | instskip(NEXT) | instid1(VALU_DEP_1)
	v_fmac_f32_e32 v118, v119, v121
	v_fmac_f32_e32 v118, v114, v122
	v_movrels_b32_e32 v114, v34
	s_add_co_i32 m0, s2, -2
	s_delay_alu instid0(VALU_DEP_2) | instskip(SKIP_3) | instid1(VALU_DEP_2)
	v_fmac_f32_e32 v118, v115, v123
	v_movrels_b32_e32 v115, v34
	s_add_co_i32 m0, s2, -1
	s_wait_dscnt 0x0
	v_fmac_f32_e32 v118, v114, v124
	v_movrels_b32_e32 v114, v34
	s_mov_b32 m0, s2
	s_add_nc_u64 s[2:3], s[2:3], 8
	v_movrels_b32_e32 v119, v34
	v_dual_fmac_f32 v118, v115, v125 :: v_dual_add_nc_u32 v115, s2, v116
	s_add_co_i32 s8, s2, -7
	s_delay_alu instid0(VALU_DEP_1) | instskip(NEXT) | instid1(VALU_DEP_2)
	v_fmac_f32_e32 v118, v114, v126
	v_cmp_eq_u32_e32 vcc_lo, 7, v115
	s_delay_alu instid0(VALU_DEP_2) | instskip(SKIP_1) | instid1(SALU_CYCLE_1)
	v_dual_mov_b32 v114, s8 :: v_dual_fmac_f32 v118, v119, v127
	s_or_b32 s6, vcc_lo, s6
	s_and_not1_b32 exec_lo, exec_lo, s6
	s_cbranch_execnz .LBB23_233
; %bb.234:
	s_or_b32 exec_lo, exec_lo, s6
.LBB23_235:
	s_delay_alu instid0(SALU_CYCLE_1) | instskip(SKIP_3) | instid1(VALU_DEP_1)
	s_or_b32 exec_lo, exec_lo, s0
	v_and_b32_e32 v58, 7, v0
	s_mov_b32 s2, 0
	s_mov_b32 s0, exec_lo
	v_cmpx_ne_u32_e32 0, v58
	s_cbranch_execz .LBB23_239
; %bb.236:
	v_lshl_add_u32 v59, v114, 2, 0x60
	v_mov_b32_e32 v115, 0
.LBB23_237:                             ; =>This Inner Loop Header: Depth=1
	v_cmp_eq_u32_e32 vcc_lo, 1, v114
	ds_load_b32 v61, v59
	v_dual_add_nc_u32 v58, -1, v58 :: v_dual_add_nc_u32 v59, 4, v59
	v_cndmask_b32_e32 v60, v34, v35, vcc_lo
	v_cmp_eq_u32_e32 vcc_lo, 2, v114
	s_delay_alu instid0(VALU_DEP_2) | instskip(SKIP_1) | instid1(VALU_DEP_2)
	v_cndmask_b32_e32 v60, v60, v36, vcc_lo
	v_cmp_eq_u32_e32 vcc_lo, 3, v114
	v_cndmask_b32_e32 v60, v60, v37, vcc_lo
	v_cmp_eq_u32_e32 vcc_lo, 4, v114
	s_delay_alu instid0(VALU_DEP_2) | instskip(SKIP_1) | instid1(VALU_DEP_2)
	v_cndmask_b32_e32 v60, v60, v38, vcc_lo
	v_cmp_eq_u32_e32 vcc_lo, 5, v114
	;; [unrolled: 5-line block ×10, first 2 shown]
	v_cndmask_b32_e32 v60, v60, v55, vcc_lo
	v_cmp_eq_u32_e32 vcc_lo, 22, v114
	s_delay_alu instid0(VALU_DEP_2) | instskip(SKIP_2) | instid1(VALU_DEP_3)
	v_cndmask_b32_e32 v60, v60, v56, vcc_lo
	v_cmp_eq_u32_e32 vcc_lo, 23, v114
	v_add_nc_u64_e32 v[114:115], 1, v[114:115]
	v_cndmask_b32_e32 v60, v60, v57, vcc_lo
	v_cmp_eq_u32_e32 vcc_lo, 0, v58
	s_wait_dscnt 0x0
	s_delay_alu instid0(VALU_DEP_2) | instskip(SKIP_1) | instid1(SALU_CYCLE_1)
	v_fmac_f32_e32 v118, v60, v61
	s_or_b32 s2, vcc_lo, s2
	s_and_not1_b32 exec_lo, exec_lo, s2
	s_cbranch_execnz .LBB23_237
; %bb.238:
	s_or_b32 exec_lo, exec_lo, s2
.LBB23_239:
	s_delay_alu instid0(SALU_CYCLE_1)
	s_or_b32 exec_lo, exec_lo, s0
.LBB23_240:
	s_delay_alu instid0(SALU_CYCLE_1)
	s_or_b32 exec_lo, exec_lo, s5
	v_mov_b32_e32 v41, 0
	ds_load_b32 v41, v41 offset:28
	s_wait_dscnt 0x0
	v_mul_f32_e32 v41, v118, v41
.LBB23_241:
	s_or_b32 exec_lo, exec_lo, s4
	v_cmp_lt_u32_e64 s0, 6, v0
	ds_store_b32 v117, v40
	s_wait_dscnt 0x0
	s_barrier_signal -1
	s_barrier_wait -1
	s_and_saveexec_b32 s4, s0
	s_cbranch_execz .LBB23_257
; %bb.242:
	s_and_not1_b32 vcc_lo, exec_lo, s28
	s_cbranch_vccnz .LBB23_244
; %bb.243:
	v_cmp_eq_u32_e32 vcc_lo, 1, v0
	ds_load_b32 v115, v117
	v_cndmask_b32_e32 v114, v34, v35, vcc_lo
	v_cmp_eq_u32_e32 vcc_lo, 2, v0
	s_delay_alu instid0(VALU_DEP_2) | instskip(SKIP_1) | instid1(VALU_DEP_2)
	v_cndmask_b32_e32 v114, v114, v36, vcc_lo
	v_cmp_eq_u32_e32 vcc_lo, 3, v0
	v_cndmask_b32_e32 v114, v114, v37, vcc_lo
	v_cmp_eq_u32_e32 vcc_lo, 4, v0
	s_delay_alu instid0(VALU_DEP_2) | instskip(SKIP_1) | instid1(VALU_DEP_2)
	v_cndmask_b32_e32 v114, v114, v38, vcc_lo
	v_cmp_eq_u32_e32 vcc_lo, 5, v0
	;; [unrolled: 5-line block ×11, first 2 shown]
	v_cndmask_b32_e32 v114, v114, v57, vcc_lo
	s_wait_dscnt 0x0
	s_delay_alu instid0(VALU_DEP_1)
	v_mul_f32_e32 v118, v114, v115
	s_cbranch_execz .LBB23_245
	s_branch .LBB23_246
.LBB23_244:
                                        ; implicit-def: $vgpr118
.LBB23_245:
	ds_load_b32 v118, v117
.LBB23_246:
	s_and_saveexec_b32 s5, s1
	s_cbranch_execz .LBB23_256
; %bb.247:
	v_dual_add_nc_u32 v114, -8, v0 :: v_dual_add_nc_u32 v115, -7, v0
	s_delay_alu instid0(VALU_DEP_1)
	v_cmp_lt_u32_e32 vcc_lo, 6, v114
	v_mov_b32_e32 v114, 7
	s_and_saveexec_b32 s1, vcc_lo
	s_cbranch_execz .LBB23_251
; %bb.248:
	v_and_b32_e32 v114, -8, v115
	s_mov_b32 s6, 0
	s_mov_b64 s[2:3], 14
	s_movk_i32 s7, 0x7c
	s_delay_alu instid0(VALU_DEP_1)
	v_sub_nc_u32_e32 v116, 0, v114
.LBB23_249:                             ; =>This Inner Loop Header: Depth=1
	s_add_co_i32 m0, s2, -7
	v_movrels_b32_e32 v114, v34
	v_mov_b32_e32 v119, s7
	s_add_co_i32 m0, s2, -6
	s_add_co_i32 s7, s7, 32
	ds_load_2addr_b32 v[120:121], v119 offset1:1
	s_wait_dscnt 0x0
	v_fmac_f32_e32 v118, v114, v120
	v_movrels_b32_e32 v114, v34
	s_add_co_i32 m0, s2, -5
	s_delay_alu instid0(VALU_DEP_1) | instskip(SKIP_4) | instid1(VALU_DEP_1)
	v_fmac_f32_e32 v118, v114, v121
	ds_load_2addr_b32 v[120:121], v119 offset0:2 offset1:3
	v_movrels_b32_e32 v114, v34
	s_add_co_i32 m0, s2, -4
	s_wait_dscnt 0x0
	v_fmac_f32_e32 v118, v114, v120
	v_movrels_b32_e32 v114, v34
	s_add_co_i32 m0, s2, -3
	s_delay_alu instid0(VALU_DEP_1) | instskip(SKIP_4) | instid1(VALU_DEP_1)
	v_fmac_f32_e32 v118, v114, v121
	ds_load_2addr_b32 v[120:121], v119 offset0:4 offset1:5
	v_movrels_b32_e32 v114, v34
	s_add_co_i32 m0, s2, -2
	s_wait_dscnt 0x0
	v_fmac_f32_e32 v118, v114, v120
	v_movrels_b32_e32 v114, v34
	s_add_co_i32 m0, s2, -1
	s_delay_alu instid0(VALU_DEP_1) | instskip(SKIP_4) | instid1(SALU_CYCLE_1)
	v_fmac_f32_e32 v118, v114, v121
	ds_load_2addr_b32 v[120:121], v119 offset0:6 offset1:7
	v_movrels_b32_e32 v114, v34
	s_mov_b32 m0, s2
	s_add_nc_u64 s[2:3], s[2:3], 8
	s_add_co_i32 s8, s2, -7
	s_wait_dscnt 0x0
	v_fmac_f32_e32 v118, v114, v120
	v_movrels_b32_e32 v114, v34
	s_delay_alu instid0(VALU_DEP_1) | instskip(NEXT) | instid1(VALU_DEP_1)
	v_dual_fmac_f32 v118, v114, v121 :: v_dual_add_nc_u32 v114, s2, v116
	v_cmp_eq_u32_e32 vcc_lo, 14, v114
	v_mov_b32_e32 v114, s8
	s_or_b32 s6, vcc_lo, s6
	s_delay_alu instid0(SALU_CYCLE_1)
	s_and_not1_b32 exec_lo, exec_lo, s6
	s_cbranch_execnz .LBB23_249
; %bb.250:
	s_or_b32 exec_lo, exec_lo, s6
.LBB23_251:
	s_delay_alu instid0(SALU_CYCLE_1) | instskip(SKIP_3) | instid1(VALU_DEP_1)
	s_or_b32 exec_lo, exec_lo, s1
	v_and_b32_e32 v58, 7, v115
	s_mov_b32 s2, 0
	s_mov_b32 s1, exec_lo
	v_cmpx_ne_u32_e32 0, v58
	s_cbranch_execz .LBB23_255
; %bb.252:
	v_lshl_add_u32 v59, v114, 2, 0x60
	v_mov_b32_e32 v115, 0
.LBB23_253:                             ; =>This Inner Loop Header: Depth=1
	v_cmp_eq_u32_e32 vcc_lo, 1, v114
	ds_load_b32 v61, v59
	v_dual_add_nc_u32 v58, -1, v58 :: v_dual_add_nc_u32 v59, 4, v59
	v_cndmask_b32_e32 v60, v34, v35, vcc_lo
	v_cmp_eq_u32_e32 vcc_lo, 2, v114
	s_delay_alu instid0(VALU_DEP_2) | instskip(SKIP_1) | instid1(VALU_DEP_2)
	v_cndmask_b32_e32 v60, v60, v36, vcc_lo
	v_cmp_eq_u32_e32 vcc_lo, 3, v114
	v_cndmask_b32_e32 v60, v60, v37, vcc_lo
	v_cmp_eq_u32_e32 vcc_lo, 4, v114
	s_delay_alu instid0(VALU_DEP_2) | instskip(SKIP_1) | instid1(VALU_DEP_2)
	v_cndmask_b32_e32 v60, v60, v38, vcc_lo
	v_cmp_eq_u32_e32 vcc_lo, 5, v114
	;; [unrolled: 5-line block ×10, first 2 shown]
	v_cndmask_b32_e32 v60, v60, v55, vcc_lo
	v_cmp_eq_u32_e32 vcc_lo, 22, v114
	s_delay_alu instid0(VALU_DEP_2) | instskip(SKIP_2) | instid1(VALU_DEP_3)
	v_cndmask_b32_e32 v60, v60, v56, vcc_lo
	v_cmp_eq_u32_e32 vcc_lo, 23, v114
	v_add_nc_u64_e32 v[114:115], 1, v[114:115]
	v_cndmask_b32_e32 v60, v60, v57, vcc_lo
	v_cmp_eq_u32_e32 vcc_lo, 0, v58
	s_wait_dscnt 0x0
	s_delay_alu instid0(VALU_DEP_2) | instskip(SKIP_1) | instid1(SALU_CYCLE_1)
	v_fmac_f32_e32 v118, v60, v61
	s_or_b32 s2, vcc_lo, s2
	s_and_not1_b32 exec_lo, exec_lo, s2
	s_cbranch_execnz .LBB23_253
; %bb.254:
	s_or_b32 exec_lo, exec_lo, s2
.LBB23_255:
	s_delay_alu instid0(SALU_CYCLE_1)
	s_or_b32 exec_lo, exec_lo, s1
.LBB23_256:
	s_delay_alu instid0(SALU_CYCLE_1)
	s_or_b32 exec_lo, exec_lo, s5
	v_mov_b32_e32 v40, 0
	ds_load_b32 v40, v40 offset:24
	s_wait_dscnt 0x0
	v_mul_f32_e32 v40, v118, v40
.LBB23_257:
	s_or_b32 exec_lo, exec_lo, s4
	v_cmp_lt_u32_e64 s1, 5, v0
	ds_store_b32 v117, v39
	s_wait_dscnt 0x0
	s_barrier_signal -1
	s_barrier_wait -1
	s_and_saveexec_b32 s4, s1
	s_cbranch_execz .LBB23_273
; %bb.258:
	s_and_not1_b32 vcc_lo, exec_lo, s28
	s_cbranch_vccnz .LBB23_260
; %bb.259:
	v_cmp_eq_u32_e32 vcc_lo, 1, v0
	ds_load_b32 v115, v117
	v_cndmask_b32_e32 v114, v34, v35, vcc_lo
	v_cmp_eq_u32_e32 vcc_lo, 2, v0
	s_delay_alu instid0(VALU_DEP_2) | instskip(SKIP_1) | instid1(VALU_DEP_2)
	v_cndmask_b32_e32 v114, v114, v36, vcc_lo
	v_cmp_eq_u32_e32 vcc_lo, 3, v0
	v_cndmask_b32_e32 v114, v114, v37, vcc_lo
	v_cmp_eq_u32_e32 vcc_lo, 4, v0
	s_delay_alu instid0(VALU_DEP_2) | instskip(SKIP_1) | instid1(VALU_DEP_2)
	v_cndmask_b32_e32 v114, v114, v38, vcc_lo
	v_cmp_eq_u32_e32 vcc_lo, 5, v0
	;; [unrolled: 5-line block ×11, first 2 shown]
	v_cndmask_b32_e32 v114, v114, v57, vcc_lo
	s_wait_dscnt 0x0
	s_delay_alu instid0(VALU_DEP_1)
	v_mul_f32_e32 v118, v114, v115
	s_cbranch_execz .LBB23_261
	s_branch .LBB23_262
.LBB23_260:
                                        ; implicit-def: $vgpr118
.LBB23_261:
	ds_load_b32 v118, v117
.LBB23_262:
	s_and_saveexec_b32 s5, s0
	s_cbranch_execz .LBB23_272
; %bb.263:
	v_dual_add_nc_u32 v116, -7, v0 :: v_dual_add_nc_u32 v115, -6, v0
	v_mov_b32_e32 v114, 6
	s_mov_b32 s0, exec_lo
	s_delay_alu instid0(VALU_DEP_2)
	v_cmpx_lt_u32_e32 6, v116
	s_cbranch_execz .LBB23_267
; %bb.264:
	v_and_b32_e32 v114, -8, v115
	s_mov_b32 s6, 0
	s_mov_b64 s[2:3], 13
	s_movk_i32 s7, 0x78
	s_delay_alu instid0(VALU_DEP_1)
	v_sub_nc_u32_e32 v116, 0, v114
.LBB23_265:                             ; =>This Inner Loop Header: Depth=1
	s_add_co_i32 m0, s2, -7
	v_movrels_b32_e32 v114, v34
	v_mov_b32_e32 v119, s7
	s_add_co_i32 m0, s2, -6
	s_add_co_i32 s7, s7, 32
	ds_load_2addr_b64 v[120:123], v119 offset1:1
	s_wait_dscnt 0x0
	v_fmac_f32_e32 v118, v114, v120
	v_movrels_b32_e32 v114, v34
	s_add_co_i32 m0, s2, -5
	s_delay_alu instid0(VALU_DEP_1) | instskip(SKIP_2) | instid1(VALU_DEP_1)
	v_fmac_f32_e32 v118, v114, v121
	v_movrels_b32_e32 v114, v34
	s_add_co_i32 m0, s2, -4
	v_fmac_f32_e32 v118, v114, v122
	v_movrels_b32_e32 v114, v34
	s_add_co_i32 m0, s2, -3
	s_delay_alu instid0(VALU_DEP_1) | instskip(SKIP_4) | instid1(VALU_DEP_1)
	v_fmac_f32_e32 v118, v114, v123
	ds_load_2addr_b64 v[120:123], v119 offset0:2 offset1:3
	v_movrels_b32_e32 v114, v34
	s_add_co_i32 m0, s2, -2
	s_wait_dscnt 0x0
	v_fmac_f32_e32 v118, v114, v120
	v_movrels_b32_e32 v114, v34
	s_add_co_i32 m0, s2, -1
	s_delay_alu instid0(VALU_DEP_1) | instskip(SKIP_3) | instid1(SALU_CYCLE_1)
	v_fmac_f32_e32 v118, v114, v121
	v_movrels_b32_e32 v114, v34
	s_mov_b32 m0, s2
	s_add_nc_u64 s[2:3], s[2:3], 8
	s_add_co_i32 s8, s2, -7
	s_delay_alu instid0(VALU_DEP_1) | instskip(SKIP_1) | instid1(VALU_DEP_1)
	v_fmac_f32_e32 v118, v114, v122
	v_movrels_b32_e32 v114, v34
	v_dual_fmac_f32 v118, v114, v123 :: v_dual_add_nc_u32 v114, s2, v116
	s_delay_alu instid0(VALU_DEP_1) | instskip(SKIP_2) | instid1(SALU_CYCLE_1)
	v_cmp_eq_u32_e32 vcc_lo, 13, v114
	v_mov_b32_e32 v114, s8
	s_or_b32 s6, vcc_lo, s6
	s_and_not1_b32 exec_lo, exec_lo, s6
	s_cbranch_execnz .LBB23_265
; %bb.266:
	s_or_b32 exec_lo, exec_lo, s6
.LBB23_267:
	s_delay_alu instid0(SALU_CYCLE_1) | instskip(SKIP_3) | instid1(VALU_DEP_1)
	s_or_b32 exec_lo, exec_lo, s0
	v_and_b32_e32 v58, 7, v115
	s_mov_b32 s2, 0
	s_mov_b32 s0, exec_lo
	v_cmpx_ne_u32_e32 0, v58
	s_cbranch_execz .LBB23_271
; %bb.268:
	v_lshl_add_u32 v59, v114, 2, 0x60
	v_mov_b32_e32 v115, 0
.LBB23_269:                             ; =>This Inner Loop Header: Depth=1
	v_cmp_eq_u32_e32 vcc_lo, 1, v114
	ds_load_b32 v61, v59
	v_dual_add_nc_u32 v58, -1, v58 :: v_dual_add_nc_u32 v59, 4, v59
	v_cndmask_b32_e32 v60, v34, v35, vcc_lo
	v_cmp_eq_u32_e32 vcc_lo, 2, v114
	s_delay_alu instid0(VALU_DEP_2) | instskip(SKIP_1) | instid1(VALU_DEP_2)
	v_cndmask_b32_e32 v60, v60, v36, vcc_lo
	v_cmp_eq_u32_e32 vcc_lo, 3, v114
	v_cndmask_b32_e32 v60, v60, v37, vcc_lo
	v_cmp_eq_u32_e32 vcc_lo, 4, v114
	s_delay_alu instid0(VALU_DEP_2) | instskip(SKIP_1) | instid1(VALU_DEP_2)
	v_cndmask_b32_e32 v60, v60, v38, vcc_lo
	v_cmp_eq_u32_e32 vcc_lo, 5, v114
	;; [unrolled: 5-line block ×10, first 2 shown]
	v_cndmask_b32_e32 v60, v60, v55, vcc_lo
	v_cmp_eq_u32_e32 vcc_lo, 22, v114
	s_delay_alu instid0(VALU_DEP_2) | instskip(SKIP_2) | instid1(VALU_DEP_3)
	v_cndmask_b32_e32 v60, v60, v56, vcc_lo
	v_cmp_eq_u32_e32 vcc_lo, 23, v114
	v_add_nc_u64_e32 v[114:115], 1, v[114:115]
	v_cndmask_b32_e32 v60, v60, v57, vcc_lo
	v_cmp_eq_u32_e32 vcc_lo, 0, v58
	s_wait_dscnt 0x0
	s_delay_alu instid0(VALU_DEP_2) | instskip(SKIP_1) | instid1(SALU_CYCLE_1)
	v_fmac_f32_e32 v118, v60, v61
	s_or_b32 s2, vcc_lo, s2
	s_and_not1_b32 exec_lo, exec_lo, s2
	s_cbranch_execnz .LBB23_269
; %bb.270:
	s_or_b32 exec_lo, exec_lo, s2
.LBB23_271:
	s_delay_alu instid0(SALU_CYCLE_1)
	s_or_b32 exec_lo, exec_lo, s0
.LBB23_272:
	s_delay_alu instid0(SALU_CYCLE_1)
	s_or_b32 exec_lo, exec_lo, s5
	v_mov_b32_e32 v39, 0
	ds_load_b32 v39, v39 offset:20
	s_wait_dscnt 0x0
	v_mul_f32_e32 v39, v118, v39
.LBB23_273:
	s_or_b32 exec_lo, exec_lo, s4
	v_cmp_lt_u32_e64 s0, 4, v0
	ds_store_b32 v117, v38
	s_wait_dscnt 0x0
	s_barrier_signal -1
	s_barrier_wait -1
	s_and_saveexec_b32 s4, s0
	s_cbranch_execz .LBB23_289
; %bb.274:
	s_and_not1_b32 vcc_lo, exec_lo, s28
	s_cbranch_vccnz .LBB23_276
; %bb.275:
	v_cmp_eq_u32_e32 vcc_lo, 1, v0
	ds_load_b32 v115, v117
	v_cndmask_b32_e32 v114, v34, v35, vcc_lo
	v_cmp_eq_u32_e32 vcc_lo, 2, v0
	s_delay_alu instid0(VALU_DEP_2) | instskip(SKIP_1) | instid1(VALU_DEP_2)
	v_cndmask_b32_e32 v114, v114, v36, vcc_lo
	v_cmp_eq_u32_e32 vcc_lo, 3, v0
	v_cndmask_b32_e32 v114, v114, v37, vcc_lo
	v_cmp_eq_u32_e32 vcc_lo, 4, v0
	s_delay_alu instid0(VALU_DEP_2) | instskip(SKIP_1) | instid1(VALU_DEP_2)
	v_cndmask_b32_e32 v114, v114, v38, vcc_lo
	v_cmp_eq_u32_e32 vcc_lo, 5, v0
	;; [unrolled: 5-line block ×11, first 2 shown]
	v_cndmask_b32_e32 v114, v114, v57, vcc_lo
	s_wait_dscnt 0x0
	s_delay_alu instid0(VALU_DEP_1)
	v_mul_f32_e32 v118, v114, v115
	s_cbranch_execz .LBB23_277
	s_branch .LBB23_278
.LBB23_276:
                                        ; implicit-def: $vgpr118
.LBB23_277:
	ds_load_b32 v118, v117
.LBB23_278:
	s_and_saveexec_b32 s5, s1
	s_cbranch_execz .LBB23_288
; %bb.279:
	v_dual_add_nc_u32 v114, -6, v0 :: v_dual_add_nc_u32 v115, -5, v0
	s_delay_alu instid0(VALU_DEP_1)
	v_cmp_lt_u32_e32 vcc_lo, 6, v114
	v_mov_b32_e32 v114, 5
	s_and_saveexec_b32 s1, vcc_lo
	s_cbranch_execz .LBB23_283
; %bb.280:
	v_and_b32_e32 v114, -8, v115
	s_mov_b32 s6, 0
	s_mov_b64 s[2:3], 12
	s_movk_i32 s7, 0x74
	s_delay_alu instid0(VALU_DEP_1)
	v_sub_nc_u32_e32 v116, 0, v114
.LBB23_281:                             ; =>This Inner Loop Header: Depth=1
	s_add_co_i32 m0, s2, -7
	v_movrels_b32_e32 v114, v34
	v_mov_b32_e32 v119, s7
	s_add_co_i32 m0, s2, -6
	s_add_co_i32 s7, s7, 32
	ds_load_2addr_b32 v[120:121], v119 offset1:1
	s_wait_dscnt 0x0
	v_fmac_f32_e32 v118, v114, v120
	v_movrels_b32_e32 v114, v34
	s_add_co_i32 m0, s2, -5
	s_delay_alu instid0(VALU_DEP_1) | instskip(SKIP_4) | instid1(VALU_DEP_1)
	v_fmac_f32_e32 v118, v114, v121
	ds_load_2addr_b32 v[120:121], v119 offset0:2 offset1:3
	v_movrels_b32_e32 v114, v34
	s_add_co_i32 m0, s2, -4
	s_wait_dscnt 0x0
	v_fmac_f32_e32 v118, v114, v120
	v_movrels_b32_e32 v114, v34
	s_add_co_i32 m0, s2, -3
	s_delay_alu instid0(VALU_DEP_1) | instskip(SKIP_4) | instid1(VALU_DEP_1)
	v_fmac_f32_e32 v118, v114, v121
	ds_load_2addr_b32 v[120:121], v119 offset0:4 offset1:5
	v_movrels_b32_e32 v114, v34
	s_add_co_i32 m0, s2, -2
	s_wait_dscnt 0x0
	v_fmac_f32_e32 v118, v114, v120
	v_movrels_b32_e32 v114, v34
	s_add_co_i32 m0, s2, -1
	s_delay_alu instid0(VALU_DEP_1) | instskip(SKIP_4) | instid1(SALU_CYCLE_1)
	v_fmac_f32_e32 v118, v114, v121
	ds_load_2addr_b32 v[120:121], v119 offset0:6 offset1:7
	v_movrels_b32_e32 v114, v34
	s_mov_b32 m0, s2
	s_add_nc_u64 s[2:3], s[2:3], 8
	s_add_co_i32 s8, s2, -7
	s_wait_dscnt 0x0
	v_fmac_f32_e32 v118, v114, v120
	v_movrels_b32_e32 v114, v34
	s_delay_alu instid0(VALU_DEP_1) | instskip(NEXT) | instid1(VALU_DEP_1)
	v_dual_fmac_f32 v118, v114, v121 :: v_dual_add_nc_u32 v114, s2, v116
	v_cmp_eq_u32_e32 vcc_lo, 12, v114
	v_mov_b32_e32 v114, s8
	s_or_b32 s6, vcc_lo, s6
	s_delay_alu instid0(SALU_CYCLE_1)
	s_and_not1_b32 exec_lo, exec_lo, s6
	s_cbranch_execnz .LBB23_281
; %bb.282:
	s_or_b32 exec_lo, exec_lo, s6
.LBB23_283:
	s_delay_alu instid0(SALU_CYCLE_1) | instskip(SKIP_3) | instid1(VALU_DEP_1)
	s_or_b32 exec_lo, exec_lo, s1
	v_and_b32_e32 v58, 7, v115
	s_mov_b32 s2, 0
	s_mov_b32 s1, exec_lo
	v_cmpx_ne_u32_e32 0, v58
	s_cbranch_execz .LBB23_287
; %bb.284:
	v_lshl_add_u32 v59, v114, 2, 0x60
	v_mov_b32_e32 v115, 0
.LBB23_285:                             ; =>This Inner Loop Header: Depth=1
	v_cmp_eq_u32_e32 vcc_lo, 1, v114
	ds_load_b32 v61, v59
	v_dual_add_nc_u32 v58, -1, v58 :: v_dual_add_nc_u32 v59, 4, v59
	v_cndmask_b32_e32 v60, v34, v35, vcc_lo
	v_cmp_eq_u32_e32 vcc_lo, 2, v114
	s_delay_alu instid0(VALU_DEP_2) | instskip(SKIP_1) | instid1(VALU_DEP_2)
	v_cndmask_b32_e32 v60, v60, v36, vcc_lo
	v_cmp_eq_u32_e32 vcc_lo, 3, v114
	v_cndmask_b32_e32 v60, v60, v37, vcc_lo
	v_cmp_eq_u32_e32 vcc_lo, 4, v114
	s_delay_alu instid0(VALU_DEP_2) | instskip(SKIP_1) | instid1(VALU_DEP_2)
	v_cndmask_b32_e32 v60, v60, v38, vcc_lo
	v_cmp_eq_u32_e32 vcc_lo, 5, v114
	;; [unrolled: 5-line block ×10, first 2 shown]
	v_cndmask_b32_e32 v60, v60, v55, vcc_lo
	v_cmp_eq_u32_e32 vcc_lo, 22, v114
	s_delay_alu instid0(VALU_DEP_2) | instskip(SKIP_2) | instid1(VALU_DEP_3)
	v_cndmask_b32_e32 v60, v60, v56, vcc_lo
	v_cmp_eq_u32_e32 vcc_lo, 23, v114
	v_add_nc_u64_e32 v[114:115], 1, v[114:115]
	v_cndmask_b32_e32 v60, v60, v57, vcc_lo
	v_cmp_eq_u32_e32 vcc_lo, 0, v58
	s_wait_dscnt 0x0
	s_delay_alu instid0(VALU_DEP_2) | instskip(SKIP_1) | instid1(SALU_CYCLE_1)
	v_fmac_f32_e32 v118, v60, v61
	s_or_b32 s2, vcc_lo, s2
	s_and_not1_b32 exec_lo, exec_lo, s2
	s_cbranch_execnz .LBB23_285
; %bb.286:
	s_or_b32 exec_lo, exec_lo, s2
.LBB23_287:
	s_delay_alu instid0(SALU_CYCLE_1)
	s_or_b32 exec_lo, exec_lo, s1
.LBB23_288:
	s_delay_alu instid0(SALU_CYCLE_1)
	s_or_b32 exec_lo, exec_lo, s5
	v_mov_b32_e32 v38, 0
	ds_load_b32 v38, v38 offset:16
	s_wait_dscnt 0x0
	v_mul_f32_e32 v38, v118, v38
.LBB23_289:
	s_or_b32 exec_lo, exec_lo, s4
	v_cmp_lt_u32_e64 s1, 3, v0
	ds_store_b32 v117, v37
	s_wait_dscnt 0x0
	s_barrier_signal -1
	s_barrier_wait -1
	s_and_saveexec_b32 s4, s1
	s_cbranch_execz .LBB23_305
; %bb.290:
	s_and_not1_b32 vcc_lo, exec_lo, s28
	s_cbranch_vccnz .LBB23_292
; %bb.291:
	v_cmp_eq_u32_e32 vcc_lo, 1, v0
	ds_load_b32 v115, v117
	v_cndmask_b32_e32 v114, v34, v35, vcc_lo
	v_cmp_eq_u32_e32 vcc_lo, 2, v0
	s_delay_alu instid0(VALU_DEP_2) | instskip(SKIP_1) | instid1(VALU_DEP_2)
	v_cndmask_b32_e32 v114, v114, v36, vcc_lo
	v_cmp_eq_u32_e32 vcc_lo, 3, v0
	v_cndmask_b32_e32 v114, v114, v37, vcc_lo
	v_cmp_eq_u32_e32 vcc_lo, 4, v0
	s_delay_alu instid0(VALU_DEP_2) | instskip(SKIP_1) | instid1(VALU_DEP_2)
	v_cndmask_b32_e32 v114, v114, v38, vcc_lo
	v_cmp_eq_u32_e32 vcc_lo, 5, v0
	;; [unrolled: 5-line block ×11, first 2 shown]
	v_cndmask_b32_e32 v114, v114, v57, vcc_lo
	s_wait_dscnt 0x0
	s_delay_alu instid0(VALU_DEP_1)
	v_mul_f32_e32 v118, v114, v115
	s_cbranch_execz .LBB23_293
	s_branch .LBB23_294
.LBB23_292:
                                        ; implicit-def: $vgpr118
.LBB23_293:
	ds_load_b32 v118, v117
.LBB23_294:
	s_and_saveexec_b32 s5, s0
	s_cbranch_execz .LBB23_304
; %bb.295:
	v_dual_add_nc_u32 v114, -5, v0 :: v_dual_add_nc_u32 v115, -4, v0
	s_delay_alu instid0(VALU_DEP_1)
	v_cmp_lt_u32_e32 vcc_lo, 6, v114
	v_mov_b32_e32 v114, 4
	s_and_saveexec_b32 s0, vcc_lo
	s_cbranch_execz .LBB23_299
; %bb.296:
	v_and_b32_e32 v114, -8, v115
	s_mov_b32 s6, 0
	s_mov_b64 s[2:3], 5
	s_movk_i32 s7, 0x70
	s_delay_alu instid0(VALU_DEP_1)
	v_sub_nc_u32_e32 v116, 0, v114
.LBB23_297:                             ; =>This Inner Loop Header: Depth=1
	s_add_co_i32 m0, s2, -1
	v_movrels_b32_e32 v114, v34
	v_mov_b32_e32 v119, s7
	s_mov_b32 m0, s2
	s_add_co_i32 s7, s7, 32
	ds_load_b128 v[120:123], v119
	ds_load_b128 v[124:127], v119 offset:16
	s_wait_dscnt 0x1
	v_fmac_f32_e32 v118, v114, v120
	v_movrels_b32_e32 v114, v34
	s_add_co_i32 m0, s2, 1
	s_delay_alu instid0(VALU_DEP_1) | instskip(SKIP_2) | instid1(VALU_DEP_1)
	v_fmac_f32_e32 v118, v114, v121
	v_movrels_b32_e32 v114, v34
	s_add_co_i32 m0, s2, 2
	v_fmac_f32_e32 v118, v114, v122
	v_movrels_b32_e32 v114, v34
	s_add_co_i32 m0, s2, 3
	s_delay_alu instid0(VALU_DEP_1) | instskip(SKIP_3) | instid1(VALU_DEP_1)
	v_fmac_f32_e32 v118, v114, v123
	v_movrels_b32_e32 v114, v34
	s_add_co_i32 m0, s2, 4
	s_wait_dscnt 0x0
	v_fmac_f32_e32 v118, v114, v124
	v_movrels_b32_e32 v114, v34
	s_add_co_i32 m0, s2, 5
	s_delay_alu instid0(VALU_DEP_1) | instskip(SKIP_3) | instid1(SALU_CYCLE_1)
	v_fmac_f32_e32 v118, v114, v125
	v_movrels_b32_e32 v114, v34
	s_add_co_i32 m0, s2, 6
	s_add_nc_u64 s[2:3], s[2:3], 8
	s_add_co_i32 s8, s2, -1
	s_delay_alu instid0(VALU_DEP_1) | instskip(SKIP_1) | instid1(VALU_DEP_1)
	v_fmac_f32_e32 v118, v114, v126
	v_movrels_b32_e32 v114, v34
	v_dual_fmac_f32 v118, v114, v127 :: v_dual_add_nc_u32 v114, s2, v116
	s_delay_alu instid0(VALU_DEP_1) | instskip(SKIP_2) | instid1(SALU_CYCLE_1)
	v_cmp_eq_u32_e32 vcc_lo, 5, v114
	v_mov_b32_e32 v114, s8
	s_or_b32 s6, vcc_lo, s6
	s_and_not1_b32 exec_lo, exec_lo, s6
	s_cbranch_execnz .LBB23_297
; %bb.298:
	s_or_b32 exec_lo, exec_lo, s6
.LBB23_299:
	s_delay_alu instid0(SALU_CYCLE_1) | instskip(SKIP_3) | instid1(VALU_DEP_1)
	s_or_b32 exec_lo, exec_lo, s0
	v_and_b32_e32 v58, 7, v115
	s_mov_b32 s2, 0
	s_mov_b32 s0, exec_lo
	v_cmpx_ne_u32_e32 0, v58
	s_cbranch_execz .LBB23_303
; %bb.300:
	v_lshl_add_u32 v59, v114, 2, 0x60
	v_mov_b32_e32 v115, 0
.LBB23_301:                             ; =>This Inner Loop Header: Depth=1
	v_cmp_eq_u32_e32 vcc_lo, 1, v114
	ds_load_b32 v61, v59
	v_dual_add_nc_u32 v58, -1, v58 :: v_dual_add_nc_u32 v59, 4, v59
	v_cndmask_b32_e32 v60, v34, v35, vcc_lo
	v_cmp_eq_u32_e32 vcc_lo, 2, v114
	s_delay_alu instid0(VALU_DEP_2) | instskip(SKIP_1) | instid1(VALU_DEP_2)
	v_cndmask_b32_e32 v60, v60, v36, vcc_lo
	v_cmp_eq_u32_e32 vcc_lo, 3, v114
	v_cndmask_b32_e32 v60, v60, v37, vcc_lo
	v_cmp_eq_u32_e32 vcc_lo, 4, v114
	s_delay_alu instid0(VALU_DEP_2) | instskip(SKIP_1) | instid1(VALU_DEP_2)
	v_cndmask_b32_e32 v60, v60, v38, vcc_lo
	v_cmp_eq_u32_e32 vcc_lo, 5, v114
	;; [unrolled: 5-line block ×10, first 2 shown]
	v_cndmask_b32_e32 v60, v60, v55, vcc_lo
	v_cmp_eq_u32_e32 vcc_lo, 22, v114
	s_delay_alu instid0(VALU_DEP_2) | instskip(SKIP_2) | instid1(VALU_DEP_3)
	v_cndmask_b32_e32 v60, v60, v56, vcc_lo
	v_cmp_eq_u32_e32 vcc_lo, 23, v114
	v_add_nc_u64_e32 v[114:115], 1, v[114:115]
	v_cndmask_b32_e32 v60, v60, v57, vcc_lo
	v_cmp_eq_u32_e32 vcc_lo, 0, v58
	s_wait_dscnt 0x0
	s_delay_alu instid0(VALU_DEP_2) | instskip(SKIP_1) | instid1(SALU_CYCLE_1)
	v_fmac_f32_e32 v118, v60, v61
	s_or_b32 s2, vcc_lo, s2
	s_and_not1_b32 exec_lo, exec_lo, s2
	s_cbranch_execnz .LBB23_301
; %bb.302:
	s_or_b32 exec_lo, exec_lo, s2
.LBB23_303:
	s_delay_alu instid0(SALU_CYCLE_1)
	s_or_b32 exec_lo, exec_lo, s0
.LBB23_304:
	s_delay_alu instid0(SALU_CYCLE_1)
	s_or_b32 exec_lo, exec_lo, s5
	v_mov_b32_e32 v37, 0
	ds_load_b32 v37, v37 offset:12
	s_wait_dscnt 0x0
	v_mul_f32_e32 v37, v118, v37
.LBB23_305:
	s_or_b32 exec_lo, exec_lo, s4
	v_cmp_lt_u32_e64 s0, 2, v0
	ds_store_b32 v117, v36
	s_wait_dscnt 0x0
	s_barrier_signal -1
	s_barrier_wait -1
	s_and_saveexec_b32 s4, s0
	s_cbranch_execz .LBB23_321
; %bb.306:
	s_and_not1_b32 vcc_lo, exec_lo, s28
	s_cbranch_vccnz .LBB23_308
; %bb.307:
	v_cmp_eq_u32_e32 vcc_lo, 1, v0
	ds_load_b32 v115, v117
	v_cndmask_b32_e32 v114, v34, v35, vcc_lo
	v_cmp_eq_u32_e32 vcc_lo, 2, v0
	s_delay_alu instid0(VALU_DEP_2) | instskip(SKIP_1) | instid1(VALU_DEP_2)
	v_cndmask_b32_e32 v114, v114, v36, vcc_lo
	v_cmp_eq_u32_e32 vcc_lo, 3, v0
	v_cndmask_b32_e32 v114, v114, v37, vcc_lo
	v_cmp_eq_u32_e32 vcc_lo, 4, v0
	s_delay_alu instid0(VALU_DEP_2) | instskip(SKIP_1) | instid1(VALU_DEP_2)
	v_cndmask_b32_e32 v114, v114, v38, vcc_lo
	v_cmp_eq_u32_e32 vcc_lo, 5, v0
	v_cndmask_b32_e32 v114, v114, v39, vcc_lo
	v_cmp_eq_u32_e32 vcc_lo, 6, v0
	s_delay_alu instid0(VALU_DEP_2) | instskip(SKIP_1) | instid1(VALU_DEP_2)
	v_cndmask_b32_e32 v114, v114, v40, vcc_lo
	v_cmp_eq_u32_e32 vcc_lo, 7, v0
	v_cndmask_b32_e32 v114, v114, v41, vcc_lo
	v_cmp_eq_u32_e32 vcc_lo, 8, v0
	s_delay_alu instid0(VALU_DEP_2) | instskip(SKIP_1) | instid1(VALU_DEP_2)
	v_cndmask_b32_e32 v114, v114, v42, vcc_lo
	v_cmp_eq_u32_e32 vcc_lo, 9, v0
	v_cndmask_b32_e32 v114, v114, v43, vcc_lo
	v_cmp_eq_u32_e32 vcc_lo, 10, v0
	s_delay_alu instid0(VALU_DEP_2) | instskip(SKIP_1) | instid1(VALU_DEP_2)
	v_cndmask_b32_e32 v114, v114, v44, vcc_lo
	v_cmp_eq_u32_e32 vcc_lo, 11, v0
	v_cndmask_b32_e32 v114, v114, v45, vcc_lo
	v_cmp_eq_u32_e32 vcc_lo, 12, v0
	s_delay_alu instid0(VALU_DEP_2) | instskip(SKIP_1) | instid1(VALU_DEP_2)
	v_cndmask_b32_e32 v114, v114, v46, vcc_lo
	v_cmp_eq_u32_e32 vcc_lo, 13, v0
	v_cndmask_b32_e32 v114, v114, v47, vcc_lo
	v_cmp_eq_u32_e32 vcc_lo, 14, v0
	s_delay_alu instid0(VALU_DEP_2) | instskip(SKIP_1) | instid1(VALU_DEP_2)
	v_cndmask_b32_e32 v114, v114, v48, vcc_lo
	v_cmp_eq_u32_e32 vcc_lo, 15, v0
	v_cndmask_b32_e32 v114, v114, v49, vcc_lo
	v_cmp_eq_u32_e32 vcc_lo, 16, v0
	s_delay_alu instid0(VALU_DEP_2) | instskip(SKIP_1) | instid1(VALU_DEP_2)
	v_cndmask_b32_e32 v114, v114, v50, vcc_lo
	v_cmp_eq_u32_e32 vcc_lo, 17, v0
	v_cndmask_b32_e32 v114, v114, v51, vcc_lo
	v_cmp_eq_u32_e32 vcc_lo, 18, v0
	s_delay_alu instid0(VALU_DEP_2) | instskip(SKIP_1) | instid1(VALU_DEP_2)
	v_cndmask_b32_e32 v114, v114, v52, vcc_lo
	v_cmp_eq_u32_e32 vcc_lo, 19, v0
	v_cndmask_b32_e32 v114, v114, v53, vcc_lo
	v_cmp_eq_u32_e32 vcc_lo, 20, v0
	s_delay_alu instid0(VALU_DEP_2) | instskip(SKIP_1) | instid1(VALU_DEP_2)
	v_cndmask_b32_e32 v114, v114, v54, vcc_lo
	v_cmp_eq_u32_e32 vcc_lo, 21, v0
	v_cndmask_b32_e32 v114, v114, v55, vcc_lo
	v_cmp_eq_u32_e32 vcc_lo, 22, v0
	s_delay_alu instid0(VALU_DEP_2) | instskip(SKIP_1) | instid1(VALU_DEP_2)
	v_cndmask_b32_e32 v114, v114, v56, vcc_lo
	v_cmp_eq_u32_e32 vcc_lo, 23, v0
	v_cndmask_b32_e32 v114, v114, v57, vcc_lo
	s_wait_dscnt 0x0
	s_delay_alu instid0(VALU_DEP_1)
	v_mul_f32_e32 v118, v114, v115
	s_cbranch_execz .LBB23_309
	s_branch .LBB23_310
.LBB23_308:
                                        ; implicit-def: $vgpr118
.LBB23_309:
	ds_load_b32 v118, v117
.LBB23_310:
	s_and_saveexec_b32 s5, s1
	s_cbranch_execz .LBB23_320
; %bb.311:
	v_dual_add_nc_u32 v114, -4, v0 :: v_dual_add_nc_u32 v115, -3, v0
	s_delay_alu instid0(VALU_DEP_1)
	v_cmp_lt_u32_e32 vcc_lo, 6, v114
	v_mov_b32_e32 v114, 3
	s_and_saveexec_b32 s1, vcc_lo
	s_cbranch_execz .LBB23_315
; %bb.312:
	v_and_b32_e32 v114, -8, v115
	s_mov_b32 s6, 0
	s_mov_b64 s[2:3], 10
	s_movk_i32 s7, 0x6c
	s_delay_alu instid0(VALU_DEP_1)
	v_sub_nc_u32_e32 v116, 0, v114
.LBB23_313:                             ; =>This Inner Loop Header: Depth=1
	s_add_co_i32 m0, s2, -7
	v_movrels_b32_e32 v114, v34
	v_mov_b32_e32 v119, s7
	s_add_co_i32 m0, s2, -6
	s_add_co_i32 s7, s7, 32
	ds_load_2addr_b32 v[120:121], v119 offset1:1
	s_wait_dscnt 0x0
	v_fmac_f32_e32 v118, v114, v120
	v_movrels_b32_e32 v114, v34
	s_add_co_i32 m0, s2, -5
	s_delay_alu instid0(VALU_DEP_1) | instskip(SKIP_4) | instid1(VALU_DEP_1)
	v_fmac_f32_e32 v118, v114, v121
	ds_load_2addr_b32 v[120:121], v119 offset0:2 offset1:3
	v_movrels_b32_e32 v114, v34
	s_add_co_i32 m0, s2, -4
	s_wait_dscnt 0x0
	v_fmac_f32_e32 v118, v114, v120
	v_movrels_b32_e32 v114, v34
	s_add_co_i32 m0, s2, -3
	s_delay_alu instid0(VALU_DEP_1) | instskip(SKIP_4) | instid1(VALU_DEP_1)
	v_fmac_f32_e32 v118, v114, v121
	ds_load_2addr_b32 v[120:121], v119 offset0:4 offset1:5
	v_movrels_b32_e32 v114, v34
	s_add_co_i32 m0, s2, -2
	s_wait_dscnt 0x0
	v_fmac_f32_e32 v118, v114, v120
	v_movrels_b32_e32 v114, v34
	s_add_co_i32 m0, s2, -1
	s_delay_alu instid0(VALU_DEP_1) | instskip(SKIP_4) | instid1(SALU_CYCLE_1)
	v_fmac_f32_e32 v118, v114, v121
	ds_load_2addr_b32 v[120:121], v119 offset0:6 offset1:7
	v_movrels_b32_e32 v114, v34
	s_mov_b32 m0, s2
	s_add_nc_u64 s[2:3], s[2:3], 8
	s_add_co_i32 s8, s2, -7
	s_wait_dscnt 0x0
	v_fmac_f32_e32 v118, v114, v120
	v_movrels_b32_e32 v114, v34
	s_delay_alu instid0(VALU_DEP_1) | instskip(NEXT) | instid1(VALU_DEP_1)
	v_dual_fmac_f32 v118, v114, v121 :: v_dual_add_nc_u32 v114, s2, v116
	v_cmp_eq_u32_e32 vcc_lo, 10, v114
	v_mov_b32_e32 v114, s8
	s_or_b32 s6, vcc_lo, s6
	s_delay_alu instid0(SALU_CYCLE_1)
	s_and_not1_b32 exec_lo, exec_lo, s6
	s_cbranch_execnz .LBB23_313
; %bb.314:
	s_or_b32 exec_lo, exec_lo, s6
.LBB23_315:
	s_delay_alu instid0(SALU_CYCLE_1) | instskip(SKIP_3) | instid1(VALU_DEP_1)
	s_or_b32 exec_lo, exec_lo, s1
	v_and_b32_e32 v58, 7, v115
	s_mov_b32 s2, 0
	s_mov_b32 s1, exec_lo
	v_cmpx_ne_u32_e32 0, v58
	s_cbranch_execz .LBB23_319
; %bb.316:
	v_lshl_add_u32 v59, v114, 2, 0x60
	v_mov_b32_e32 v115, 0
.LBB23_317:                             ; =>This Inner Loop Header: Depth=1
	v_cmp_eq_u32_e32 vcc_lo, 1, v114
	ds_load_b32 v61, v59
	v_dual_add_nc_u32 v58, -1, v58 :: v_dual_add_nc_u32 v59, 4, v59
	v_cndmask_b32_e32 v60, v34, v35, vcc_lo
	v_cmp_eq_u32_e32 vcc_lo, 2, v114
	s_delay_alu instid0(VALU_DEP_2) | instskip(SKIP_1) | instid1(VALU_DEP_2)
	v_cndmask_b32_e32 v60, v60, v36, vcc_lo
	v_cmp_eq_u32_e32 vcc_lo, 3, v114
	v_cndmask_b32_e32 v60, v60, v37, vcc_lo
	v_cmp_eq_u32_e32 vcc_lo, 4, v114
	s_delay_alu instid0(VALU_DEP_2) | instskip(SKIP_1) | instid1(VALU_DEP_2)
	v_cndmask_b32_e32 v60, v60, v38, vcc_lo
	v_cmp_eq_u32_e32 vcc_lo, 5, v114
	;; [unrolled: 5-line block ×10, first 2 shown]
	v_cndmask_b32_e32 v60, v60, v55, vcc_lo
	v_cmp_eq_u32_e32 vcc_lo, 22, v114
	s_delay_alu instid0(VALU_DEP_2) | instskip(SKIP_2) | instid1(VALU_DEP_3)
	v_cndmask_b32_e32 v60, v60, v56, vcc_lo
	v_cmp_eq_u32_e32 vcc_lo, 23, v114
	v_add_nc_u64_e32 v[114:115], 1, v[114:115]
	v_cndmask_b32_e32 v60, v60, v57, vcc_lo
	v_cmp_eq_u32_e32 vcc_lo, 0, v58
	s_wait_dscnt 0x0
	s_delay_alu instid0(VALU_DEP_2) | instskip(SKIP_1) | instid1(SALU_CYCLE_1)
	v_fmac_f32_e32 v118, v60, v61
	s_or_b32 s2, vcc_lo, s2
	s_and_not1_b32 exec_lo, exec_lo, s2
	s_cbranch_execnz .LBB23_317
; %bb.318:
	s_or_b32 exec_lo, exec_lo, s2
.LBB23_319:
	s_delay_alu instid0(SALU_CYCLE_1)
	s_or_b32 exec_lo, exec_lo, s1
.LBB23_320:
	s_delay_alu instid0(SALU_CYCLE_1)
	s_or_b32 exec_lo, exec_lo, s5
	v_mov_b32_e32 v36, 0
	ds_load_b32 v36, v36 offset:8
	s_wait_dscnt 0x0
	v_mul_f32_e32 v36, v118, v36
.LBB23_321:
	s_or_b32 exec_lo, exec_lo, s4
	v_cmp_lt_u32_e64 s1, 1, v0
	ds_store_b32 v117, v35
	s_wait_dscnt 0x0
	s_barrier_signal -1
	s_barrier_wait -1
	s_and_saveexec_b32 s4, s1
	s_cbranch_execz .LBB23_337
; %bb.322:
	s_and_not1_b32 vcc_lo, exec_lo, s28
	s_cbranch_vccnz .LBB23_324
; %bb.323:
	v_cmp_eq_u32_e32 vcc_lo, 1, v0
	ds_load_b32 v115, v117
	v_cndmask_b32_e32 v114, v34, v35, vcc_lo
	v_cmp_eq_u32_e32 vcc_lo, 2, v0
	s_delay_alu instid0(VALU_DEP_2) | instskip(SKIP_1) | instid1(VALU_DEP_2)
	v_cndmask_b32_e32 v114, v114, v36, vcc_lo
	v_cmp_eq_u32_e32 vcc_lo, 3, v0
	v_cndmask_b32_e32 v114, v114, v37, vcc_lo
	v_cmp_eq_u32_e32 vcc_lo, 4, v0
	s_delay_alu instid0(VALU_DEP_2) | instskip(SKIP_1) | instid1(VALU_DEP_2)
	v_cndmask_b32_e32 v114, v114, v38, vcc_lo
	v_cmp_eq_u32_e32 vcc_lo, 5, v0
	;; [unrolled: 5-line block ×11, first 2 shown]
	v_cndmask_b32_e32 v114, v114, v57, vcc_lo
	s_wait_dscnt 0x0
	s_delay_alu instid0(VALU_DEP_1)
	v_mul_f32_e32 v118, v114, v115
	s_cbranch_execz .LBB23_325
	s_branch .LBB23_326
.LBB23_324:
                                        ; implicit-def: $vgpr118
.LBB23_325:
	ds_load_b32 v118, v117
.LBB23_326:
	s_and_saveexec_b32 s5, s0
	s_cbranch_execz .LBB23_336
; %bb.327:
	v_dual_add_nc_u32 v114, -3, v0 :: v_dual_add_nc_u32 v115, -2, v0
	s_delay_alu instid0(VALU_DEP_1)
	v_cmp_lt_u32_e32 vcc_lo, 6, v114
	v_mov_b32_e32 v114, 2
	s_and_saveexec_b32 s0, vcc_lo
	s_cbranch_execz .LBB23_331
; %bb.328:
	v_and_b32_e32 v114, -8, v115
	s_mov_b32 s6, 0
	s_mov_b64 s[2:3], 9
	s_movk_i32 s7, 0x68
	s_delay_alu instid0(VALU_DEP_1)
	v_sub_nc_u32_e32 v116, 0, v114
.LBB23_329:                             ; =>This Inner Loop Header: Depth=1
	s_add_co_i32 m0, s2, -7
	v_movrels_b32_e32 v114, v34
	v_mov_b32_e32 v119, s7
	s_add_co_i32 m0, s2, -6
	s_add_co_i32 s7, s7, 32
	ds_load_2addr_b64 v[120:123], v119 offset1:1
	s_wait_dscnt 0x0
	v_fmac_f32_e32 v118, v114, v120
	v_movrels_b32_e32 v114, v34
	s_add_co_i32 m0, s2, -5
	s_delay_alu instid0(VALU_DEP_1) | instskip(SKIP_2) | instid1(VALU_DEP_1)
	v_fmac_f32_e32 v118, v114, v121
	v_movrels_b32_e32 v114, v34
	s_add_co_i32 m0, s2, -4
	v_fmac_f32_e32 v118, v114, v122
	v_movrels_b32_e32 v114, v34
	s_add_co_i32 m0, s2, -3
	s_delay_alu instid0(VALU_DEP_1) | instskip(SKIP_4) | instid1(VALU_DEP_1)
	v_fmac_f32_e32 v118, v114, v123
	ds_load_2addr_b64 v[120:123], v119 offset0:2 offset1:3
	v_movrels_b32_e32 v114, v34
	s_add_co_i32 m0, s2, -2
	s_wait_dscnt 0x0
	v_fmac_f32_e32 v118, v114, v120
	v_movrels_b32_e32 v114, v34
	s_add_co_i32 m0, s2, -1
	s_delay_alu instid0(VALU_DEP_1) | instskip(SKIP_3) | instid1(SALU_CYCLE_1)
	v_fmac_f32_e32 v118, v114, v121
	v_movrels_b32_e32 v114, v34
	s_mov_b32 m0, s2
	s_add_nc_u64 s[2:3], s[2:3], 8
	s_add_co_i32 s8, s2, -7
	s_delay_alu instid0(VALU_DEP_1) | instskip(SKIP_1) | instid1(VALU_DEP_1)
	v_fmac_f32_e32 v118, v114, v122
	v_movrels_b32_e32 v114, v34
	v_dual_fmac_f32 v118, v114, v123 :: v_dual_add_nc_u32 v114, s2, v116
	s_delay_alu instid0(VALU_DEP_1) | instskip(SKIP_2) | instid1(SALU_CYCLE_1)
	v_cmp_eq_u32_e32 vcc_lo, 9, v114
	v_mov_b32_e32 v114, s8
	s_or_b32 s6, vcc_lo, s6
	s_and_not1_b32 exec_lo, exec_lo, s6
	s_cbranch_execnz .LBB23_329
; %bb.330:
	s_or_b32 exec_lo, exec_lo, s6
.LBB23_331:
	s_delay_alu instid0(SALU_CYCLE_1) | instskip(SKIP_3) | instid1(VALU_DEP_1)
	s_or_b32 exec_lo, exec_lo, s0
	v_and_b32_e32 v58, 7, v115
	s_mov_b32 s2, 0
	s_mov_b32 s0, exec_lo
	v_cmpx_ne_u32_e32 0, v58
	s_cbranch_execz .LBB23_335
; %bb.332:
	v_lshl_add_u32 v59, v114, 2, 0x60
	v_mov_b32_e32 v115, 0
.LBB23_333:                             ; =>This Inner Loop Header: Depth=1
	v_cmp_eq_u32_e32 vcc_lo, 1, v114
	ds_load_b32 v61, v59
	v_dual_add_nc_u32 v58, -1, v58 :: v_dual_add_nc_u32 v59, 4, v59
	v_cndmask_b32_e32 v60, v34, v35, vcc_lo
	v_cmp_eq_u32_e32 vcc_lo, 2, v114
	s_delay_alu instid0(VALU_DEP_2) | instskip(SKIP_1) | instid1(VALU_DEP_2)
	v_cndmask_b32_e32 v60, v60, v36, vcc_lo
	v_cmp_eq_u32_e32 vcc_lo, 3, v114
	v_cndmask_b32_e32 v60, v60, v37, vcc_lo
	v_cmp_eq_u32_e32 vcc_lo, 4, v114
	s_delay_alu instid0(VALU_DEP_2) | instskip(SKIP_1) | instid1(VALU_DEP_2)
	v_cndmask_b32_e32 v60, v60, v38, vcc_lo
	v_cmp_eq_u32_e32 vcc_lo, 5, v114
	;; [unrolled: 5-line block ×10, first 2 shown]
	v_cndmask_b32_e32 v60, v60, v55, vcc_lo
	v_cmp_eq_u32_e32 vcc_lo, 22, v114
	s_delay_alu instid0(VALU_DEP_2) | instskip(SKIP_2) | instid1(VALU_DEP_3)
	v_cndmask_b32_e32 v60, v60, v56, vcc_lo
	v_cmp_eq_u32_e32 vcc_lo, 23, v114
	v_add_nc_u64_e32 v[114:115], 1, v[114:115]
	v_cndmask_b32_e32 v60, v60, v57, vcc_lo
	v_cmp_eq_u32_e32 vcc_lo, 0, v58
	s_wait_dscnt 0x0
	s_delay_alu instid0(VALU_DEP_2) | instskip(SKIP_1) | instid1(SALU_CYCLE_1)
	v_fmac_f32_e32 v118, v60, v61
	s_or_b32 s2, vcc_lo, s2
	s_and_not1_b32 exec_lo, exec_lo, s2
	s_cbranch_execnz .LBB23_333
; %bb.334:
	s_or_b32 exec_lo, exec_lo, s2
.LBB23_335:
	s_delay_alu instid0(SALU_CYCLE_1)
	s_or_b32 exec_lo, exec_lo, s0
.LBB23_336:
	s_delay_alu instid0(SALU_CYCLE_1)
	s_or_b32 exec_lo, exec_lo, s5
	v_mov_b32_e32 v35, 0
	ds_load_b32 v35, v35 offset:4
	s_wait_dscnt 0x0
	v_mul_f32_e32 v35, v118, v35
.LBB23_337:
	s_or_b32 exec_lo, exec_lo, s4
	s_mov_b32 s2, 0
	s_mov_b32 s3, exec_lo
	ds_store_b32 v117, v34
	s_wait_dscnt 0x0
	s_barrier_signal -1
	s_barrier_wait -1
	v_cmpx_ne_u32_e32 0, v0
	s_cbranch_execz .LBB23_353
; %bb.338:
	s_and_not1_b32 vcc_lo, exec_lo, s28
	s_cbranch_vccnz .LBB23_340
; %bb.339:
	v_cmp_eq_u32_e32 vcc_lo, 1, v0
	ds_load_b32 v115, v117
	v_cndmask_b32_e32 v114, v34, v35, vcc_lo
	v_cmp_eq_u32_e32 vcc_lo, 2, v0
	s_delay_alu instid0(VALU_DEP_2) | instskip(SKIP_1) | instid1(VALU_DEP_2)
	v_cndmask_b32_e32 v114, v114, v36, vcc_lo
	v_cmp_eq_u32_e32 vcc_lo, 3, v0
	v_cndmask_b32_e32 v114, v114, v37, vcc_lo
	v_cmp_eq_u32_e32 vcc_lo, 4, v0
	s_delay_alu instid0(VALU_DEP_2) | instskip(SKIP_1) | instid1(VALU_DEP_2)
	v_cndmask_b32_e32 v114, v114, v38, vcc_lo
	v_cmp_eq_u32_e32 vcc_lo, 5, v0
	;; [unrolled: 5-line block ×11, first 2 shown]
	v_cndmask_b32_e32 v114, v114, v57, vcc_lo
	s_wait_dscnt 0x0
	s_delay_alu instid0(VALU_DEP_1)
	v_mul_f32_e32 v118, v114, v115
	s_cbranch_execz .LBB23_341
	s_branch .LBB23_342
.LBB23_340:
                                        ; implicit-def: $vgpr118
.LBB23_341:
	ds_load_b32 v118, v117
.LBB23_342:
	s_and_saveexec_b32 s4, s1
	s_cbranch_execz .LBB23_352
; %bb.343:
	v_dual_add_nc_u32 v114, -2, v0 :: v_dual_add_nc_u32 v115, -1, v0
	s_delay_alu instid0(VALU_DEP_1)
	v_cmp_lt_u32_e32 vcc_lo, 6, v114
	v_mov_b32_e32 v114, 1
	s_and_saveexec_b32 s5, vcc_lo
	s_cbranch_execz .LBB23_347
; %bb.344:
	v_and_b32_e32 v114, -8, v115
	s_mov_b32 s6, 0
	s_mov_b64 s[0:1], 8
	s_movk_i32 s7, 0x64
	s_delay_alu instid0(VALU_DEP_1)
	v_sub_nc_u32_e32 v116, 0, v114
.LBB23_345:                             ; =>This Inner Loop Header: Depth=1
	s_add_co_i32 m0, s0, -7
	v_movrels_b32_e32 v114, v34
	v_mov_b32_e32 v119, s7
	s_add_co_i32 m0, s0, -6
	s_add_co_i32 s7, s7, 32
	ds_load_2addr_b32 v[120:121], v119 offset1:1
	s_wait_dscnt 0x0
	v_fmac_f32_e32 v118, v114, v120
	v_movrels_b32_e32 v114, v34
	s_add_co_i32 m0, s0, -5
	s_delay_alu instid0(VALU_DEP_1) | instskip(SKIP_4) | instid1(VALU_DEP_1)
	v_fmac_f32_e32 v118, v114, v121
	ds_load_2addr_b32 v[120:121], v119 offset0:2 offset1:3
	v_movrels_b32_e32 v114, v34
	s_add_co_i32 m0, s0, -4
	s_wait_dscnt 0x0
	v_fmac_f32_e32 v118, v114, v120
	v_movrels_b32_e32 v114, v34
	s_add_co_i32 m0, s0, -3
	s_delay_alu instid0(VALU_DEP_1) | instskip(SKIP_4) | instid1(VALU_DEP_1)
	v_fmac_f32_e32 v118, v114, v121
	ds_load_2addr_b32 v[120:121], v119 offset0:4 offset1:5
	v_movrels_b32_e32 v114, v34
	s_add_co_i32 m0, s0, -2
	s_wait_dscnt 0x0
	v_fmac_f32_e32 v118, v114, v120
	v_movrels_b32_e32 v114, v34
	s_add_co_i32 m0, s0, -1
	s_delay_alu instid0(VALU_DEP_1) | instskip(SKIP_4) | instid1(SALU_CYCLE_1)
	v_fmac_f32_e32 v118, v114, v121
	ds_load_2addr_b32 v[120:121], v119 offset0:6 offset1:7
	v_movrels_b32_e32 v114, v34
	s_mov_b32 m0, s0
	s_add_nc_u64 s[0:1], s[0:1], 8
	s_add_co_i32 s8, s0, -7
	s_wait_dscnt 0x0
	v_fmac_f32_e32 v118, v114, v120
	v_movrels_b32_e32 v114, v34
	s_delay_alu instid0(VALU_DEP_1) | instskip(NEXT) | instid1(VALU_DEP_1)
	v_dual_fmac_f32 v118, v114, v121 :: v_dual_add_nc_u32 v114, s0, v116
	v_cmp_eq_u32_e32 vcc_lo, 8, v114
	v_mov_b32_e32 v114, s8
	s_or_b32 s6, vcc_lo, s6
	s_delay_alu instid0(SALU_CYCLE_1)
	s_and_not1_b32 exec_lo, exec_lo, s6
	s_cbranch_execnz .LBB23_345
; %bb.346:
	s_or_b32 exec_lo, exec_lo, s6
.LBB23_347:
	s_delay_alu instid0(SALU_CYCLE_1) | instskip(SKIP_3) | instid1(VALU_DEP_1)
	s_or_b32 exec_lo, exec_lo, s5
	v_and_b32_e32 v58, 7, v115
	s_mov_b32 s1, 0
	s_mov_b32 s0, exec_lo
	v_cmpx_ne_u32_e32 0, v58
	s_cbranch_execz .LBB23_351
; %bb.348:
	v_lshl_add_u32 v59, v114, 2, 0x60
	v_mov_b32_e32 v115, 0
.LBB23_349:                             ; =>This Inner Loop Header: Depth=1
	v_cmp_eq_u32_e32 vcc_lo, 1, v114
	ds_load_b32 v61, v59
	v_dual_add_nc_u32 v58, -1, v58 :: v_dual_add_nc_u32 v59, 4, v59
	v_cndmask_b32_e32 v60, v34, v35, vcc_lo
	v_cmp_eq_u32_e32 vcc_lo, 2, v114
	s_delay_alu instid0(VALU_DEP_2) | instskip(SKIP_1) | instid1(VALU_DEP_2)
	v_cndmask_b32_e32 v60, v60, v36, vcc_lo
	v_cmp_eq_u32_e32 vcc_lo, 3, v114
	v_cndmask_b32_e32 v60, v60, v37, vcc_lo
	v_cmp_eq_u32_e32 vcc_lo, 4, v114
	s_delay_alu instid0(VALU_DEP_2) | instskip(SKIP_1) | instid1(VALU_DEP_2)
	v_cndmask_b32_e32 v60, v60, v38, vcc_lo
	v_cmp_eq_u32_e32 vcc_lo, 5, v114
	v_cndmask_b32_e32 v60, v60, v39, vcc_lo
	v_cmp_eq_u32_e32 vcc_lo, 6, v114
	s_delay_alu instid0(VALU_DEP_2) | instskip(SKIP_1) | instid1(VALU_DEP_2)
	v_cndmask_b32_e32 v60, v60, v40, vcc_lo
	v_cmp_eq_u32_e32 vcc_lo, 7, v114
	v_cndmask_b32_e32 v60, v60, v41, vcc_lo
	v_cmp_eq_u32_e32 vcc_lo, 8, v114
	s_delay_alu instid0(VALU_DEP_2) | instskip(SKIP_1) | instid1(VALU_DEP_2)
	v_cndmask_b32_e32 v60, v60, v42, vcc_lo
	v_cmp_eq_u32_e32 vcc_lo, 9, v114
	v_cndmask_b32_e32 v60, v60, v43, vcc_lo
	v_cmp_eq_u32_e32 vcc_lo, 10, v114
	s_delay_alu instid0(VALU_DEP_2) | instskip(SKIP_1) | instid1(VALU_DEP_2)
	v_cndmask_b32_e32 v60, v60, v44, vcc_lo
	v_cmp_eq_u32_e32 vcc_lo, 11, v114
	v_cndmask_b32_e32 v60, v60, v45, vcc_lo
	v_cmp_eq_u32_e32 vcc_lo, 12, v114
	s_delay_alu instid0(VALU_DEP_2) | instskip(SKIP_1) | instid1(VALU_DEP_2)
	v_cndmask_b32_e32 v60, v60, v46, vcc_lo
	v_cmp_eq_u32_e32 vcc_lo, 13, v114
	v_cndmask_b32_e32 v60, v60, v47, vcc_lo
	v_cmp_eq_u32_e32 vcc_lo, 14, v114
	s_delay_alu instid0(VALU_DEP_2) | instskip(SKIP_1) | instid1(VALU_DEP_2)
	v_cndmask_b32_e32 v60, v60, v48, vcc_lo
	v_cmp_eq_u32_e32 vcc_lo, 15, v114
	v_cndmask_b32_e32 v60, v60, v49, vcc_lo
	v_cmp_eq_u32_e32 vcc_lo, 16, v114
	s_delay_alu instid0(VALU_DEP_2) | instskip(SKIP_1) | instid1(VALU_DEP_2)
	v_cndmask_b32_e32 v60, v60, v50, vcc_lo
	v_cmp_eq_u32_e32 vcc_lo, 17, v114
	v_cndmask_b32_e32 v60, v60, v51, vcc_lo
	v_cmp_eq_u32_e32 vcc_lo, 18, v114
	s_delay_alu instid0(VALU_DEP_2) | instskip(SKIP_1) | instid1(VALU_DEP_2)
	v_cndmask_b32_e32 v60, v60, v52, vcc_lo
	v_cmp_eq_u32_e32 vcc_lo, 19, v114
	v_cndmask_b32_e32 v60, v60, v53, vcc_lo
	v_cmp_eq_u32_e32 vcc_lo, 20, v114
	s_delay_alu instid0(VALU_DEP_2) | instskip(SKIP_1) | instid1(VALU_DEP_2)
	v_cndmask_b32_e32 v60, v60, v54, vcc_lo
	v_cmp_eq_u32_e32 vcc_lo, 21, v114
	v_cndmask_b32_e32 v60, v60, v55, vcc_lo
	v_cmp_eq_u32_e32 vcc_lo, 22, v114
	s_delay_alu instid0(VALU_DEP_2) | instskip(SKIP_2) | instid1(VALU_DEP_3)
	v_cndmask_b32_e32 v60, v60, v56, vcc_lo
	v_cmp_eq_u32_e32 vcc_lo, 23, v114
	v_add_nc_u64_e32 v[114:115], 1, v[114:115]
	v_cndmask_b32_e32 v60, v60, v57, vcc_lo
	v_cmp_eq_u32_e32 vcc_lo, 0, v58
	s_wait_dscnt 0x0
	s_delay_alu instid0(VALU_DEP_2) | instskip(SKIP_1) | instid1(SALU_CYCLE_1)
	v_fmac_f32_e32 v118, v60, v61
	s_or_b32 s1, vcc_lo, s1
	s_and_not1_b32 exec_lo, exec_lo, s1
	s_cbranch_execnz .LBB23_349
; %bb.350:
	s_or_b32 exec_lo, exec_lo, s1
.LBB23_351:
	s_delay_alu instid0(SALU_CYCLE_1)
	s_or_b32 exec_lo, exec_lo, s0
.LBB23_352:
	s_delay_alu instid0(SALU_CYCLE_1)
	s_or_b32 exec_lo, exec_lo, s4
	v_mov_b32_e32 v34, 0
	ds_load_b32 v34, v34
	s_wait_dscnt 0x0
	v_mul_f32_e32 v34, v118, v34
.LBB23_353:
	s_or_b32 exec_lo, exec_lo, s3
	s_delay_alu instid0(SALU_CYCLE_1)
	s_and_b32 vcc_lo, exec_lo, s2
	s_cbranch_vccz .LBB23_587
.LBB23_354:
	v_cmp_eq_u32_e64 s0, 0, v0
	s_wait_loadcnt 0x17
	ds_store_b32 v117, v3
	s_wait_loadcnt_dscnt 0x0
	s_barrier_signal -1
	s_barrier_wait -1
	s_and_saveexec_b32 s1, s0
	s_cbranch_execz .LBB23_360
; %bb.355:
	s_and_b32 vcc_lo, exec_lo, s28
	s_cbranch_vccz .LBB23_357
; %bb.356:
	v_cmp_eq_u32_e32 vcc_lo, 1, v0
	ds_load_b32 v26, v117
	v_cndmask_b32_e32 v3, v2, v3, vcc_lo
	v_cmp_eq_u32_e32 vcc_lo, 2, v0
	s_delay_alu instid0(VALU_DEP_2) | instskip(SKIP_1) | instid1(VALU_DEP_2)
	v_cndmask_b32_e32 v3, v3, v4, vcc_lo
	v_cmp_eq_u32_e32 vcc_lo, 3, v0
	v_cndmask_b32_e32 v3, v3, v5, vcc_lo
	v_cmp_eq_u32_e32 vcc_lo, 4, v0
	s_delay_alu instid0(VALU_DEP_2) | instskip(SKIP_1) | instid1(VALU_DEP_2)
	v_cndmask_b32_e32 v3, v3, v6, vcc_lo
	v_cmp_eq_u32_e32 vcc_lo, 5, v0
	;; [unrolled: 5-line block ×11, first 2 shown]
	v_cndmask_b32_e32 v3, v3, v25, vcc_lo
	s_wait_dscnt 0x0
	s_delay_alu instid0(VALU_DEP_1)
	v_mul_f32_e32 v3, v3, v26
	s_cbranch_execz .LBB23_358
	s_branch .LBB23_359
.LBB23_357:
                                        ; implicit-def: $vgpr3
.LBB23_358:
	ds_load_b32 v3, v117
.LBB23_359:
	v_mov_b32_e32 v26, 0
	ds_load_b32 v26, v26 offset:4
	s_wait_dscnt 0x0
	v_mul_f32_e32 v3, v3, v26
.LBB23_360:
	s_or_b32 exec_lo, exec_lo, s1
	v_cndmask_b32_e64 v34, 0, 1, s28
	s_mov_b32 s1, exec_lo
	ds_store_b32 v117, v4
	s_wait_dscnt 0x0
	s_barrier_signal -1
	s_barrier_wait -1
	v_cmpx_gt_u32_e32 2, v0
	s_cbranch_execz .LBB23_366
; %bb.361:
	s_and_not1_b32 vcc_lo, exec_lo, s28
	s_cbranch_vccnz .LBB23_363
; %bb.362:
	v_cmp_eq_u32_e32 vcc_lo, 1, v0
	v_cndmask_b32_e32 v26, v2, v3, vcc_lo
	v_cmp_eq_u32_e32 vcc_lo, 2, v0
	s_delay_alu instid0(VALU_DEP_2) | instskip(SKIP_4) | instid1(VALU_DEP_2)
	v_cndmask_b32_e32 v4, v26, v4, vcc_lo
	v_cmp_eq_u32_e32 vcc_lo, 3, v0
	ds_load_b32 v26, v117
	v_cndmask_b32_e32 v4, v4, v5, vcc_lo
	v_cmp_eq_u32_e32 vcc_lo, 4, v0
	v_cndmask_b32_e32 v4, v4, v6, vcc_lo
	v_cmp_eq_u32_e32 vcc_lo, 5, v0
	s_delay_alu instid0(VALU_DEP_2) | instskip(SKIP_1) | instid1(VALU_DEP_2)
	v_cndmask_b32_e32 v4, v4, v7, vcc_lo
	v_cmp_eq_u32_e32 vcc_lo, 6, v0
	v_cndmask_b32_e32 v4, v4, v8, vcc_lo
	v_cmp_eq_u32_e32 vcc_lo, 7, v0
	s_delay_alu instid0(VALU_DEP_2) | instskip(SKIP_1) | instid1(VALU_DEP_2)
	;; [unrolled: 5-line block ×9, first 2 shown]
	v_cndmask_b32_e32 v4, v4, v23, vcc_lo
	v_cmp_eq_u32_e32 vcc_lo, 22, v0
	v_cndmask_b32_e32 v4, v4, v24, vcc_lo
	v_cmp_eq_u32_e32 vcc_lo, 23, v0
	s_delay_alu instid0(VALU_DEP_2) | instskip(SKIP_1) | instid1(VALU_DEP_1)
	v_cndmask_b32_e32 v4, v4, v25, vcc_lo
	s_wait_dscnt 0x0
	v_mul_f32_e32 v4, v4, v26
	s_cbranch_execz .LBB23_364
	s_branch .LBB23_365
.LBB23_363:
                                        ; implicit-def: $vgpr4
.LBB23_364:
	ds_load_b32 v4, v117
.LBB23_365:
	v_mov_b32_e32 v26, 0
	ds_load_2addr_b32 v[26:27], v26 offset0:2 offset1:25
	s_wait_dscnt 0x0
	v_fma_f32 v27, v3, v27, v4
	s_delay_alu instid0(VALU_DEP_1) | instskip(NEXT) | instid1(VALU_DEP_1)
	v_cndmask_b32_e64 v4, v4, v27, s0
	v_mul_f32_e32 v4, v4, v26
.LBB23_366:
	s_or_b32 exec_lo, exec_lo, s1
	v_add_nc_u32_e32 v35, 1, v0
	v_cmp_gt_u32_e64 s1, 3, v0
	ds_store_b32 v117, v5
	s_wait_dscnt 0x0
	s_barrier_signal -1
	s_barrier_wait -1
	s_and_saveexec_b32 s2, s1
	s_cbranch_execz .LBB23_374
; %bb.367:
	v_cmp_ne_u32_e32 vcc_lo, 1, v34
	s_cbranch_vccnz .LBB23_369
; %bb.368:
	v_cmp_eq_u32_e32 vcc_lo, 1, v0
	ds_load_b32 v27, v117
	v_cndmask_b32_e32 v26, v2, v3, vcc_lo
	v_cmp_eq_u32_e32 vcc_lo, 2, v0
	s_delay_alu instid0(VALU_DEP_2) | instskip(SKIP_1) | instid1(VALU_DEP_2)
	v_cndmask_b32_e32 v26, v26, v4, vcc_lo
	v_cmp_eq_u32_e32 vcc_lo, 3, v0
	v_cndmask_b32_e32 v26, v26, v5, vcc_lo
	v_cmp_eq_u32_e32 vcc_lo, 4, v0
	s_delay_alu instid0(VALU_DEP_2) | instskip(SKIP_1) | instid1(VALU_DEP_2)
	v_cndmask_b32_e32 v26, v26, v6, vcc_lo
	v_cmp_eq_u32_e32 vcc_lo, 5, v0
	v_cndmask_b32_e32 v26, v26, v7, vcc_lo
	v_cmp_eq_u32_e32 vcc_lo, 6, v0
	s_delay_alu instid0(VALU_DEP_2) | instskip(SKIP_1) | instid1(VALU_DEP_2)
	v_cndmask_b32_e32 v26, v26, v8, vcc_lo
	v_cmp_eq_u32_e32 vcc_lo, 7, v0
	v_cndmask_b32_e32 v26, v26, v9, vcc_lo
	v_cmp_eq_u32_e32 vcc_lo, 8, v0
	s_delay_alu instid0(VALU_DEP_2) | instskip(SKIP_1) | instid1(VALU_DEP_2)
	v_cndmask_b32_e32 v26, v26, v10, vcc_lo
	v_cmp_eq_u32_e32 vcc_lo, 9, v0
	v_cndmask_b32_e32 v26, v26, v11, vcc_lo
	v_cmp_eq_u32_e32 vcc_lo, 10, v0
	s_delay_alu instid0(VALU_DEP_2) | instskip(SKIP_1) | instid1(VALU_DEP_2)
	v_cndmask_b32_e32 v26, v26, v12, vcc_lo
	v_cmp_eq_u32_e32 vcc_lo, 11, v0
	v_cndmask_b32_e32 v26, v26, v13, vcc_lo
	v_cmp_eq_u32_e32 vcc_lo, 12, v0
	s_delay_alu instid0(VALU_DEP_2) | instskip(SKIP_1) | instid1(VALU_DEP_2)
	v_cndmask_b32_e32 v26, v26, v14, vcc_lo
	v_cmp_eq_u32_e32 vcc_lo, 13, v0
	v_cndmask_b32_e32 v26, v26, v15, vcc_lo
	v_cmp_eq_u32_e32 vcc_lo, 14, v0
	s_delay_alu instid0(VALU_DEP_2) | instskip(SKIP_1) | instid1(VALU_DEP_2)
	v_cndmask_b32_e32 v26, v26, v16, vcc_lo
	v_cmp_eq_u32_e32 vcc_lo, 15, v0
	v_cndmask_b32_e32 v26, v26, v17, vcc_lo
	v_cmp_eq_u32_e32 vcc_lo, 16, v0
	s_delay_alu instid0(VALU_DEP_2) | instskip(SKIP_1) | instid1(VALU_DEP_2)
	v_cndmask_b32_e32 v26, v26, v18, vcc_lo
	v_cmp_eq_u32_e32 vcc_lo, 17, v0
	v_cndmask_b32_e32 v26, v26, v19, vcc_lo
	v_cmp_eq_u32_e32 vcc_lo, 18, v0
	s_delay_alu instid0(VALU_DEP_2) | instskip(SKIP_1) | instid1(VALU_DEP_2)
	v_cndmask_b32_e32 v26, v26, v20, vcc_lo
	v_cmp_eq_u32_e32 vcc_lo, 19, v0
	v_cndmask_b32_e32 v26, v26, v21, vcc_lo
	v_cmp_eq_u32_e32 vcc_lo, 20, v0
	s_delay_alu instid0(VALU_DEP_2) | instskip(SKIP_1) | instid1(VALU_DEP_2)
	v_cndmask_b32_e32 v26, v26, v22, vcc_lo
	v_cmp_eq_u32_e32 vcc_lo, 21, v0
	v_cndmask_b32_e32 v26, v26, v23, vcc_lo
	v_cmp_eq_u32_e32 vcc_lo, 22, v0
	s_delay_alu instid0(VALU_DEP_2) | instskip(SKIP_1) | instid1(VALU_DEP_2)
	v_cndmask_b32_e32 v26, v26, v24, vcc_lo
	v_cmp_eq_u32_e32 vcc_lo, 23, v0
	v_cndmask_b32_e32 v26, v26, v25, vcc_lo
	s_wait_dscnt 0x0
	s_delay_alu instid0(VALU_DEP_1)
	v_mul_f32_e32 v26, v26, v27
	s_cbranch_execz .LBB23_370
	s_branch .LBB23_371
.LBB23_369:
                                        ; implicit-def: $vgpr26
.LBB23_370:
	ds_load_b32 v26, v117
.LBB23_371:
	s_mov_b32 s3, exec_lo
	v_cmpx_ne_u32_e32 2, v0
	s_cbranch_execz .LBB23_373
; %bb.372:
	v_cmp_eq_u32_e32 vcc_lo, 1, v35
	v_dual_mov_b32 v28, 0 :: v_dual_cndmask_b32 v27, v2, v3
	v_cmp_eq_u32_e32 vcc_lo, 2, v35
	ds_load_b32 v28, v28 offset:104
	v_cndmask_b32_e32 v27, v27, v4, vcc_lo
	v_cmp_eq_u32_e32 vcc_lo, 3, v35
	s_delay_alu instid0(VALU_DEP_2) | instskip(SKIP_4) | instid1(VALU_DEP_2)
	v_cndmask_b32_e32 v5, v27, v5, vcc_lo
	v_cmp_eq_u32_e32 vcc_lo, 4, v35
	ds_load_b32 v27, v117 offset:4
	v_cndmask_b32_e32 v5, v5, v6, vcc_lo
	v_cmp_eq_u32_e32 vcc_lo, 5, v35
	v_cndmask_b32_e32 v5, v5, v7, vcc_lo
	v_cmp_eq_u32_e32 vcc_lo, 6, v35
	s_delay_alu instid0(VALU_DEP_2) | instskip(SKIP_1) | instid1(VALU_DEP_2)
	v_cndmask_b32_e32 v5, v5, v8, vcc_lo
	v_cmp_eq_u32_e32 vcc_lo, 7, v35
	v_cndmask_b32_e32 v5, v5, v9, vcc_lo
	v_cmp_eq_u32_e32 vcc_lo, 8, v35
	s_delay_alu instid0(VALU_DEP_2) | instskip(SKIP_1) | instid1(VALU_DEP_2)
	;; [unrolled: 5-line block ×9, first 2 shown]
	v_cndmask_b32_e32 v5, v5, v24, vcc_lo
	v_cmp_eq_u32_e32 vcc_lo, 23, v35
	v_cndmask_b32_e32 v5, v5, v25, vcc_lo
	s_wait_dscnt 0x0
	s_delay_alu instid0(VALU_DEP_1) | instskip(NEXT) | instid1(VALU_DEP_1)
	v_fmac_f32_e32 v26, v5, v27
	v_fma_f32 v5, v4, v28, v26
	s_delay_alu instid0(VALU_DEP_1)
	v_cndmask_b32_e64 v26, v26, v5, s0
.LBB23_373:
	s_or_b32 exec_lo, exec_lo, s3
	v_mov_b32_e32 v5, 0
	ds_load_b32 v5, v5 offset:12
	s_wait_dscnt 0x0
	v_mul_f32_e32 v5, v26, v5
.LBB23_374:
	s_or_b32 exec_lo, exec_lo, s2
	s_delay_alu instid0(SALU_CYCLE_1)
	s_mov_b32 s2, exec_lo
	ds_store_b32 v117, v6
	s_wait_dscnt 0x0
	s_barrier_signal -1
	s_barrier_wait -1
	v_cmpx_gt_u32_e32 4, v0
	s_cbranch_execz .LBB23_384
; %bb.375:
	v_cmp_ne_u32_e32 vcc_lo, 1, v34
	s_cbranch_vccnz .LBB23_377
; %bb.376:
	v_cmp_eq_u32_e32 vcc_lo, 1, v0
	ds_load_b32 v27, v117
	v_cndmask_b32_e32 v26, v2, v3, vcc_lo
	v_cmp_eq_u32_e32 vcc_lo, 2, v0
	s_delay_alu instid0(VALU_DEP_2) | instskip(SKIP_1) | instid1(VALU_DEP_2)
	v_cndmask_b32_e32 v26, v26, v4, vcc_lo
	v_cmp_eq_u32_e32 vcc_lo, 3, v0
	v_cndmask_b32_e32 v26, v26, v5, vcc_lo
	v_cmp_eq_u32_e32 vcc_lo, 4, v0
	s_delay_alu instid0(VALU_DEP_2) | instskip(SKIP_1) | instid1(VALU_DEP_2)
	v_cndmask_b32_e32 v26, v26, v6, vcc_lo
	v_cmp_eq_u32_e32 vcc_lo, 5, v0
	;; [unrolled: 5-line block ×11, first 2 shown]
	v_cndmask_b32_e32 v26, v26, v25, vcc_lo
	s_wait_dscnt 0x0
	s_delay_alu instid0(VALU_DEP_1)
	v_mul_f32_e32 v28, v26, v27
	s_cbranch_execz .LBB23_378
	s_branch .LBB23_379
.LBB23_377:
                                        ; implicit-def: $vgpr28
.LBB23_378:
	ds_load_b32 v28, v117
.LBB23_379:
	s_mov_b32 s3, exec_lo
	v_cmpx_ne_u32_e32 3, v0
	s_cbranch_execz .LBB23_383
; %bb.380:
	v_mov_b64_e32 v[26:27], v[0:1]
	v_lshl_add_u32 v29, v0, 2, 0x64
	s_mov_b32 s4, 0
.LBB23_381:                             ; =>This Inner Loop Header: Depth=1
	s_delay_alu instid0(VALU_DEP_2)
	v_add_nc_u64_e32 v[26:27], 1, v[26:27]
	ds_load_b32 v31, v29
	v_add_nc_u32_e32 v29, 4, v29
	v_cmp_eq_u32_e32 vcc_lo, 1, v26
	v_cndmask_b32_e32 v30, v2, v3, vcc_lo
	v_cmp_eq_u32_e32 vcc_lo, 2, v26
	s_delay_alu instid0(VALU_DEP_2) | instskip(SKIP_1) | instid1(VALU_DEP_2)
	v_cndmask_b32_e32 v30, v30, v4, vcc_lo
	v_cmp_eq_u32_e32 vcc_lo, 3, v26
	v_cndmask_b32_e32 v30, v30, v5, vcc_lo
	v_cmp_eq_u32_e32 vcc_lo, 4, v26
	s_delay_alu instid0(VALU_DEP_2) | instskip(SKIP_1) | instid1(VALU_DEP_2)
	v_cndmask_b32_e32 v30, v30, v6, vcc_lo
	;; [unrolled: 5-line block ×11, first 2 shown]
	v_cmp_eq_u32_e32 vcc_lo, 23, v26
	v_cndmask_b32_e32 v30, v30, v25, vcc_lo
	v_cmp_lt_u32_e32 vcc_lo, 2, v26
	s_wait_dscnt 0x0
	s_delay_alu instid0(VALU_DEP_2) | instskip(SKIP_1) | instid1(SALU_CYCLE_1)
	v_fmac_f32_e32 v28, v30, v31
	s_or_b32 s4, vcc_lo, s4
	s_and_not1_b32 exec_lo, exec_lo, s4
	s_cbranch_execnz .LBB23_381
; %bb.382:
	s_or_b32 exec_lo, exec_lo, s4
.LBB23_383:
	s_delay_alu instid0(SALU_CYCLE_1)
	s_or_b32 exec_lo, exec_lo, s3
	v_mov_b32_e32 v6, 0
	ds_load_b32 v6, v6 offset:16
	s_wait_dscnt 0x0
	v_mul_f32_e32 v6, v28, v6
.LBB23_384:
	s_or_b32 exec_lo, exec_lo, s2
	v_cmp_gt_u32_e64 s2, 5, v0
	ds_store_b32 v117, v7
	s_wait_dscnt 0x0
	s_barrier_signal -1
	s_barrier_wait -1
	s_and_saveexec_b32 s3, s2
	s_cbranch_execz .LBB23_394
; %bb.385:
	v_cmp_ne_u32_e32 vcc_lo, 1, v34
	s_cbranch_vccnz .LBB23_387
; %bb.386:
	v_cmp_eq_u32_e32 vcc_lo, 1, v0
	ds_load_b32 v27, v117
	v_cndmask_b32_e32 v26, v2, v3, vcc_lo
	v_cmp_eq_u32_e32 vcc_lo, 2, v0
	s_delay_alu instid0(VALU_DEP_2) | instskip(SKIP_1) | instid1(VALU_DEP_2)
	v_cndmask_b32_e32 v26, v26, v4, vcc_lo
	v_cmp_eq_u32_e32 vcc_lo, 3, v0
	v_cndmask_b32_e32 v26, v26, v5, vcc_lo
	v_cmp_eq_u32_e32 vcc_lo, 4, v0
	s_delay_alu instid0(VALU_DEP_2) | instskip(SKIP_1) | instid1(VALU_DEP_2)
	v_cndmask_b32_e32 v26, v26, v6, vcc_lo
	v_cmp_eq_u32_e32 vcc_lo, 5, v0
	v_cndmask_b32_e32 v26, v26, v7, vcc_lo
	v_cmp_eq_u32_e32 vcc_lo, 6, v0
	s_delay_alu instid0(VALU_DEP_2) | instskip(SKIP_1) | instid1(VALU_DEP_2)
	v_cndmask_b32_e32 v26, v26, v8, vcc_lo
	v_cmp_eq_u32_e32 vcc_lo, 7, v0
	v_cndmask_b32_e32 v26, v26, v9, vcc_lo
	v_cmp_eq_u32_e32 vcc_lo, 8, v0
	s_delay_alu instid0(VALU_DEP_2) | instskip(SKIP_1) | instid1(VALU_DEP_2)
	v_cndmask_b32_e32 v26, v26, v10, vcc_lo
	v_cmp_eq_u32_e32 vcc_lo, 9, v0
	v_cndmask_b32_e32 v26, v26, v11, vcc_lo
	v_cmp_eq_u32_e32 vcc_lo, 10, v0
	s_delay_alu instid0(VALU_DEP_2) | instskip(SKIP_1) | instid1(VALU_DEP_2)
	v_cndmask_b32_e32 v26, v26, v12, vcc_lo
	v_cmp_eq_u32_e32 vcc_lo, 11, v0
	v_cndmask_b32_e32 v26, v26, v13, vcc_lo
	v_cmp_eq_u32_e32 vcc_lo, 12, v0
	s_delay_alu instid0(VALU_DEP_2) | instskip(SKIP_1) | instid1(VALU_DEP_2)
	v_cndmask_b32_e32 v26, v26, v14, vcc_lo
	v_cmp_eq_u32_e32 vcc_lo, 13, v0
	v_cndmask_b32_e32 v26, v26, v15, vcc_lo
	v_cmp_eq_u32_e32 vcc_lo, 14, v0
	s_delay_alu instid0(VALU_DEP_2) | instskip(SKIP_1) | instid1(VALU_DEP_2)
	v_cndmask_b32_e32 v26, v26, v16, vcc_lo
	v_cmp_eq_u32_e32 vcc_lo, 15, v0
	v_cndmask_b32_e32 v26, v26, v17, vcc_lo
	v_cmp_eq_u32_e32 vcc_lo, 16, v0
	s_delay_alu instid0(VALU_DEP_2) | instskip(SKIP_1) | instid1(VALU_DEP_2)
	v_cndmask_b32_e32 v26, v26, v18, vcc_lo
	v_cmp_eq_u32_e32 vcc_lo, 17, v0
	v_cndmask_b32_e32 v26, v26, v19, vcc_lo
	v_cmp_eq_u32_e32 vcc_lo, 18, v0
	s_delay_alu instid0(VALU_DEP_2) | instskip(SKIP_1) | instid1(VALU_DEP_2)
	v_cndmask_b32_e32 v26, v26, v20, vcc_lo
	v_cmp_eq_u32_e32 vcc_lo, 19, v0
	v_cndmask_b32_e32 v26, v26, v21, vcc_lo
	v_cmp_eq_u32_e32 vcc_lo, 20, v0
	s_delay_alu instid0(VALU_DEP_2) | instskip(SKIP_1) | instid1(VALU_DEP_2)
	v_cndmask_b32_e32 v26, v26, v22, vcc_lo
	v_cmp_eq_u32_e32 vcc_lo, 21, v0
	v_cndmask_b32_e32 v26, v26, v23, vcc_lo
	v_cmp_eq_u32_e32 vcc_lo, 22, v0
	s_delay_alu instid0(VALU_DEP_2) | instskip(SKIP_1) | instid1(VALU_DEP_2)
	v_cndmask_b32_e32 v26, v26, v24, vcc_lo
	v_cmp_eq_u32_e32 vcc_lo, 23, v0
	v_cndmask_b32_e32 v26, v26, v25, vcc_lo
	s_wait_dscnt 0x0
	s_delay_alu instid0(VALU_DEP_1)
	v_mul_f32_e32 v28, v26, v27
	s_cbranch_execz .LBB23_388
	s_branch .LBB23_389
.LBB23_387:
                                        ; implicit-def: $vgpr28
.LBB23_388:
	ds_load_b32 v28, v117
.LBB23_389:
	s_mov_b32 s4, exec_lo
	v_cmpx_ne_u32_e32 4, v0
	s_cbranch_execz .LBB23_393
; %bb.390:
	v_mov_b64_e32 v[26:27], v[0:1]
	v_lshl_add_u32 v29, v0, 2, 0x64
	s_mov_b32 s5, 0
.LBB23_391:                             ; =>This Inner Loop Header: Depth=1
	s_delay_alu instid0(VALU_DEP_2)
	v_add_nc_u64_e32 v[26:27], 1, v[26:27]
	ds_load_b32 v31, v29
	v_add_nc_u32_e32 v29, 4, v29
	v_cmp_eq_u32_e32 vcc_lo, 1, v26
	v_cndmask_b32_e32 v30, v2, v3, vcc_lo
	v_cmp_eq_u32_e32 vcc_lo, 2, v26
	s_delay_alu instid0(VALU_DEP_2) | instskip(SKIP_1) | instid1(VALU_DEP_2)
	v_cndmask_b32_e32 v30, v30, v4, vcc_lo
	v_cmp_eq_u32_e32 vcc_lo, 3, v26
	v_cndmask_b32_e32 v30, v30, v5, vcc_lo
	v_cmp_eq_u32_e32 vcc_lo, 4, v26
	s_delay_alu instid0(VALU_DEP_2) | instskip(SKIP_1) | instid1(VALU_DEP_2)
	v_cndmask_b32_e32 v30, v30, v6, vcc_lo
	;; [unrolled: 5-line block ×11, first 2 shown]
	v_cmp_eq_u32_e32 vcc_lo, 23, v26
	v_cndmask_b32_e32 v30, v30, v25, vcc_lo
	v_cmp_lt_u32_e32 vcc_lo, 3, v26
	s_wait_dscnt 0x0
	s_delay_alu instid0(VALU_DEP_2) | instskip(SKIP_1) | instid1(SALU_CYCLE_1)
	v_fmac_f32_e32 v28, v30, v31
	s_or_b32 s5, vcc_lo, s5
	s_and_not1_b32 exec_lo, exec_lo, s5
	s_cbranch_execnz .LBB23_391
; %bb.392:
	s_or_b32 exec_lo, exec_lo, s5
.LBB23_393:
	s_delay_alu instid0(SALU_CYCLE_1)
	s_or_b32 exec_lo, exec_lo, s4
	v_mov_b32_e32 v7, 0
	ds_load_b32 v7, v7 offset:20
	s_wait_dscnt 0x0
	v_mul_f32_e32 v7, v28, v7
.LBB23_394:
	s_or_b32 exec_lo, exec_lo, s3
	s_delay_alu instid0(SALU_CYCLE_1)
	s_mov_b32 s3, exec_lo
	ds_store_b32 v117, v8
	s_wait_dscnt 0x0
	s_barrier_signal -1
	s_barrier_wait -1
	v_cmpx_gt_u32_e32 6, v0
	s_cbranch_execz .LBB23_404
; %bb.395:
	v_cmp_ne_u32_e32 vcc_lo, 1, v34
	s_cbranch_vccnz .LBB23_397
; %bb.396:
	v_cmp_eq_u32_e32 vcc_lo, 1, v0
	ds_load_b32 v27, v117
	v_cndmask_b32_e32 v26, v2, v3, vcc_lo
	v_cmp_eq_u32_e32 vcc_lo, 2, v0
	s_delay_alu instid0(VALU_DEP_2) | instskip(SKIP_1) | instid1(VALU_DEP_2)
	v_cndmask_b32_e32 v26, v26, v4, vcc_lo
	v_cmp_eq_u32_e32 vcc_lo, 3, v0
	v_cndmask_b32_e32 v26, v26, v5, vcc_lo
	v_cmp_eq_u32_e32 vcc_lo, 4, v0
	s_delay_alu instid0(VALU_DEP_2) | instskip(SKIP_1) | instid1(VALU_DEP_2)
	v_cndmask_b32_e32 v26, v26, v6, vcc_lo
	v_cmp_eq_u32_e32 vcc_lo, 5, v0
	;; [unrolled: 5-line block ×11, first 2 shown]
	v_cndmask_b32_e32 v26, v26, v25, vcc_lo
	s_wait_dscnt 0x0
	s_delay_alu instid0(VALU_DEP_1)
	v_mul_f32_e32 v28, v26, v27
	s_cbranch_execz .LBB23_398
	s_branch .LBB23_399
.LBB23_397:
                                        ; implicit-def: $vgpr28
.LBB23_398:
	ds_load_b32 v28, v117
.LBB23_399:
	s_mov_b32 s4, exec_lo
	v_cmpx_ne_u32_e32 5, v0
	s_cbranch_execz .LBB23_403
; %bb.400:
	v_mov_b64_e32 v[26:27], v[0:1]
	v_lshl_add_u32 v29, v0, 2, 0x64
	s_mov_b32 s5, 0
.LBB23_401:                             ; =>This Inner Loop Header: Depth=1
	s_delay_alu instid0(VALU_DEP_2)
	v_add_nc_u64_e32 v[26:27], 1, v[26:27]
	ds_load_b32 v31, v29
	v_add_nc_u32_e32 v29, 4, v29
	v_cmp_eq_u32_e32 vcc_lo, 1, v26
	v_cndmask_b32_e32 v30, v2, v3, vcc_lo
	v_cmp_eq_u32_e32 vcc_lo, 2, v26
	s_delay_alu instid0(VALU_DEP_2) | instskip(SKIP_1) | instid1(VALU_DEP_2)
	v_cndmask_b32_e32 v30, v30, v4, vcc_lo
	v_cmp_eq_u32_e32 vcc_lo, 3, v26
	v_cndmask_b32_e32 v30, v30, v5, vcc_lo
	v_cmp_eq_u32_e32 vcc_lo, 4, v26
	s_delay_alu instid0(VALU_DEP_2) | instskip(SKIP_1) | instid1(VALU_DEP_2)
	v_cndmask_b32_e32 v30, v30, v6, vcc_lo
	;; [unrolled: 5-line block ×11, first 2 shown]
	v_cmp_eq_u32_e32 vcc_lo, 23, v26
	v_cndmask_b32_e32 v30, v30, v25, vcc_lo
	v_cmp_lt_u32_e32 vcc_lo, 4, v26
	s_wait_dscnt 0x0
	s_delay_alu instid0(VALU_DEP_2) | instskip(SKIP_1) | instid1(SALU_CYCLE_1)
	v_fmac_f32_e32 v28, v30, v31
	s_or_b32 s5, vcc_lo, s5
	s_and_not1_b32 exec_lo, exec_lo, s5
	s_cbranch_execnz .LBB23_401
; %bb.402:
	s_or_b32 exec_lo, exec_lo, s5
.LBB23_403:
	s_delay_alu instid0(SALU_CYCLE_1)
	s_or_b32 exec_lo, exec_lo, s4
	v_mov_b32_e32 v8, 0
	ds_load_b32 v8, v8 offset:24
	s_wait_dscnt 0x0
	v_mul_f32_e32 v8, v28, v8
.LBB23_404:
	s_or_b32 exec_lo, exec_lo, s3
	v_cmp_gt_u32_e64 s3, 7, v0
	ds_store_b32 v117, v9
	s_wait_dscnt 0x0
	s_barrier_signal -1
	s_barrier_wait -1
	s_and_saveexec_b32 s4, s3
	s_cbranch_execz .LBB23_414
; %bb.405:
	v_cmp_ne_u32_e32 vcc_lo, 1, v34
	s_cbranch_vccnz .LBB23_407
; %bb.406:
	v_cmp_eq_u32_e32 vcc_lo, 1, v0
	ds_load_b32 v27, v117
	v_cndmask_b32_e32 v26, v2, v3, vcc_lo
	v_cmp_eq_u32_e32 vcc_lo, 2, v0
	s_delay_alu instid0(VALU_DEP_2) | instskip(SKIP_1) | instid1(VALU_DEP_2)
	v_cndmask_b32_e32 v26, v26, v4, vcc_lo
	v_cmp_eq_u32_e32 vcc_lo, 3, v0
	v_cndmask_b32_e32 v26, v26, v5, vcc_lo
	v_cmp_eq_u32_e32 vcc_lo, 4, v0
	s_delay_alu instid0(VALU_DEP_2) | instskip(SKIP_1) | instid1(VALU_DEP_2)
	v_cndmask_b32_e32 v26, v26, v6, vcc_lo
	v_cmp_eq_u32_e32 vcc_lo, 5, v0
	;; [unrolled: 5-line block ×11, first 2 shown]
	v_cndmask_b32_e32 v26, v26, v25, vcc_lo
	s_wait_dscnt 0x0
	s_delay_alu instid0(VALU_DEP_1)
	v_mul_f32_e32 v28, v26, v27
	s_cbranch_execz .LBB23_408
	s_branch .LBB23_409
.LBB23_407:
                                        ; implicit-def: $vgpr28
.LBB23_408:
	ds_load_b32 v28, v117
.LBB23_409:
	s_mov_b32 s5, exec_lo
	v_cmpx_ne_u32_e32 6, v0
	s_cbranch_execz .LBB23_413
; %bb.410:
	v_mov_b64_e32 v[26:27], v[0:1]
	v_lshl_add_u32 v29, v0, 2, 0x64
	s_mov_b32 s6, 0
.LBB23_411:                             ; =>This Inner Loop Header: Depth=1
	s_delay_alu instid0(VALU_DEP_2)
	v_add_nc_u64_e32 v[26:27], 1, v[26:27]
	ds_load_b32 v31, v29
	v_add_nc_u32_e32 v29, 4, v29
	v_cmp_eq_u32_e32 vcc_lo, 1, v26
	v_cndmask_b32_e32 v30, v2, v3, vcc_lo
	v_cmp_eq_u32_e32 vcc_lo, 2, v26
	s_delay_alu instid0(VALU_DEP_2) | instskip(SKIP_1) | instid1(VALU_DEP_2)
	v_cndmask_b32_e32 v30, v30, v4, vcc_lo
	v_cmp_eq_u32_e32 vcc_lo, 3, v26
	v_cndmask_b32_e32 v30, v30, v5, vcc_lo
	v_cmp_eq_u32_e32 vcc_lo, 4, v26
	s_delay_alu instid0(VALU_DEP_2) | instskip(SKIP_1) | instid1(VALU_DEP_2)
	v_cndmask_b32_e32 v30, v30, v6, vcc_lo
	;; [unrolled: 5-line block ×11, first 2 shown]
	v_cmp_eq_u32_e32 vcc_lo, 23, v26
	v_cndmask_b32_e32 v30, v30, v25, vcc_lo
	v_cmp_lt_u32_e32 vcc_lo, 5, v26
	s_wait_dscnt 0x0
	s_delay_alu instid0(VALU_DEP_2) | instskip(SKIP_1) | instid1(SALU_CYCLE_1)
	v_fmac_f32_e32 v28, v30, v31
	s_or_b32 s6, vcc_lo, s6
	s_and_not1_b32 exec_lo, exec_lo, s6
	s_cbranch_execnz .LBB23_411
; %bb.412:
	s_or_b32 exec_lo, exec_lo, s6
.LBB23_413:
	s_delay_alu instid0(SALU_CYCLE_1)
	s_or_b32 exec_lo, exec_lo, s5
	v_mov_b32_e32 v9, 0
	ds_load_b32 v9, v9 offset:28
	s_wait_dscnt 0x0
	v_mul_f32_e32 v9, v28, v9
.LBB23_414:
	s_or_b32 exec_lo, exec_lo, s4
	s_delay_alu instid0(SALU_CYCLE_1)
	s_mov_b32 s4, exec_lo
	ds_store_b32 v117, v10
	s_wait_dscnt 0x0
	s_barrier_signal -1
	s_barrier_wait -1
	v_cmpx_gt_u32_e32 8, v0
	s_cbranch_execz .LBB23_424
; %bb.415:
	v_cmp_ne_u32_e32 vcc_lo, 1, v34
	s_cbranch_vccnz .LBB23_417
; %bb.416:
	v_cmp_eq_u32_e32 vcc_lo, 1, v0
	ds_load_b32 v27, v117
	v_cndmask_b32_e32 v26, v2, v3, vcc_lo
	v_cmp_eq_u32_e32 vcc_lo, 2, v0
	s_delay_alu instid0(VALU_DEP_2) | instskip(SKIP_1) | instid1(VALU_DEP_2)
	v_cndmask_b32_e32 v26, v26, v4, vcc_lo
	v_cmp_eq_u32_e32 vcc_lo, 3, v0
	v_cndmask_b32_e32 v26, v26, v5, vcc_lo
	v_cmp_eq_u32_e32 vcc_lo, 4, v0
	s_delay_alu instid0(VALU_DEP_2) | instskip(SKIP_1) | instid1(VALU_DEP_2)
	v_cndmask_b32_e32 v26, v26, v6, vcc_lo
	v_cmp_eq_u32_e32 vcc_lo, 5, v0
	;; [unrolled: 5-line block ×11, first 2 shown]
	v_cndmask_b32_e32 v26, v26, v25, vcc_lo
	s_wait_dscnt 0x0
	s_delay_alu instid0(VALU_DEP_1)
	v_mul_f32_e32 v28, v26, v27
	s_cbranch_execz .LBB23_418
	s_branch .LBB23_419
.LBB23_417:
                                        ; implicit-def: $vgpr28
.LBB23_418:
	ds_load_b32 v28, v117
.LBB23_419:
	s_mov_b32 s5, exec_lo
	v_cmpx_ne_u32_e32 7, v0
	s_cbranch_execz .LBB23_423
; %bb.420:
	v_mov_b64_e32 v[26:27], v[0:1]
	v_lshl_add_u32 v29, v0, 2, 0x64
	s_mov_b32 s6, 0
.LBB23_421:                             ; =>This Inner Loop Header: Depth=1
	s_delay_alu instid0(VALU_DEP_2)
	v_add_nc_u64_e32 v[26:27], 1, v[26:27]
	ds_load_b32 v31, v29
	v_add_nc_u32_e32 v29, 4, v29
	v_cmp_eq_u32_e32 vcc_lo, 1, v26
	v_cndmask_b32_e32 v30, v2, v3, vcc_lo
	v_cmp_eq_u32_e32 vcc_lo, 2, v26
	s_delay_alu instid0(VALU_DEP_2) | instskip(SKIP_1) | instid1(VALU_DEP_2)
	v_cndmask_b32_e32 v30, v30, v4, vcc_lo
	v_cmp_eq_u32_e32 vcc_lo, 3, v26
	v_cndmask_b32_e32 v30, v30, v5, vcc_lo
	v_cmp_eq_u32_e32 vcc_lo, 4, v26
	s_delay_alu instid0(VALU_DEP_2) | instskip(SKIP_1) | instid1(VALU_DEP_2)
	v_cndmask_b32_e32 v30, v30, v6, vcc_lo
	;; [unrolled: 5-line block ×11, first 2 shown]
	v_cmp_eq_u32_e32 vcc_lo, 23, v26
	v_cndmask_b32_e32 v30, v30, v25, vcc_lo
	v_cmp_lt_u32_e32 vcc_lo, 6, v26
	s_wait_dscnt 0x0
	s_delay_alu instid0(VALU_DEP_2) | instskip(SKIP_1) | instid1(SALU_CYCLE_1)
	v_fmac_f32_e32 v28, v30, v31
	s_or_b32 s6, vcc_lo, s6
	s_and_not1_b32 exec_lo, exec_lo, s6
	s_cbranch_execnz .LBB23_421
; %bb.422:
	s_or_b32 exec_lo, exec_lo, s6
.LBB23_423:
	s_delay_alu instid0(SALU_CYCLE_1)
	s_or_b32 exec_lo, exec_lo, s5
	v_mov_b32_e32 v10, 0
	ds_load_b32 v10, v10 offset:32
	s_wait_dscnt 0x0
	v_mul_f32_e32 v10, v28, v10
.LBB23_424:
	s_or_b32 exec_lo, exec_lo, s4
	s_delay_alu instid0(SALU_CYCLE_1)
	s_mov_b32 s4, exec_lo
	ds_store_b32 v117, v11
	s_wait_dscnt 0x0
	s_barrier_signal -1
	s_barrier_wait -1
	v_cmpx_gt_u32_e32 9, v0
	s_cbranch_execz .LBB23_446
; %bb.425:
	v_cmp_ne_u32_e32 vcc_lo, 1, v34
	s_cbranch_vccnz .LBB23_427
; %bb.426:
	v_cmp_eq_u32_e32 vcc_lo, 1, v0
	ds_load_b32 v27, v117
	v_cndmask_b32_e32 v26, v2, v3, vcc_lo
	v_cmp_eq_u32_e32 vcc_lo, 2, v0
	s_delay_alu instid0(VALU_DEP_2) | instskip(SKIP_1) | instid1(VALU_DEP_2)
	v_cndmask_b32_e32 v26, v26, v4, vcc_lo
	v_cmp_eq_u32_e32 vcc_lo, 3, v0
	v_cndmask_b32_e32 v26, v26, v5, vcc_lo
	v_cmp_eq_u32_e32 vcc_lo, 4, v0
	s_delay_alu instid0(VALU_DEP_2) | instskip(SKIP_1) | instid1(VALU_DEP_2)
	v_cndmask_b32_e32 v26, v26, v6, vcc_lo
	v_cmp_eq_u32_e32 vcc_lo, 5, v0
	;; [unrolled: 5-line block ×11, first 2 shown]
	v_cndmask_b32_e32 v26, v26, v25, vcc_lo
	s_wait_dscnt 0x0
	s_delay_alu instid0(VALU_DEP_1)
	v_mul_f32_e32 v26, v26, v27
	s_cbranch_execz .LBB23_428
	s_branch .LBB23_429
.LBB23_427:
                                        ; implicit-def: $vgpr26
.LBB23_428:
	ds_load_b32 v26, v117
.LBB23_429:
	s_mov_b32 s5, exec_lo
	v_cmpx_ne_u32_e32 8, v0
	s_cbranch_execz .LBB23_445
; %bb.430:
	v_cmp_eq_u32_e32 vcc_lo, 1, v35
	ds_load_b32 v28, v117 offset:4
	v_cndmask_b32_e32 v27, v2, v3, vcc_lo
	v_cmp_eq_u32_e32 vcc_lo, 2, v35
	s_delay_alu instid0(VALU_DEP_2) | instskip(SKIP_1) | instid1(VALU_DEP_2)
	v_cndmask_b32_e32 v27, v27, v4, vcc_lo
	v_cmp_eq_u32_e32 vcc_lo, 3, v35
	v_cndmask_b32_e32 v27, v27, v5, vcc_lo
	v_cmp_eq_u32_e32 vcc_lo, 4, v35
	s_delay_alu instid0(VALU_DEP_2) | instskip(SKIP_1) | instid1(VALU_DEP_2)
	v_cndmask_b32_e32 v27, v27, v6, vcc_lo
	v_cmp_eq_u32_e32 vcc_lo, 5, v35
	;; [unrolled: 5-line block ×11, first 2 shown]
	v_cndmask_b32_e32 v27, v27, v25, vcc_lo
	s_wait_dscnt 0x0
	s_delay_alu instid0(VALU_DEP_1)
	v_fmac_f32_e32 v26, v27, v28
	s_and_saveexec_b32 s6, s3
	s_cbranch_execz .LBB23_444
; %bb.431:
	v_add_nc_u32_e32 v27, 2, v0
	ds_load_b32 v29, v117 offset:8
	s_mov_b32 s3, exec_lo
	v_cmp_eq_u32_e32 vcc_lo, 1, v27
	v_cndmask_b32_e32 v28, v2, v3, vcc_lo
	v_cmp_eq_u32_e32 vcc_lo, 2, v27
	s_delay_alu instid0(VALU_DEP_2) | instskip(SKIP_1) | instid1(VALU_DEP_2)
	v_cndmask_b32_e32 v28, v28, v4, vcc_lo
	v_cmp_eq_u32_e32 vcc_lo, 3, v27
	v_cndmask_b32_e32 v28, v28, v5, vcc_lo
	v_cmp_eq_u32_e32 vcc_lo, 4, v27
	s_delay_alu instid0(VALU_DEP_2) | instskip(SKIP_1) | instid1(VALU_DEP_2)
	v_cndmask_b32_e32 v28, v28, v6, vcc_lo
	;; [unrolled: 5-line block ×11, first 2 shown]
	v_cmp_eq_u32_e32 vcc_lo, 23, v27
	v_cndmask_b32_e32 v27, v28, v25, vcc_lo
	s_wait_dscnt 0x0
	s_delay_alu instid0(VALU_DEP_1)
	v_fmac_f32_e32 v26, v27, v29
	v_cmpx_ne_u32_e32 6, v0
	s_cbranch_execz .LBB23_443
; %bb.432:
	v_add_nc_u32_e32 v27, 3, v0
	ds_load_b32 v29, v117 offset:12
	v_cmp_eq_u32_e32 vcc_lo, 1, v27
	v_cndmask_b32_e32 v28, v2, v3, vcc_lo
	v_cmp_eq_u32_e32 vcc_lo, 2, v27
	s_delay_alu instid0(VALU_DEP_2) | instskip(SKIP_1) | instid1(VALU_DEP_2)
	v_cndmask_b32_e32 v28, v28, v4, vcc_lo
	v_cmp_eq_u32_e32 vcc_lo, 3, v27
	v_cndmask_b32_e32 v28, v28, v5, vcc_lo
	v_cmp_eq_u32_e32 vcc_lo, 4, v27
	s_delay_alu instid0(VALU_DEP_2) | instskip(SKIP_1) | instid1(VALU_DEP_2)
	v_cndmask_b32_e32 v28, v28, v6, vcc_lo
	;; [unrolled: 5-line block ×11, first 2 shown]
	v_cmp_eq_u32_e32 vcc_lo, 23, v27
	v_cndmask_b32_e32 v27, v28, v25, vcc_lo
	s_wait_dscnt 0x0
	s_delay_alu instid0(VALU_DEP_1)
	v_fmac_f32_e32 v26, v27, v29
	s_and_saveexec_b32 s7, s2
	s_cbranch_execz .LBB23_442
; %bb.433:
	v_add_nc_u32_e32 v27, 4, v0
	ds_load_b32 v29, v117 offset:16
	s_mov_b32 s2, exec_lo
	v_cmp_eq_u32_e32 vcc_lo, 1, v27
	v_cndmask_b32_e32 v28, v2, v3, vcc_lo
	v_cmp_eq_u32_e32 vcc_lo, 2, v27
	s_delay_alu instid0(VALU_DEP_2) | instskip(SKIP_1) | instid1(VALU_DEP_2)
	v_cndmask_b32_e32 v28, v28, v4, vcc_lo
	v_cmp_eq_u32_e32 vcc_lo, 3, v27
	v_cndmask_b32_e32 v28, v28, v5, vcc_lo
	v_cmp_eq_u32_e32 vcc_lo, 4, v27
	s_delay_alu instid0(VALU_DEP_2) | instskip(SKIP_1) | instid1(VALU_DEP_2)
	v_cndmask_b32_e32 v28, v28, v6, vcc_lo
	;; [unrolled: 5-line block ×11, first 2 shown]
	v_cmp_eq_u32_e32 vcc_lo, 23, v27
	v_cndmask_b32_e32 v27, v28, v25, vcc_lo
	s_wait_dscnt 0x0
	s_delay_alu instid0(VALU_DEP_1)
	v_fmac_f32_e32 v26, v27, v29
	v_cmpx_ne_u32_e32 4, v0
	s_cbranch_execz .LBB23_441
; %bb.434:
	v_add_nc_u32_e32 v27, 5, v0
	ds_load_b32 v29, v117 offset:20
	v_cmp_eq_u32_e32 vcc_lo, 1, v27
	v_cndmask_b32_e32 v28, v2, v3, vcc_lo
	v_cmp_eq_u32_e32 vcc_lo, 2, v27
	s_delay_alu instid0(VALU_DEP_2) | instskip(SKIP_1) | instid1(VALU_DEP_2)
	v_cndmask_b32_e32 v28, v28, v4, vcc_lo
	v_cmp_eq_u32_e32 vcc_lo, 3, v27
	v_cndmask_b32_e32 v28, v28, v5, vcc_lo
	v_cmp_eq_u32_e32 vcc_lo, 4, v27
	s_delay_alu instid0(VALU_DEP_2) | instskip(SKIP_1) | instid1(VALU_DEP_2)
	v_cndmask_b32_e32 v28, v28, v6, vcc_lo
	;; [unrolled: 5-line block ×11, first 2 shown]
	v_cmp_eq_u32_e32 vcc_lo, 23, v27
	v_cndmask_b32_e32 v27, v28, v25, vcc_lo
	s_wait_dscnt 0x0
	s_delay_alu instid0(VALU_DEP_1)
	v_fmac_f32_e32 v26, v27, v29
	s_and_saveexec_b32 s8, s1
	s_cbranch_execz .LBB23_440
; %bb.435:
	v_add_nc_u32_e32 v27, 6, v0
	ds_load_b32 v29, v117 offset:24
	s_mov_b32 s1, exec_lo
	v_cmp_eq_u32_e32 vcc_lo, 1, v27
	v_cndmask_b32_e32 v28, v2, v3, vcc_lo
	v_cmp_eq_u32_e32 vcc_lo, 2, v27
	s_delay_alu instid0(VALU_DEP_2) | instskip(SKIP_1) | instid1(VALU_DEP_2)
	v_cndmask_b32_e32 v28, v28, v4, vcc_lo
	v_cmp_eq_u32_e32 vcc_lo, 3, v27
	v_cndmask_b32_e32 v28, v28, v5, vcc_lo
	v_cmp_eq_u32_e32 vcc_lo, 4, v27
	s_delay_alu instid0(VALU_DEP_2) | instskip(SKIP_1) | instid1(VALU_DEP_2)
	v_cndmask_b32_e32 v28, v28, v6, vcc_lo
	;; [unrolled: 5-line block ×11, first 2 shown]
	v_cmp_eq_u32_e32 vcc_lo, 23, v27
	v_cndmask_b32_e32 v27, v28, v25, vcc_lo
	s_wait_dscnt 0x0
	s_delay_alu instid0(VALU_DEP_1)
	v_fmac_f32_e32 v26, v27, v29
	v_cmpx_ne_u32_e32 2, v0
	s_cbranch_execz .LBB23_439
; %bb.436:
	v_add_nc_u32_e32 v27, 7, v0
	s_delay_alu instid0(VALU_DEP_1) | instskip(SKIP_2) | instid1(VALU_DEP_2)
	v_cmp_eq_u32_e32 vcc_lo, 1, v27
	v_cndmask_b32_e32 v28, v2, v3, vcc_lo
	v_cmp_eq_u32_e32 vcc_lo, 2, v27
	v_cndmask_b32_e32 v28, v28, v4, vcc_lo
	v_cmp_eq_u32_e32 vcc_lo, 3, v27
	s_delay_alu instid0(VALU_DEP_2) | instskip(SKIP_1) | instid1(VALU_DEP_2)
	v_cndmask_b32_e32 v28, v28, v5, vcc_lo
	v_cmp_eq_u32_e32 vcc_lo, 4, v27
	v_cndmask_b32_e32 v28, v28, v6, vcc_lo
	v_cmp_eq_u32_e32 vcc_lo, 5, v27
	s_delay_alu instid0(VALU_DEP_2) | instskip(SKIP_1) | instid1(VALU_DEP_2)
	;; [unrolled: 5-line block ×3, first 2 shown]
	v_cndmask_b32_e32 v28, v28, v9, vcc_lo
	v_cmp_eq_u32_e32 vcc_lo, 8, v27
	v_cndmask_b32_e32 v28, v28, v10, vcc_lo
	v_cmp_eq_u32_e32 vcc_lo, 9, v27
	s_delay_alu instid0(VALU_DEP_2) | instskip(SKIP_4) | instid1(VALU_DEP_2)
	v_cndmask_b32_e32 v11, v28, v11, vcc_lo
	v_cmp_eq_u32_e32 vcc_lo, 10, v27
	ds_load_b32 v28, v117 offset:28
	v_cndmask_b32_e32 v11, v11, v12, vcc_lo
	v_cmp_eq_u32_e32 vcc_lo, 11, v27
	v_cndmask_b32_e32 v11, v11, v13, vcc_lo
	v_cmp_eq_u32_e32 vcc_lo, 12, v27
	s_delay_alu instid0(VALU_DEP_2) | instskip(SKIP_1) | instid1(VALU_DEP_2)
	v_cndmask_b32_e32 v11, v11, v14, vcc_lo
	v_cmp_eq_u32_e32 vcc_lo, 13, v27
	v_cndmask_b32_e32 v11, v11, v15, vcc_lo
	v_cmp_eq_u32_e32 vcc_lo, 14, v27
	s_delay_alu instid0(VALU_DEP_2) | instskip(SKIP_1) | instid1(VALU_DEP_2)
	;; [unrolled: 5-line block ×6, first 2 shown]
	v_cndmask_b32_e32 v11, v11, v24, vcc_lo
	v_cmp_eq_u32_e32 vcc_lo, 23, v27
	v_cndmask_b32_e32 v11, v11, v25, vcc_lo
	s_wait_dscnt 0x0
	s_delay_alu instid0(VALU_DEP_1)
	v_fmac_f32_e32 v26, v11, v28
	s_and_saveexec_b32 s9, s0
	s_cbranch_execz .LBB23_438
; %bb.437:
	ds_load_b32 v11, v117 offset:32
	s_wait_dscnt 0x0
	v_fmac_f32_e32 v26, v10, v11
.LBB23_438:
	s_or_b32 exec_lo, exec_lo, s9
.LBB23_439:
	s_delay_alu instid0(SALU_CYCLE_1)
	s_or_b32 exec_lo, exec_lo, s1
.LBB23_440:
	s_delay_alu instid0(SALU_CYCLE_1)
	s_or_b32 exec_lo, exec_lo, s8
.LBB23_441:
	s_delay_alu instid0(SALU_CYCLE_1)
	s_or_b32 exec_lo, exec_lo, s2
.LBB23_442:
	s_delay_alu instid0(SALU_CYCLE_1)
	s_or_b32 exec_lo, exec_lo, s7
.LBB23_443:
	s_delay_alu instid0(SALU_CYCLE_1)
	s_or_b32 exec_lo, exec_lo, s3
.LBB23_444:
	s_delay_alu instid0(SALU_CYCLE_1)
	s_or_b32 exec_lo, exec_lo, s6
.LBB23_445:
	s_delay_alu instid0(SALU_CYCLE_1)
	s_or_b32 exec_lo, exec_lo, s5
	v_mov_b32_e32 v11, 0
	ds_load_b32 v11, v11 offset:36
	s_wait_dscnt 0x0
	v_mul_f32_e32 v11, v26, v11
.LBB23_446:
	s_or_b32 exec_lo, exec_lo, s4
	s_delay_alu instid0(SALU_CYCLE_1)
	s_mov_b32 s0, exec_lo
	ds_store_b32 v117, v12
	s_wait_dscnt 0x0
	s_barrier_signal -1
	s_barrier_wait -1
	v_cmpx_gt_u32_e32 10, v0
	s_cbranch_execz .LBB23_456
; %bb.447:
	v_cmp_ne_u32_e32 vcc_lo, 1, v34
	s_cbranch_vccnz .LBB23_449
; %bb.448:
	v_cmp_eq_u32_e32 vcc_lo, 1, v0
	ds_load_b32 v27, v117
	v_cndmask_b32_e32 v26, v2, v3, vcc_lo
	v_cmp_eq_u32_e32 vcc_lo, 2, v0
	s_delay_alu instid0(VALU_DEP_2) | instskip(SKIP_1) | instid1(VALU_DEP_2)
	v_cndmask_b32_e32 v26, v26, v4, vcc_lo
	v_cmp_eq_u32_e32 vcc_lo, 3, v0
	v_cndmask_b32_e32 v26, v26, v5, vcc_lo
	v_cmp_eq_u32_e32 vcc_lo, 4, v0
	s_delay_alu instid0(VALU_DEP_2) | instskip(SKIP_1) | instid1(VALU_DEP_2)
	v_cndmask_b32_e32 v26, v26, v6, vcc_lo
	v_cmp_eq_u32_e32 vcc_lo, 5, v0
	;; [unrolled: 5-line block ×11, first 2 shown]
	v_cndmask_b32_e32 v26, v26, v25, vcc_lo
	s_wait_dscnt 0x0
	s_delay_alu instid0(VALU_DEP_1)
	v_mul_f32_e32 v28, v26, v27
	s_cbranch_execz .LBB23_450
	s_branch .LBB23_451
.LBB23_449:
                                        ; implicit-def: $vgpr28
.LBB23_450:
	ds_load_b32 v28, v117
.LBB23_451:
	s_mov_b32 s1, exec_lo
	v_cmpx_ne_u32_e32 9, v0
	s_cbranch_execz .LBB23_455
; %bb.452:
	v_mov_b64_e32 v[26:27], v[0:1]
	v_lshl_add_u32 v29, v0, 2, 0x64
	s_mov_b32 s2, 0
.LBB23_453:                             ; =>This Inner Loop Header: Depth=1
	s_delay_alu instid0(VALU_DEP_2)
	v_add_nc_u64_e32 v[26:27], 1, v[26:27]
	ds_load_b32 v31, v29
	v_add_nc_u32_e32 v29, 4, v29
	v_cmp_eq_u32_e32 vcc_lo, 1, v26
	v_cndmask_b32_e32 v30, v2, v3, vcc_lo
	v_cmp_eq_u32_e32 vcc_lo, 2, v26
	s_delay_alu instid0(VALU_DEP_2) | instskip(SKIP_1) | instid1(VALU_DEP_2)
	v_cndmask_b32_e32 v30, v30, v4, vcc_lo
	v_cmp_eq_u32_e32 vcc_lo, 3, v26
	v_cndmask_b32_e32 v30, v30, v5, vcc_lo
	v_cmp_eq_u32_e32 vcc_lo, 4, v26
	s_delay_alu instid0(VALU_DEP_2) | instskip(SKIP_1) | instid1(VALU_DEP_2)
	v_cndmask_b32_e32 v30, v30, v6, vcc_lo
	;; [unrolled: 5-line block ×11, first 2 shown]
	v_cmp_eq_u32_e32 vcc_lo, 23, v26
	v_cndmask_b32_e32 v30, v30, v25, vcc_lo
	v_cmp_lt_u32_e32 vcc_lo, 8, v26
	s_wait_dscnt 0x0
	s_delay_alu instid0(VALU_DEP_2) | instskip(SKIP_1) | instid1(SALU_CYCLE_1)
	v_fmac_f32_e32 v28, v30, v31
	s_or_b32 s2, vcc_lo, s2
	s_and_not1_b32 exec_lo, exec_lo, s2
	s_cbranch_execnz .LBB23_453
; %bb.454:
	s_or_b32 exec_lo, exec_lo, s2
.LBB23_455:
	s_delay_alu instid0(SALU_CYCLE_1)
	s_or_b32 exec_lo, exec_lo, s1
	v_mov_b32_e32 v12, 0
	ds_load_b32 v12, v12 offset:40
	s_wait_dscnt 0x0
	v_mul_f32_e32 v12, v28, v12
.LBB23_456:
	s_or_b32 exec_lo, exec_lo, s0
	s_delay_alu instid0(SALU_CYCLE_1)
	s_mov_b32 s0, exec_lo
	ds_store_b32 v117, v13
	s_wait_dscnt 0x0
	s_barrier_signal -1
	s_barrier_wait -1
	v_cmpx_gt_u32_e32 11, v0
	s_cbranch_execz .LBB23_466
; %bb.457:
	v_cmp_ne_u32_e32 vcc_lo, 1, v34
	s_cbranch_vccnz .LBB23_459
; %bb.458:
	v_cmp_eq_u32_e32 vcc_lo, 1, v0
	ds_load_b32 v27, v117
	v_cndmask_b32_e32 v26, v2, v3, vcc_lo
	v_cmp_eq_u32_e32 vcc_lo, 2, v0
	s_delay_alu instid0(VALU_DEP_2) | instskip(SKIP_1) | instid1(VALU_DEP_2)
	v_cndmask_b32_e32 v26, v26, v4, vcc_lo
	v_cmp_eq_u32_e32 vcc_lo, 3, v0
	v_cndmask_b32_e32 v26, v26, v5, vcc_lo
	v_cmp_eq_u32_e32 vcc_lo, 4, v0
	s_delay_alu instid0(VALU_DEP_2) | instskip(SKIP_1) | instid1(VALU_DEP_2)
	v_cndmask_b32_e32 v26, v26, v6, vcc_lo
	v_cmp_eq_u32_e32 vcc_lo, 5, v0
	;; [unrolled: 5-line block ×11, first 2 shown]
	v_cndmask_b32_e32 v26, v26, v25, vcc_lo
	s_wait_dscnt 0x0
	s_delay_alu instid0(VALU_DEP_1)
	v_mul_f32_e32 v28, v26, v27
	s_cbranch_execz .LBB23_460
	s_branch .LBB23_461
.LBB23_459:
                                        ; implicit-def: $vgpr28
.LBB23_460:
	ds_load_b32 v28, v117
.LBB23_461:
	s_mov_b32 s1, exec_lo
	v_cmpx_ne_u32_e32 10, v0
	s_cbranch_execz .LBB23_465
; %bb.462:
	v_mov_b64_e32 v[26:27], v[0:1]
	v_lshl_add_u32 v29, v0, 2, 0x64
	s_mov_b32 s2, 0
.LBB23_463:                             ; =>This Inner Loop Header: Depth=1
	s_delay_alu instid0(VALU_DEP_2)
	v_add_nc_u64_e32 v[26:27], 1, v[26:27]
	ds_load_b32 v31, v29
	v_add_nc_u32_e32 v29, 4, v29
	v_cmp_eq_u32_e32 vcc_lo, 1, v26
	v_cndmask_b32_e32 v30, v2, v3, vcc_lo
	v_cmp_eq_u32_e32 vcc_lo, 2, v26
	s_delay_alu instid0(VALU_DEP_2) | instskip(SKIP_1) | instid1(VALU_DEP_2)
	v_cndmask_b32_e32 v30, v30, v4, vcc_lo
	v_cmp_eq_u32_e32 vcc_lo, 3, v26
	v_cndmask_b32_e32 v30, v30, v5, vcc_lo
	v_cmp_eq_u32_e32 vcc_lo, 4, v26
	s_delay_alu instid0(VALU_DEP_2) | instskip(SKIP_1) | instid1(VALU_DEP_2)
	v_cndmask_b32_e32 v30, v30, v6, vcc_lo
	;; [unrolled: 5-line block ×11, first 2 shown]
	v_cmp_eq_u32_e32 vcc_lo, 23, v26
	v_cndmask_b32_e32 v30, v30, v25, vcc_lo
	v_cmp_lt_u32_e32 vcc_lo, 9, v26
	s_wait_dscnt 0x0
	s_delay_alu instid0(VALU_DEP_2) | instskip(SKIP_1) | instid1(SALU_CYCLE_1)
	v_fmac_f32_e32 v28, v30, v31
	s_or_b32 s2, vcc_lo, s2
	s_and_not1_b32 exec_lo, exec_lo, s2
	s_cbranch_execnz .LBB23_463
; %bb.464:
	s_or_b32 exec_lo, exec_lo, s2
.LBB23_465:
	s_delay_alu instid0(SALU_CYCLE_1)
	s_or_b32 exec_lo, exec_lo, s1
	v_mov_b32_e32 v13, 0
	ds_load_b32 v13, v13 offset:44
	s_wait_dscnt 0x0
	v_mul_f32_e32 v13, v28, v13
.LBB23_466:
	s_or_b32 exec_lo, exec_lo, s0
	s_delay_alu instid0(SALU_CYCLE_1)
	s_mov_b32 s0, exec_lo
	ds_store_b32 v117, v14
	s_wait_dscnt 0x0
	s_barrier_signal -1
	s_barrier_wait -1
	v_cmpx_gt_u32_e32 12, v0
	s_cbranch_execz .LBB23_476
; %bb.467:
	v_cmp_ne_u32_e32 vcc_lo, 1, v34
	s_cbranch_vccnz .LBB23_469
; %bb.468:
	v_cmp_eq_u32_e32 vcc_lo, 1, v0
	ds_load_b32 v27, v117
	v_cndmask_b32_e32 v26, v2, v3, vcc_lo
	v_cmp_eq_u32_e32 vcc_lo, 2, v0
	s_delay_alu instid0(VALU_DEP_2) | instskip(SKIP_1) | instid1(VALU_DEP_2)
	v_cndmask_b32_e32 v26, v26, v4, vcc_lo
	v_cmp_eq_u32_e32 vcc_lo, 3, v0
	v_cndmask_b32_e32 v26, v26, v5, vcc_lo
	v_cmp_eq_u32_e32 vcc_lo, 4, v0
	s_delay_alu instid0(VALU_DEP_2) | instskip(SKIP_1) | instid1(VALU_DEP_2)
	v_cndmask_b32_e32 v26, v26, v6, vcc_lo
	v_cmp_eq_u32_e32 vcc_lo, 5, v0
	;; [unrolled: 5-line block ×11, first 2 shown]
	v_cndmask_b32_e32 v26, v26, v25, vcc_lo
	s_wait_dscnt 0x0
	s_delay_alu instid0(VALU_DEP_1)
	v_mul_f32_e32 v28, v26, v27
	s_cbranch_execz .LBB23_470
	s_branch .LBB23_471
.LBB23_469:
                                        ; implicit-def: $vgpr28
.LBB23_470:
	ds_load_b32 v28, v117
.LBB23_471:
	s_mov_b32 s1, exec_lo
	v_cmpx_ne_u32_e32 11, v0
	s_cbranch_execz .LBB23_475
; %bb.472:
	v_mov_b64_e32 v[26:27], v[0:1]
	v_lshl_add_u32 v29, v0, 2, 0x64
	s_mov_b32 s2, 0
.LBB23_473:                             ; =>This Inner Loop Header: Depth=1
	s_delay_alu instid0(VALU_DEP_2)
	v_add_nc_u64_e32 v[26:27], 1, v[26:27]
	ds_load_b32 v31, v29
	v_add_nc_u32_e32 v29, 4, v29
	v_cmp_eq_u32_e32 vcc_lo, 1, v26
	v_cndmask_b32_e32 v30, v2, v3, vcc_lo
	v_cmp_eq_u32_e32 vcc_lo, 2, v26
	s_delay_alu instid0(VALU_DEP_2) | instskip(SKIP_1) | instid1(VALU_DEP_2)
	v_cndmask_b32_e32 v30, v30, v4, vcc_lo
	v_cmp_eq_u32_e32 vcc_lo, 3, v26
	v_cndmask_b32_e32 v30, v30, v5, vcc_lo
	v_cmp_eq_u32_e32 vcc_lo, 4, v26
	s_delay_alu instid0(VALU_DEP_2) | instskip(SKIP_1) | instid1(VALU_DEP_2)
	v_cndmask_b32_e32 v30, v30, v6, vcc_lo
	;; [unrolled: 5-line block ×11, first 2 shown]
	v_cmp_eq_u32_e32 vcc_lo, 23, v26
	v_cndmask_b32_e32 v30, v30, v25, vcc_lo
	v_cmp_lt_u32_e32 vcc_lo, 10, v26
	s_wait_dscnt 0x0
	s_delay_alu instid0(VALU_DEP_2) | instskip(SKIP_1) | instid1(SALU_CYCLE_1)
	v_fmac_f32_e32 v28, v30, v31
	s_or_b32 s2, vcc_lo, s2
	s_and_not1_b32 exec_lo, exec_lo, s2
	s_cbranch_execnz .LBB23_473
; %bb.474:
	s_or_b32 exec_lo, exec_lo, s2
.LBB23_475:
	s_delay_alu instid0(SALU_CYCLE_1)
	s_or_b32 exec_lo, exec_lo, s1
	v_mov_b32_e32 v14, 0
	ds_load_b32 v14, v14 offset:48
	s_wait_dscnt 0x0
	v_mul_f32_e32 v14, v28, v14
.LBB23_476:
	s_or_b32 exec_lo, exec_lo, s0
	s_delay_alu instid0(SALU_CYCLE_1)
	s_mov_b32 s0, exec_lo
	ds_store_b32 v117, v15
	s_wait_dscnt 0x0
	s_barrier_signal -1
	s_barrier_wait -1
	v_cmpx_gt_u32_e32 13, v0
	s_cbranch_execz .LBB23_486
; %bb.477:
	v_cmp_ne_u32_e32 vcc_lo, 1, v34
	s_cbranch_vccnz .LBB23_479
; %bb.478:
	v_cmp_eq_u32_e32 vcc_lo, 1, v0
	ds_load_b32 v27, v117
	v_cndmask_b32_e32 v26, v2, v3, vcc_lo
	v_cmp_eq_u32_e32 vcc_lo, 2, v0
	s_delay_alu instid0(VALU_DEP_2) | instskip(SKIP_1) | instid1(VALU_DEP_2)
	v_cndmask_b32_e32 v26, v26, v4, vcc_lo
	v_cmp_eq_u32_e32 vcc_lo, 3, v0
	v_cndmask_b32_e32 v26, v26, v5, vcc_lo
	v_cmp_eq_u32_e32 vcc_lo, 4, v0
	s_delay_alu instid0(VALU_DEP_2) | instskip(SKIP_1) | instid1(VALU_DEP_2)
	v_cndmask_b32_e32 v26, v26, v6, vcc_lo
	v_cmp_eq_u32_e32 vcc_lo, 5, v0
	;; [unrolled: 5-line block ×11, first 2 shown]
	v_cndmask_b32_e32 v26, v26, v25, vcc_lo
	s_wait_dscnt 0x0
	s_delay_alu instid0(VALU_DEP_1)
	v_mul_f32_e32 v28, v26, v27
	s_cbranch_execz .LBB23_480
	s_branch .LBB23_481
.LBB23_479:
                                        ; implicit-def: $vgpr28
.LBB23_480:
	ds_load_b32 v28, v117
.LBB23_481:
	s_mov_b32 s1, exec_lo
	v_cmpx_ne_u32_e32 12, v0
	s_cbranch_execz .LBB23_485
; %bb.482:
	v_mov_b64_e32 v[26:27], v[0:1]
	v_lshl_add_u32 v29, v0, 2, 0x64
	s_mov_b32 s2, 0
.LBB23_483:                             ; =>This Inner Loop Header: Depth=1
	s_delay_alu instid0(VALU_DEP_2)
	v_add_nc_u64_e32 v[26:27], 1, v[26:27]
	ds_load_b32 v31, v29
	v_add_nc_u32_e32 v29, 4, v29
	v_cmp_eq_u32_e32 vcc_lo, 1, v26
	v_cndmask_b32_e32 v30, v2, v3, vcc_lo
	v_cmp_eq_u32_e32 vcc_lo, 2, v26
	s_delay_alu instid0(VALU_DEP_2) | instskip(SKIP_1) | instid1(VALU_DEP_2)
	v_cndmask_b32_e32 v30, v30, v4, vcc_lo
	v_cmp_eq_u32_e32 vcc_lo, 3, v26
	v_cndmask_b32_e32 v30, v30, v5, vcc_lo
	v_cmp_eq_u32_e32 vcc_lo, 4, v26
	s_delay_alu instid0(VALU_DEP_2) | instskip(SKIP_1) | instid1(VALU_DEP_2)
	v_cndmask_b32_e32 v30, v30, v6, vcc_lo
	;; [unrolled: 5-line block ×11, first 2 shown]
	v_cmp_eq_u32_e32 vcc_lo, 23, v26
	v_cndmask_b32_e32 v30, v30, v25, vcc_lo
	v_cmp_lt_u32_e32 vcc_lo, 11, v26
	s_wait_dscnt 0x0
	s_delay_alu instid0(VALU_DEP_2) | instskip(SKIP_1) | instid1(SALU_CYCLE_1)
	v_fmac_f32_e32 v28, v30, v31
	s_or_b32 s2, vcc_lo, s2
	s_and_not1_b32 exec_lo, exec_lo, s2
	s_cbranch_execnz .LBB23_483
; %bb.484:
	s_or_b32 exec_lo, exec_lo, s2
.LBB23_485:
	s_delay_alu instid0(SALU_CYCLE_1)
	s_or_b32 exec_lo, exec_lo, s1
	v_mov_b32_e32 v15, 0
	ds_load_b32 v15, v15 offset:52
	s_wait_dscnt 0x0
	v_mul_f32_e32 v15, v28, v15
.LBB23_486:
	s_or_b32 exec_lo, exec_lo, s0
	s_delay_alu instid0(SALU_CYCLE_1)
	s_mov_b32 s0, exec_lo
	ds_store_b32 v117, v16
	s_wait_dscnt 0x0
	s_barrier_signal -1
	s_barrier_wait -1
	v_cmpx_gt_u32_e32 14, v0
	s_cbranch_execz .LBB23_496
; %bb.487:
	v_cmp_ne_u32_e32 vcc_lo, 1, v34
	s_cbranch_vccnz .LBB23_489
; %bb.488:
	v_cmp_eq_u32_e32 vcc_lo, 1, v0
	ds_load_b32 v27, v117
	v_cndmask_b32_e32 v26, v2, v3, vcc_lo
	v_cmp_eq_u32_e32 vcc_lo, 2, v0
	s_delay_alu instid0(VALU_DEP_2) | instskip(SKIP_1) | instid1(VALU_DEP_2)
	v_cndmask_b32_e32 v26, v26, v4, vcc_lo
	v_cmp_eq_u32_e32 vcc_lo, 3, v0
	v_cndmask_b32_e32 v26, v26, v5, vcc_lo
	v_cmp_eq_u32_e32 vcc_lo, 4, v0
	s_delay_alu instid0(VALU_DEP_2) | instskip(SKIP_1) | instid1(VALU_DEP_2)
	v_cndmask_b32_e32 v26, v26, v6, vcc_lo
	v_cmp_eq_u32_e32 vcc_lo, 5, v0
	;; [unrolled: 5-line block ×11, first 2 shown]
	v_cndmask_b32_e32 v26, v26, v25, vcc_lo
	s_wait_dscnt 0x0
	s_delay_alu instid0(VALU_DEP_1)
	v_mul_f32_e32 v28, v26, v27
	s_cbranch_execz .LBB23_490
	s_branch .LBB23_491
.LBB23_489:
                                        ; implicit-def: $vgpr28
.LBB23_490:
	ds_load_b32 v28, v117
.LBB23_491:
	s_mov_b32 s1, exec_lo
	v_cmpx_ne_u32_e32 13, v0
	s_cbranch_execz .LBB23_495
; %bb.492:
	v_mov_b64_e32 v[26:27], v[0:1]
	v_lshl_add_u32 v29, v0, 2, 0x64
	s_mov_b32 s2, 0
.LBB23_493:                             ; =>This Inner Loop Header: Depth=1
	s_delay_alu instid0(VALU_DEP_2)
	v_add_nc_u64_e32 v[26:27], 1, v[26:27]
	ds_load_b32 v31, v29
	v_add_nc_u32_e32 v29, 4, v29
	v_cmp_eq_u32_e32 vcc_lo, 1, v26
	v_cndmask_b32_e32 v30, v2, v3, vcc_lo
	v_cmp_eq_u32_e32 vcc_lo, 2, v26
	s_delay_alu instid0(VALU_DEP_2) | instskip(SKIP_1) | instid1(VALU_DEP_2)
	v_cndmask_b32_e32 v30, v30, v4, vcc_lo
	v_cmp_eq_u32_e32 vcc_lo, 3, v26
	v_cndmask_b32_e32 v30, v30, v5, vcc_lo
	v_cmp_eq_u32_e32 vcc_lo, 4, v26
	s_delay_alu instid0(VALU_DEP_2) | instskip(SKIP_1) | instid1(VALU_DEP_2)
	v_cndmask_b32_e32 v30, v30, v6, vcc_lo
	;; [unrolled: 5-line block ×11, first 2 shown]
	v_cmp_eq_u32_e32 vcc_lo, 23, v26
	v_cndmask_b32_e32 v30, v30, v25, vcc_lo
	v_cmp_lt_u32_e32 vcc_lo, 12, v26
	s_wait_dscnt 0x0
	s_delay_alu instid0(VALU_DEP_2) | instskip(SKIP_1) | instid1(SALU_CYCLE_1)
	v_fmac_f32_e32 v28, v30, v31
	s_or_b32 s2, vcc_lo, s2
	s_and_not1_b32 exec_lo, exec_lo, s2
	s_cbranch_execnz .LBB23_493
; %bb.494:
	s_or_b32 exec_lo, exec_lo, s2
.LBB23_495:
	s_delay_alu instid0(SALU_CYCLE_1)
	s_or_b32 exec_lo, exec_lo, s1
	v_mov_b32_e32 v16, 0
	ds_load_b32 v16, v16 offset:56
	s_wait_dscnt 0x0
	v_mul_f32_e32 v16, v28, v16
.LBB23_496:
	s_or_b32 exec_lo, exec_lo, s0
	s_delay_alu instid0(SALU_CYCLE_1)
	s_mov_b32 s0, exec_lo
	ds_store_b32 v117, v17
	s_wait_dscnt 0x0
	s_barrier_signal -1
	s_barrier_wait -1
	v_cmpx_gt_u32_e32 15, v0
	s_cbranch_execz .LBB23_506
; %bb.497:
	v_cmp_ne_u32_e32 vcc_lo, 1, v34
	s_cbranch_vccnz .LBB23_499
; %bb.498:
	v_cmp_eq_u32_e32 vcc_lo, 1, v0
	ds_load_b32 v27, v117
	v_cndmask_b32_e32 v26, v2, v3, vcc_lo
	v_cmp_eq_u32_e32 vcc_lo, 2, v0
	s_delay_alu instid0(VALU_DEP_2) | instskip(SKIP_1) | instid1(VALU_DEP_2)
	v_cndmask_b32_e32 v26, v26, v4, vcc_lo
	v_cmp_eq_u32_e32 vcc_lo, 3, v0
	v_cndmask_b32_e32 v26, v26, v5, vcc_lo
	v_cmp_eq_u32_e32 vcc_lo, 4, v0
	s_delay_alu instid0(VALU_DEP_2) | instskip(SKIP_1) | instid1(VALU_DEP_2)
	v_cndmask_b32_e32 v26, v26, v6, vcc_lo
	v_cmp_eq_u32_e32 vcc_lo, 5, v0
	;; [unrolled: 5-line block ×11, first 2 shown]
	v_cndmask_b32_e32 v26, v26, v25, vcc_lo
	s_wait_dscnt 0x0
	s_delay_alu instid0(VALU_DEP_1)
	v_mul_f32_e32 v28, v26, v27
	s_cbranch_execz .LBB23_500
	s_branch .LBB23_501
.LBB23_499:
                                        ; implicit-def: $vgpr28
.LBB23_500:
	ds_load_b32 v28, v117
.LBB23_501:
	s_mov_b32 s1, exec_lo
	v_cmpx_ne_u32_e32 14, v0
	s_cbranch_execz .LBB23_505
; %bb.502:
	v_mov_b64_e32 v[26:27], v[0:1]
	v_lshl_add_u32 v29, v0, 2, 0x64
	s_mov_b32 s2, 0
.LBB23_503:                             ; =>This Inner Loop Header: Depth=1
	s_delay_alu instid0(VALU_DEP_2)
	v_add_nc_u64_e32 v[26:27], 1, v[26:27]
	ds_load_b32 v31, v29
	v_add_nc_u32_e32 v29, 4, v29
	v_cmp_eq_u32_e32 vcc_lo, 1, v26
	v_cndmask_b32_e32 v30, v2, v3, vcc_lo
	v_cmp_eq_u32_e32 vcc_lo, 2, v26
	s_delay_alu instid0(VALU_DEP_2) | instskip(SKIP_1) | instid1(VALU_DEP_2)
	v_cndmask_b32_e32 v30, v30, v4, vcc_lo
	v_cmp_eq_u32_e32 vcc_lo, 3, v26
	v_cndmask_b32_e32 v30, v30, v5, vcc_lo
	v_cmp_eq_u32_e32 vcc_lo, 4, v26
	s_delay_alu instid0(VALU_DEP_2) | instskip(SKIP_1) | instid1(VALU_DEP_2)
	v_cndmask_b32_e32 v30, v30, v6, vcc_lo
	;; [unrolled: 5-line block ×11, first 2 shown]
	v_cmp_eq_u32_e32 vcc_lo, 23, v26
	v_cndmask_b32_e32 v30, v30, v25, vcc_lo
	v_cmp_lt_u32_e32 vcc_lo, 13, v26
	s_wait_dscnt 0x0
	s_delay_alu instid0(VALU_DEP_2) | instskip(SKIP_1) | instid1(SALU_CYCLE_1)
	v_fmac_f32_e32 v28, v30, v31
	s_or_b32 s2, vcc_lo, s2
	s_and_not1_b32 exec_lo, exec_lo, s2
	s_cbranch_execnz .LBB23_503
; %bb.504:
	s_or_b32 exec_lo, exec_lo, s2
.LBB23_505:
	s_delay_alu instid0(SALU_CYCLE_1)
	s_or_b32 exec_lo, exec_lo, s1
	v_mov_b32_e32 v17, 0
	ds_load_b32 v17, v17 offset:60
	s_wait_dscnt 0x0
	v_mul_f32_e32 v17, v28, v17
.LBB23_506:
	s_or_b32 exec_lo, exec_lo, s0
	s_delay_alu instid0(SALU_CYCLE_1)
	s_mov_b32 s0, exec_lo
	ds_store_b32 v117, v18
	s_wait_dscnt 0x0
	s_barrier_signal -1
	s_barrier_wait -1
	v_cmpx_gt_u32_e32 16, v0
	s_cbranch_execz .LBB23_516
; %bb.507:
	v_cmp_ne_u32_e32 vcc_lo, 1, v34
	s_cbranch_vccnz .LBB23_509
; %bb.508:
	v_cmp_eq_u32_e32 vcc_lo, 1, v0
	ds_load_b32 v27, v117
	v_cndmask_b32_e32 v26, v2, v3, vcc_lo
	v_cmp_eq_u32_e32 vcc_lo, 2, v0
	s_delay_alu instid0(VALU_DEP_2) | instskip(SKIP_1) | instid1(VALU_DEP_2)
	v_cndmask_b32_e32 v26, v26, v4, vcc_lo
	v_cmp_eq_u32_e32 vcc_lo, 3, v0
	v_cndmask_b32_e32 v26, v26, v5, vcc_lo
	v_cmp_eq_u32_e32 vcc_lo, 4, v0
	s_delay_alu instid0(VALU_DEP_2) | instskip(SKIP_1) | instid1(VALU_DEP_2)
	v_cndmask_b32_e32 v26, v26, v6, vcc_lo
	v_cmp_eq_u32_e32 vcc_lo, 5, v0
	;; [unrolled: 5-line block ×11, first 2 shown]
	v_cndmask_b32_e32 v26, v26, v25, vcc_lo
	s_wait_dscnt 0x0
	s_delay_alu instid0(VALU_DEP_1)
	v_mul_f32_e32 v28, v26, v27
	s_cbranch_execz .LBB23_510
	s_branch .LBB23_511
.LBB23_509:
                                        ; implicit-def: $vgpr28
.LBB23_510:
	ds_load_b32 v28, v117
.LBB23_511:
	s_mov_b32 s1, exec_lo
	v_cmpx_ne_u32_e32 15, v0
	s_cbranch_execz .LBB23_515
; %bb.512:
	v_mov_b64_e32 v[26:27], v[0:1]
	v_lshl_add_u32 v29, v0, 2, 0x64
	s_mov_b32 s2, 0
.LBB23_513:                             ; =>This Inner Loop Header: Depth=1
	s_delay_alu instid0(VALU_DEP_2)
	v_add_nc_u64_e32 v[26:27], 1, v[26:27]
	ds_load_b32 v31, v29
	v_add_nc_u32_e32 v29, 4, v29
	v_cmp_eq_u32_e32 vcc_lo, 1, v26
	v_cndmask_b32_e32 v30, v2, v3, vcc_lo
	v_cmp_eq_u32_e32 vcc_lo, 2, v26
	s_delay_alu instid0(VALU_DEP_2) | instskip(SKIP_1) | instid1(VALU_DEP_2)
	v_cndmask_b32_e32 v30, v30, v4, vcc_lo
	v_cmp_eq_u32_e32 vcc_lo, 3, v26
	v_cndmask_b32_e32 v30, v30, v5, vcc_lo
	v_cmp_eq_u32_e32 vcc_lo, 4, v26
	s_delay_alu instid0(VALU_DEP_2) | instskip(SKIP_1) | instid1(VALU_DEP_2)
	v_cndmask_b32_e32 v30, v30, v6, vcc_lo
	;; [unrolled: 5-line block ×11, first 2 shown]
	v_cmp_eq_u32_e32 vcc_lo, 23, v26
	v_cndmask_b32_e32 v30, v30, v25, vcc_lo
	v_cmp_lt_u32_e32 vcc_lo, 14, v26
	s_wait_dscnt 0x0
	s_delay_alu instid0(VALU_DEP_2) | instskip(SKIP_1) | instid1(SALU_CYCLE_1)
	v_fmac_f32_e32 v28, v30, v31
	s_or_b32 s2, vcc_lo, s2
	s_and_not1_b32 exec_lo, exec_lo, s2
	s_cbranch_execnz .LBB23_513
; %bb.514:
	s_or_b32 exec_lo, exec_lo, s2
.LBB23_515:
	s_delay_alu instid0(SALU_CYCLE_1)
	s_or_b32 exec_lo, exec_lo, s1
	v_mov_b32_e32 v18, 0
	ds_load_b32 v18, v18 offset:64
	s_wait_dscnt 0x0
	v_mul_f32_e32 v18, v28, v18
.LBB23_516:
	s_or_b32 exec_lo, exec_lo, s0
	s_delay_alu instid0(SALU_CYCLE_1)
	s_mov_b32 s0, exec_lo
	ds_store_b32 v117, v19
	s_wait_dscnt 0x0
	s_barrier_signal -1
	s_barrier_wait -1
	v_cmpx_gt_u32_e32 17, v0
	s_cbranch_execz .LBB23_526
; %bb.517:
	v_cmp_ne_u32_e32 vcc_lo, 1, v34
	s_cbranch_vccnz .LBB23_519
; %bb.518:
	v_cmp_eq_u32_e32 vcc_lo, 1, v0
	ds_load_b32 v27, v117
	v_cndmask_b32_e32 v26, v2, v3, vcc_lo
	v_cmp_eq_u32_e32 vcc_lo, 2, v0
	s_delay_alu instid0(VALU_DEP_2) | instskip(SKIP_1) | instid1(VALU_DEP_2)
	v_cndmask_b32_e32 v26, v26, v4, vcc_lo
	v_cmp_eq_u32_e32 vcc_lo, 3, v0
	v_cndmask_b32_e32 v26, v26, v5, vcc_lo
	v_cmp_eq_u32_e32 vcc_lo, 4, v0
	s_delay_alu instid0(VALU_DEP_2) | instskip(SKIP_1) | instid1(VALU_DEP_2)
	v_cndmask_b32_e32 v26, v26, v6, vcc_lo
	v_cmp_eq_u32_e32 vcc_lo, 5, v0
	;; [unrolled: 5-line block ×11, first 2 shown]
	v_cndmask_b32_e32 v26, v26, v25, vcc_lo
	s_wait_dscnt 0x0
	s_delay_alu instid0(VALU_DEP_1)
	v_mul_f32_e32 v28, v26, v27
	s_cbranch_execz .LBB23_520
	s_branch .LBB23_521
.LBB23_519:
                                        ; implicit-def: $vgpr28
.LBB23_520:
	ds_load_b32 v28, v117
.LBB23_521:
	s_mov_b32 s1, exec_lo
	v_cmpx_ne_u32_e32 16, v0
	s_cbranch_execz .LBB23_525
; %bb.522:
	v_mov_b64_e32 v[26:27], v[0:1]
	v_lshl_add_u32 v29, v0, 2, 0x64
	s_mov_b32 s2, 0
.LBB23_523:                             ; =>This Inner Loop Header: Depth=1
	s_delay_alu instid0(VALU_DEP_2)
	v_add_nc_u64_e32 v[26:27], 1, v[26:27]
	ds_load_b32 v31, v29
	v_add_nc_u32_e32 v29, 4, v29
	v_cmp_eq_u32_e32 vcc_lo, 1, v26
	v_cndmask_b32_e32 v30, v2, v3, vcc_lo
	v_cmp_eq_u32_e32 vcc_lo, 2, v26
	s_delay_alu instid0(VALU_DEP_2) | instskip(SKIP_1) | instid1(VALU_DEP_2)
	v_cndmask_b32_e32 v30, v30, v4, vcc_lo
	v_cmp_eq_u32_e32 vcc_lo, 3, v26
	v_cndmask_b32_e32 v30, v30, v5, vcc_lo
	v_cmp_eq_u32_e32 vcc_lo, 4, v26
	s_delay_alu instid0(VALU_DEP_2) | instskip(SKIP_1) | instid1(VALU_DEP_2)
	v_cndmask_b32_e32 v30, v30, v6, vcc_lo
	v_cmp_eq_u32_e32 vcc_lo, 5, v26
	v_cndmask_b32_e32 v30, v30, v7, vcc_lo
	v_cmp_eq_u32_e32 vcc_lo, 6, v26
	s_delay_alu instid0(VALU_DEP_2) | instskip(SKIP_1) | instid1(VALU_DEP_2)
	v_cndmask_b32_e32 v30, v30, v8, vcc_lo
	v_cmp_eq_u32_e32 vcc_lo, 7, v26
	v_cndmask_b32_e32 v30, v30, v9, vcc_lo
	v_cmp_eq_u32_e32 vcc_lo, 8, v26
	s_delay_alu instid0(VALU_DEP_2) | instskip(SKIP_1) | instid1(VALU_DEP_2)
	v_cndmask_b32_e32 v30, v30, v10, vcc_lo
	v_cmp_eq_u32_e32 vcc_lo, 9, v26
	v_cndmask_b32_e32 v30, v30, v11, vcc_lo
	v_cmp_eq_u32_e32 vcc_lo, 10, v26
	s_delay_alu instid0(VALU_DEP_2) | instskip(SKIP_1) | instid1(VALU_DEP_2)
	v_cndmask_b32_e32 v30, v30, v12, vcc_lo
	v_cmp_eq_u32_e32 vcc_lo, 11, v26
	v_cndmask_b32_e32 v30, v30, v13, vcc_lo
	v_cmp_eq_u32_e32 vcc_lo, 12, v26
	s_delay_alu instid0(VALU_DEP_2) | instskip(SKIP_1) | instid1(VALU_DEP_2)
	v_cndmask_b32_e32 v30, v30, v14, vcc_lo
	v_cmp_eq_u32_e32 vcc_lo, 13, v26
	v_cndmask_b32_e32 v30, v30, v15, vcc_lo
	v_cmp_eq_u32_e32 vcc_lo, 14, v26
	s_delay_alu instid0(VALU_DEP_2) | instskip(SKIP_1) | instid1(VALU_DEP_2)
	v_cndmask_b32_e32 v30, v30, v16, vcc_lo
	v_cmp_eq_u32_e32 vcc_lo, 15, v26
	v_cndmask_b32_e32 v30, v30, v17, vcc_lo
	v_cmp_eq_u32_e32 vcc_lo, 16, v26
	s_delay_alu instid0(VALU_DEP_2) | instskip(SKIP_1) | instid1(VALU_DEP_2)
	v_cndmask_b32_e32 v30, v30, v18, vcc_lo
	v_cmp_eq_u32_e32 vcc_lo, 17, v26
	v_cndmask_b32_e32 v30, v30, v19, vcc_lo
	v_cmp_eq_u32_e32 vcc_lo, 18, v26
	s_delay_alu instid0(VALU_DEP_2) | instskip(SKIP_1) | instid1(VALU_DEP_2)
	v_cndmask_b32_e32 v30, v30, v20, vcc_lo
	v_cmp_eq_u32_e32 vcc_lo, 19, v26
	v_cndmask_b32_e32 v30, v30, v21, vcc_lo
	v_cmp_eq_u32_e32 vcc_lo, 20, v26
	s_delay_alu instid0(VALU_DEP_2) | instskip(SKIP_1) | instid1(VALU_DEP_2)
	v_cndmask_b32_e32 v30, v30, v22, vcc_lo
	v_cmp_eq_u32_e32 vcc_lo, 21, v26
	v_cndmask_b32_e32 v30, v30, v23, vcc_lo
	v_cmp_eq_u32_e32 vcc_lo, 22, v26
	s_delay_alu instid0(VALU_DEP_2) | instskip(SKIP_1) | instid1(VALU_DEP_2)
	v_cndmask_b32_e32 v30, v30, v24, vcc_lo
	v_cmp_eq_u32_e32 vcc_lo, 23, v26
	v_cndmask_b32_e32 v30, v30, v25, vcc_lo
	v_cmp_lt_u32_e32 vcc_lo, 15, v26
	s_wait_dscnt 0x0
	s_delay_alu instid0(VALU_DEP_2) | instskip(SKIP_1) | instid1(SALU_CYCLE_1)
	v_fmac_f32_e32 v28, v30, v31
	s_or_b32 s2, vcc_lo, s2
	s_and_not1_b32 exec_lo, exec_lo, s2
	s_cbranch_execnz .LBB23_523
; %bb.524:
	s_or_b32 exec_lo, exec_lo, s2
.LBB23_525:
	s_delay_alu instid0(SALU_CYCLE_1)
	s_or_b32 exec_lo, exec_lo, s1
	v_mov_b32_e32 v19, 0
	ds_load_b32 v19, v19 offset:68
	s_wait_dscnt 0x0
	v_mul_f32_e32 v19, v28, v19
.LBB23_526:
	s_or_b32 exec_lo, exec_lo, s0
	s_delay_alu instid0(SALU_CYCLE_1)
	s_mov_b32 s0, exec_lo
	ds_store_b32 v117, v20
	s_wait_dscnt 0x0
	s_barrier_signal -1
	s_barrier_wait -1
	v_cmpx_gt_u32_e32 18, v0
	s_cbranch_execz .LBB23_536
; %bb.527:
	v_cmp_ne_u32_e32 vcc_lo, 1, v34
	s_cbranch_vccnz .LBB23_529
; %bb.528:
	v_cmp_eq_u32_e32 vcc_lo, 1, v0
	ds_load_b32 v27, v117
	v_cndmask_b32_e32 v26, v2, v3, vcc_lo
	v_cmp_eq_u32_e32 vcc_lo, 2, v0
	s_delay_alu instid0(VALU_DEP_2) | instskip(SKIP_1) | instid1(VALU_DEP_2)
	v_cndmask_b32_e32 v26, v26, v4, vcc_lo
	v_cmp_eq_u32_e32 vcc_lo, 3, v0
	v_cndmask_b32_e32 v26, v26, v5, vcc_lo
	v_cmp_eq_u32_e32 vcc_lo, 4, v0
	s_delay_alu instid0(VALU_DEP_2) | instskip(SKIP_1) | instid1(VALU_DEP_2)
	v_cndmask_b32_e32 v26, v26, v6, vcc_lo
	v_cmp_eq_u32_e32 vcc_lo, 5, v0
	;; [unrolled: 5-line block ×11, first 2 shown]
	v_cndmask_b32_e32 v26, v26, v25, vcc_lo
	s_wait_dscnt 0x0
	s_delay_alu instid0(VALU_DEP_1)
	v_mul_f32_e32 v28, v26, v27
	s_cbranch_execz .LBB23_530
	s_branch .LBB23_531
.LBB23_529:
                                        ; implicit-def: $vgpr28
.LBB23_530:
	ds_load_b32 v28, v117
.LBB23_531:
	s_mov_b32 s1, exec_lo
	v_cmpx_ne_u32_e32 17, v0
	s_cbranch_execz .LBB23_535
; %bb.532:
	v_mov_b64_e32 v[26:27], v[0:1]
	v_lshl_add_u32 v29, v0, 2, 0x64
	s_mov_b32 s2, 0
.LBB23_533:                             ; =>This Inner Loop Header: Depth=1
	s_delay_alu instid0(VALU_DEP_2)
	v_add_nc_u64_e32 v[26:27], 1, v[26:27]
	ds_load_b32 v31, v29
	v_add_nc_u32_e32 v29, 4, v29
	v_cmp_eq_u32_e32 vcc_lo, 1, v26
	v_cndmask_b32_e32 v30, v2, v3, vcc_lo
	v_cmp_eq_u32_e32 vcc_lo, 2, v26
	s_delay_alu instid0(VALU_DEP_2) | instskip(SKIP_1) | instid1(VALU_DEP_2)
	v_cndmask_b32_e32 v30, v30, v4, vcc_lo
	v_cmp_eq_u32_e32 vcc_lo, 3, v26
	v_cndmask_b32_e32 v30, v30, v5, vcc_lo
	v_cmp_eq_u32_e32 vcc_lo, 4, v26
	s_delay_alu instid0(VALU_DEP_2) | instskip(SKIP_1) | instid1(VALU_DEP_2)
	v_cndmask_b32_e32 v30, v30, v6, vcc_lo
	;; [unrolled: 5-line block ×11, first 2 shown]
	v_cmp_eq_u32_e32 vcc_lo, 23, v26
	v_cndmask_b32_e32 v30, v30, v25, vcc_lo
	v_cmp_lt_u32_e32 vcc_lo, 16, v26
	s_wait_dscnt 0x0
	s_delay_alu instid0(VALU_DEP_2) | instskip(SKIP_1) | instid1(SALU_CYCLE_1)
	v_fmac_f32_e32 v28, v30, v31
	s_or_b32 s2, vcc_lo, s2
	s_and_not1_b32 exec_lo, exec_lo, s2
	s_cbranch_execnz .LBB23_533
; %bb.534:
	s_or_b32 exec_lo, exec_lo, s2
.LBB23_535:
	s_delay_alu instid0(SALU_CYCLE_1)
	s_or_b32 exec_lo, exec_lo, s1
	v_mov_b32_e32 v20, 0
	ds_load_b32 v20, v20 offset:72
	s_wait_dscnt 0x0
	v_mul_f32_e32 v20, v28, v20
.LBB23_536:
	s_or_b32 exec_lo, exec_lo, s0
	s_delay_alu instid0(SALU_CYCLE_1)
	s_mov_b32 s0, exec_lo
	ds_store_b32 v117, v21
	s_wait_dscnt 0x0
	s_barrier_signal -1
	s_barrier_wait -1
	v_cmpx_gt_u32_e32 19, v0
	s_cbranch_execz .LBB23_546
; %bb.537:
	v_cmp_ne_u32_e32 vcc_lo, 1, v34
	s_cbranch_vccnz .LBB23_539
; %bb.538:
	v_cmp_eq_u32_e32 vcc_lo, 1, v0
	ds_load_b32 v27, v117
	v_cndmask_b32_e32 v26, v2, v3, vcc_lo
	v_cmp_eq_u32_e32 vcc_lo, 2, v0
	s_delay_alu instid0(VALU_DEP_2) | instskip(SKIP_1) | instid1(VALU_DEP_2)
	v_cndmask_b32_e32 v26, v26, v4, vcc_lo
	v_cmp_eq_u32_e32 vcc_lo, 3, v0
	v_cndmask_b32_e32 v26, v26, v5, vcc_lo
	v_cmp_eq_u32_e32 vcc_lo, 4, v0
	s_delay_alu instid0(VALU_DEP_2) | instskip(SKIP_1) | instid1(VALU_DEP_2)
	v_cndmask_b32_e32 v26, v26, v6, vcc_lo
	v_cmp_eq_u32_e32 vcc_lo, 5, v0
	;; [unrolled: 5-line block ×11, first 2 shown]
	v_cndmask_b32_e32 v26, v26, v25, vcc_lo
	s_wait_dscnt 0x0
	s_delay_alu instid0(VALU_DEP_1)
	v_mul_f32_e32 v28, v26, v27
	s_cbranch_execz .LBB23_540
	s_branch .LBB23_541
.LBB23_539:
                                        ; implicit-def: $vgpr28
.LBB23_540:
	ds_load_b32 v28, v117
.LBB23_541:
	s_mov_b32 s1, exec_lo
	v_cmpx_ne_u32_e32 18, v0
	s_cbranch_execz .LBB23_545
; %bb.542:
	v_mov_b64_e32 v[26:27], v[0:1]
	v_lshl_add_u32 v29, v0, 2, 0x64
	s_mov_b32 s2, 0
.LBB23_543:                             ; =>This Inner Loop Header: Depth=1
	s_delay_alu instid0(VALU_DEP_2)
	v_add_nc_u64_e32 v[26:27], 1, v[26:27]
	ds_load_b32 v31, v29
	v_add_nc_u32_e32 v29, 4, v29
	v_cmp_eq_u32_e32 vcc_lo, 1, v26
	v_cndmask_b32_e32 v30, v2, v3, vcc_lo
	v_cmp_eq_u32_e32 vcc_lo, 2, v26
	s_delay_alu instid0(VALU_DEP_2) | instskip(SKIP_1) | instid1(VALU_DEP_2)
	v_cndmask_b32_e32 v30, v30, v4, vcc_lo
	v_cmp_eq_u32_e32 vcc_lo, 3, v26
	v_cndmask_b32_e32 v30, v30, v5, vcc_lo
	v_cmp_eq_u32_e32 vcc_lo, 4, v26
	s_delay_alu instid0(VALU_DEP_2) | instskip(SKIP_1) | instid1(VALU_DEP_2)
	v_cndmask_b32_e32 v30, v30, v6, vcc_lo
	;; [unrolled: 5-line block ×11, first 2 shown]
	v_cmp_eq_u32_e32 vcc_lo, 23, v26
	v_cndmask_b32_e32 v30, v30, v25, vcc_lo
	v_cmp_lt_u32_e32 vcc_lo, 17, v26
	s_wait_dscnt 0x0
	s_delay_alu instid0(VALU_DEP_2) | instskip(SKIP_1) | instid1(SALU_CYCLE_1)
	v_fmac_f32_e32 v28, v30, v31
	s_or_b32 s2, vcc_lo, s2
	s_and_not1_b32 exec_lo, exec_lo, s2
	s_cbranch_execnz .LBB23_543
; %bb.544:
	s_or_b32 exec_lo, exec_lo, s2
.LBB23_545:
	s_delay_alu instid0(SALU_CYCLE_1)
	s_or_b32 exec_lo, exec_lo, s1
	v_mov_b32_e32 v21, 0
	ds_load_b32 v21, v21 offset:76
	s_wait_dscnt 0x0
	v_mul_f32_e32 v21, v28, v21
.LBB23_546:
	s_or_b32 exec_lo, exec_lo, s0
	s_delay_alu instid0(SALU_CYCLE_1)
	s_mov_b32 s0, exec_lo
	ds_store_b32 v117, v22
	s_wait_dscnt 0x0
	s_barrier_signal -1
	s_barrier_wait -1
	v_cmpx_gt_u32_e32 20, v0
	s_cbranch_execz .LBB23_556
; %bb.547:
	v_cmp_ne_u32_e32 vcc_lo, 1, v34
	s_cbranch_vccnz .LBB23_549
; %bb.548:
	v_cmp_eq_u32_e32 vcc_lo, 1, v0
	ds_load_b32 v27, v117
	v_cndmask_b32_e32 v26, v2, v3, vcc_lo
	v_cmp_eq_u32_e32 vcc_lo, 2, v0
	s_delay_alu instid0(VALU_DEP_2) | instskip(SKIP_1) | instid1(VALU_DEP_2)
	v_cndmask_b32_e32 v26, v26, v4, vcc_lo
	v_cmp_eq_u32_e32 vcc_lo, 3, v0
	v_cndmask_b32_e32 v26, v26, v5, vcc_lo
	v_cmp_eq_u32_e32 vcc_lo, 4, v0
	s_delay_alu instid0(VALU_DEP_2) | instskip(SKIP_1) | instid1(VALU_DEP_2)
	v_cndmask_b32_e32 v26, v26, v6, vcc_lo
	v_cmp_eq_u32_e32 vcc_lo, 5, v0
	v_cndmask_b32_e32 v26, v26, v7, vcc_lo
	v_cmp_eq_u32_e32 vcc_lo, 6, v0
	s_delay_alu instid0(VALU_DEP_2) | instskip(SKIP_1) | instid1(VALU_DEP_2)
	v_cndmask_b32_e32 v26, v26, v8, vcc_lo
	v_cmp_eq_u32_e32 vcc_lo, 7, v0
	v_cndmask_b32_e32 v26, v26, v9, vcc_lo
	v_cmp_eq_u32_e32 vcc_lo, 8, v0
	s_delay_alu instid0(VALU_DEP_2) | instskip(SKIP_1) | instid1(VALU_DEP_2)
	v_cndmask_b32_e32 v26, v26, v10, vcc_lo
	v_cmp_eq_u32_e32 vcc_lo, 9, v0
	v_cndmask_b32_e32 v26, v26, v11, vcc_lo
	v_cmp_eq_u32_e32 vcc_lo, 10, v0
	s_delay_alu instid0(VALU_DEP_2) | instskip(SKIP_1) | instid1(VALU_DEP_2)
	v_cndmask_b32_e32 v26, v26, v12, vcc_lo
	v_cmp_eq_u32_e32 vcc_lo, 11, v0
	v_cndmask_b32_e32 v26, v26, v13, vcc_lo
	v_cmp_eq_u32_e32 vcc_lo, 12, v0
	s_delay_alu instid0(VALU_DEP_2) | instskip(SKIP_1) | instid1(VALU_DEP_2)
	v_cndmask_b32_e32 v26, v26, v14, vcc_lo
	v_cmp_eq_u32_e32 vcc_lo, 13, v0
	v_cndmask_b32_e32 v26, v26, v15, vcc_lo
	v_cmp_eq_u32_e32 vcc_lo, 14, v0
	s_delay_alu instid0(VALU_DEP_2) | instskip(SKIP_1) | instid1(VALU_DEP_2)
	v_cndmask_b32_e32 v26, v26, v16, vcc_lo
	v_cmp_eq_u32_e32 vcc_lo, 15, v0
	v_cndmask_b32_e32 v26, v26, v17, vcc_lo
	v_cmp_eq_u32_e32 vcc_lo, 16, v0
	s_delay_alu instid0(VALU_DEP_2) | instskip(SKIP_1) | instid1(VALU_DEP_2)
	v_cndmask_b32_e32 v26, v26, v18, vcc_lo
	v_cmp_eq_u32_e32 vcc_lo, 17, v0
	v_cndmask_b32_e32 v26, v26, v19, vcc_lo
	v_cmp_eq_u32_e32 vcc_lo, 18, v0
	s_delay_alu instid0(VALU_DEP_2) | instskip(SKIP_1) | instid1(VALU_DEP_2)
	v_cndmask_b32_e32 v26, v26, v20, vcc_lo
	v_cmp_eq_u32_e32 vcc_lo, 19, v0
	v_cndmask_b32_e32 v26, v26, v21, vcc_lo
	v_cmp_eq_u32_e32 vcc_lo, 20, v0
	s_delay_alu instid0(VALU_DEP_2) | instskip(SKIP_1) | instid1(VALU_DEP_2)
	v_cndmask_b32_e32 v26, v26, v22, vcc_lo
	v_cmp_eq_u32_e32 vcc_lo, 21, v0
	v_cndmask_b32_e32 v26, v26, v23, vcc_lo
	v_cmp_eq_u32_e32 vcc_lo, 22, v0
	s_delay_alu instid0(VALU_DEP_2) | instskip(SKIP_1) | instid1(VALU_DEP_2)
	v_cndmask_b32_e32 v26, v26, v24, vcc_lo
	v_cmp_eq_u32_e32 vcc_lo, 23, v0
	v_cndmask_b32_e32 v26, v26, v25, vcc_lo
	s_wait_dscnt 0x0
	s_delay_alu instid0(VALU_DEP_1)
	v_mul_f32_e32 v28, v26, v27
	s_cbranch_execz .LBB23_550
	s_branch .LBB23_551
.LBB23_549:
                                        ; implicit-def: $vgpr28
.LBB23_550:
	ds_load_b32 v28, v117
.LBB23_551:
	s_mov_b32 s1, exec_lo
	v_cmpx_ne_u32_e32 19, v0
	s_cbranch_execz .LBB23_555
; %bb.552:
	v_mov_b64_e32 v[26:27], v[0:1]
	v_lshl_add_u32 v29, v0, 2, 0x64
	s_mov_b32 s2, 0
.LBB23_553:                             ; =>This Inner Loop Header: Depth=1
	s_delay_alu instid0(VALU_DEP_2)
	v_add_nc_u64_e32 v[26:27], 1, v[26:27]
	ds_load_b32 v31, v29
	v_add_nc_u32_e32 v29, 4, v29
	v_cmp_eq_u32_e32 vcc_lo, 1, v26
	v_cndmask_b32_e32 v30, v2, v3, vcc_lo
	v_cmp_eq_u32_e32 vcc_lo, 2, v26
	s_delay_alu instid0(VALU_DEP_2) | instskip(SKIP_1) | instid1(VALU_DEP_2)
	v_cndmask_b32_e32 v30, v30, v4, vcc_lo
	v_cmp_eq_u32_e32 vcc_lo, 3, v26
	v_cndmask_b32_e32 v30, v30, v5, vcc_lo
	v_cmp_eq_u32_e32 vcc_lo, 4, v26
	s_delay_alu instid0(VALU_DEP_2) | instskip(SKIP_1) | instid1(VALU_DEP_2)
	v_cndmask_b32_e32 v30, v30, v6, vcc_lo
	;; [unrolled: 5-line block ×11, first 2 shown]
	v_cmp_eq_u32_e32 vcc_lo, 23, v26
	v_cndmask_b32_e32 v30, v30, v25, vcc_lo
	v_cmp_lt_u32_e32 vcc_lo, 18, v26
	s_wait_dscnt 0x0
	s_delay_alu instid0(VALU_DEP_2) | instskip(SKIP_1) | instid1(SALU_CYCLE_1)
	v_fmac_f32_e32 v28, v30, v31
	s_or_b32 s2, vcc_lo, s2
	s_and_not1_b32 exec_lo, exec_lo, s2
	s_cbranch_execnz .LBB23_553
; %bb.554:
	s_or_b32 exec_lo, exec_lo, s2
.LBB23_555:
	s_delay_alu instid0(SALU_CYCLE_1)
	s_or_b32 exec_lo, exec_lo, s1
	v_mov_b32_e32 v22, 0
	ds_load_b32 v22, v22 offset:80
	s_wait_dscnt 0x0
	v_mul_f32_e32 v22, v28, v22
.LBB23_556:
	s_or_b32 exec_lo, exec_lo, s0
	s_delay_alu instid0(SALU_CYCLE_1)
	s_mov_b32 s0, exec_lo
	ds_store_b32 v117, v23
	s_wait_dscnt 0x0
	s_barrier_signal -1
	s_barrier_wait -1
	v_cmpx_gt_u32_e32 21, v0
	s_cbranch_execz .LBB23_566
; %bb.557:
	v_cmp_ne_u32_e32 vcc_lo, 1, v34
	s_cbranch_vccnz .LBB23_559
; %bb.558:
	v_cmp_eq_u32_e32 vcc_lo, 1, v0
	ds_load_b32 v27, v117
	v_cndmask_b32_e32 v26, v2, v3, vcc_lo
	v_cmp_eq_u32_e32 vcc_lo, 2, v0
	s_delay_alu instid0(VALU_DEP_2) | instskip(SKIP_1) | instid1(VALU_DEP_2)
	v_cndmask_b32_e32 v26, v26, v4, vcc_lo
	v_cmp_eq_u32_e32 vcc_lo, 3, v0
	v_cndmask_b32_e32 v26, v26, v5, vcc_lo
	v_cmp_eq_u32_e32 vcc_lo, 4, v0
	s_delay_alu instid0(VALU_DEP_2) | instskip(SKIP_1) | instid1(VALU_DEP_2)
	v_cndmask_b32_e32 v26, v26, v6, vcc_lo
	v_cmp_eq_u32_e32 vcc_lo, 5, v0
	;; [unrolled: 5-line block ×11, first 2 shown]
	v_cndmask_b32_e32 v26, v26, v25, vcc_lo
	s_wait_dscnt 0x0
	s_delay_alu instid0(VALU_DEP_1)
	v_mul_f32_e32 v28, v26, v27
	s_cbranch_execz .LBB23_560
	s_branch .LBB23_561
.LBB23_559:
                                        ; implicit-def: $vgpr28
.LBB23_560:
	ds_load_b32 v28, v117
.LBB23_561:
	s_mov_b32 s1, exec_lo
	v_cmpx_ne_u32_e32 20, v0
	s_cbranch_execz .LBB23_565
; %bb.562:
	v_mov_b64_e32 v[26:27], v[0:1]
	v_lshl_add_u32 v29, v0, 2, 0x64
	s_mov_b32 s2, 0
.LBB23_563:                             ; =>This Inner Loop Header: Depth=1
	s_delay_alu instid0(VALU_DEP_2)
	v_add_nc_u64_e32 v[26:27], 1, v[26:27]
	ds_load_b32 v31, v29
	v_add_nc_u32_e32 v29, 4, v29
	v_cmp_eq_u32_e32 vcc_lo, 1, v26
	v_cndmask_b32_e32 v30, v2, v3, vcc_lo
	v_cmp_eq_u32_e32 vcc_lo, 2, v26
	s_delay_alu instid0(VALU_DEP_2) | instskip(SKIP_1) | instid1(VALU_DEP_2)
	v_cndmask_b32_e32 v30, v30, v4, vcc_lo
	v_cmp_eq_u32_e32 vcc_lo, 3, v26
	v_cndmask_b32_e32 v30, v30, v5, vcc_lo
	v_cmp_eq_u32_e32 vcc_lo, 4, v26
	s_delay_alu instid0(VALU_DEP_2) | instskip(SKIP_1) | instid1(VALU_DEP_2)
	v_cndmask_b32_e32 v30, v30, v6, vcc_lo
	;; [unrolled: 5-line block ×11, first 2 shown]
	v_cmp_eq_u32_e32 vcc_lo, 23, v26
	v_cndmask_b32_e32 v30, v30, v25, vcc_lo
	v_cmp_lt_u32_e32 vcc_lo, 19, v26
	s_wait_dscnt 0x0
	s_delay_alu instid0(VALU_DEP_2) | instskip(SKIP_1) | instid1(SALU_CYCLE_1)
	v_fmac_f32_e32 v28, v30, v31
	s_or_b32 s2, vcc_lo, s2
	s_and_not1_b32 exec_lo, exec_lo, s2
	s_cbranch_execnz .LBB23_563
; %bb.564:
	s_or_b32 exec_lo, exec_lo, s2
.LBB23_565:
	s_delay_alu instid0(SALU_CYCLE_1)
	s_or_b32 exec_lo, exec_lo, s1
	v_mov_b32_e32 v23, 0
	ds_load_b32 v23, v23 offset:84
	s_wait_dscnt 0x0
	v_mul_f32_e32 v23, v28, v23
.LBB23_566:
	s_or_b32 exec_lo, exec_lo, s0
	v_cmp_gt_u32_e64 s0, 22, v0
	ds_store_b32 v117, v24
	s_wait_dscnt 0x0
	s_barrier_signal -1
	s_barrier_wait -1
	s_and_saveexec_b32 s1, s0
	s_cbranch_execz .LBB23_576
; %bb.567:
	v_cmp_ne_u32_e32 vcc_lo, 1, v34
	s_cbranch_vccnz .LBB23_569
; %bb.568:
	v_cmp_eq_u32_e32 vcc_lo, 1, v0
	ds_load_b32 v27, v117
	v_cndmask_b32_e32 v26, v2, v3, vcc_lo
	v_cmp_eq_u32_e32 vcc_lo, 2, v0
	s_delay_alu instid0(VALU_DEP_2) | instskip(SKIP_1) | instid1(VALU_DEP_2)
	v_cndmask_b32_e32 v26, v26, v4, vcc_lo
	v_cmp_eq_u32_e32 vcc_lo, 3, v0
	v_cndmask_b32_e32 v26, v26, v5, vcc_lo
	v_cmp_eq_u32_e32 vcc_lo, 4, v0
	s_delay_alu instid0(VALU_DEP_2) | instskip(SKIP_1) | instid1(VALU_DEP_2)
	v_cndmask_b32_e32 v26, v26, v6, vcc_lo
	v_cmp_eq_u32_e32 vcc_lo, 5, v0
	;; [unrolled: 5-line block ×11, first 2 shown]
	v_cndmask_b32_e32 v26, v26, v25, vcc_lo
	s_wait_dscnt 0x0
	s_delay_alu instid0(VALU_DEP_1)
	v_mul_f32_e32 v28, v26, v27
	s_cbranch_execz .LBB23_570
	s_branch .LBB23_571
.LBB23_569:
                                        ; implicit-def: $vgpr28
.LBB23_570:
	ds_load_b32 v28, v117
.LBB23_571:
	s_mov_b32 s2, exec_lo
	v_cmpx_ne_u32_e32 21, v0
	s_cbranch_execz .LBB23_575
; %bb.572:
	v_mov_b64_e32 v[26:27], v[0:1]
	v_lshl_add_u32 v29, v0, 2, 0x64
	s_mov_b32 s3, 0
.LBB23_573:                             ; =>This Inner Loop Header: Depth=1
	s_delay_alu instid0(VALU_DEP_2)
	v_add_nc_u64_e32 v[26:27], 1, v[26:27]
	ds_load_b32 v31, v29
	v_add_nc_u32_e32 v29, 4, v29
	v_cmp_eq_u32_e32 vcc_lo, 1, v26
	v_cndmask_b32_e32 v30, v2, v3, vcc_lo
	v_cmp_eq_u32_e32 vcc_lo, 2, v26
	s_delay_alu instid0(VALU_DEP_2) | instskip(SKIP_1) | instid1(VALU_DEP_2)
	v_cndmask_b32_e32 v30, v30, v4, vcc_lo
	v_cmp_eq_u32_e32 vcc_lo, 3, v26
	v_cndmask_b32_e32 v30, v30, v5, vcc_lo
	v_cmp_eq_u32_e32 vcc_lo, 4, v26
	s_delay_alu instid0(VALU_DEP_2) | instskip(SKIP_1) | instid1(VALU_DEP_2)
	v_cndmask_b32_e32 v30, v30, v6, vcc_lo
	;; [unrolled: 5-line block ×11, first 2 shown]
	v_cmp_eq_u32_e32 vcc_lo, 23, v26
	v_cndmask_b32_e32 v30, v30, v25, vcc_lo
	v_cmp_lt_u32_e32 vcc_lo, 20, v26
	s_wait_dscnt 0x0
	s_delay_alu instid0(VALU_DEP_2) | instskip(SKIP_1) | instid1(SALU_CYCLE_1)
	v_fmac_f32_e32 v28, v30, v31
	s_or_b32 s3, vcc_lo, s3
	s_and_not1_b32 exec_lo, exec_lo, s3
	s_cbranch_execnz .LBB23_573
; %bb.574:
	s_or_b32 exec_lo, exec_lo, s3
.LBB23_575:
	s_delay_alu instid0(SALU_CYCLE_1)
	s_or_b32 exec_lo, exec_lo, s2
	v_mov_b32_e32 v24, 0
	ds_load_b32 v24, v24 offset:88
	s_wait_dscnt 0x0
	v_mul_f32_e32 v24, v28, v24
.LBB23_576:
	s_or_b32 exec_lo, exec_lo, s1
	s_delay_alu instid0(SALU_CYCLE_1)
	s_mov_b32 s1, exec_lo
	ds_store_b32 v117, v25
	s_wait_dscnt 0x0
	s_barrier_signal -1
	s_barrier_wait -1
	v_cmpx_ne_u32_e32 23, v0
	s_cbranch_execz .LBB23_586
; %bb.577:
	v_cmp_ne_u32_e32 vcc_lo, 1, v34
	s_cbranch_vccnz .LBB23_579
; %bb.578:
	v_cmp_eq_u32_e32 vcc_lo, 1, v0
	ds_load_b32 v27, v117
	v_cndmask_b32_e32 v26, v2, v3, vcc_lo
	v_cmp_eq_u32_e32 vcc_lo, 2, v0
	s_delay_alu instid0(VALU_DEP_2) | instskip(SKIP_1) | instid1(VALU_DEP_2)
	v_cndmask_b32_e32 v26, v26, v4, vcc_lo
	v_cmp_eq_u32_e32 vcc_lo, 3, v0
	v_cndmask_b32_e32 v26, v26, v5, vcc_lo
	v_cmp_eq_u32_e32 vcc_lo, 4, v0
	s_delay_alu instid0(VALU_DEP_2) | instskip(SKIP_1) | instid1(VALU_DEP_2)
	v_cndmask_b32_e32 v26, v26, v6, vcc_lo
	v_cmp_eq_u32_e32 vcc_lo, 5, v0
	;; [unrolled: 5-line block ×11, first 2 shown]
	v_cndmask_b32_e32 v26, v26, v25, vcc_lo
	s_wait_dscnt 0x0
	s_delay_alu instid0(VALU_DEP_1)
	v_mul_f32_e32 v26, v26, v27
	s_cbranch_execz .LBB23_580
	s_branch .LBB23_581
.LBB23_579:
                                        ; implicit-def: $vgpr26
.LBB23_580:
	ds_load_b32 v26, v117
.LBB23_581:
	s_and_saveexec_b32 s2, s0
	s_cbranch_execz .LBB23_585
; %bb.582:
	v_lshl_add_u32 v27, v0, 2, 0x64
	s_mov_b32 s0, 0
.LBB23_583:                             ; =>This Inner Loop Header: Depth=1
	v_add_nc_u64_e32 v[0:1], 1, v[0:1]
	ds_load_b32 v29, v27
	v_add_nc_u32_e32 v27, 4, v27
	v_cmp_eq_u32_e32 vcc_lo, 1, v0
	v_cndmask_b32_e32 v28, v2, v3, vcc_lo
	v_cmp_eq_u32_e32 vcc_lo, 2, v0
	s_delay_alu instid0(VALU_DEP_2) | instskip(SKIP_1) | instid1(VALU_DEP_2)
	v_cndmask_b32_e32 v28, v28, v4, vcc_lo
	v_cmp_eq_u32_e32 vcc_lo, 3, v0
	v_cndmask_b32_e32 v28, v28, v5, vcc_lo
	v_cmp_eq_u32_e32 vcc_lo, 4, v0
	s_delay_alu instid0(VALU_DEP_2) | instskip(SKIP_1) | instid1(VALU_DEP_2)
	v_cndmask_b32_e32 v28, v28, v6, vcc_lo
	;; [unrolled: 5-line block ×11, first 2 shown]
	v_cmp_eq_u32_e32 vcc_lo, 23, v0
	v_cndmask_b32_e32 v28, v28, v25, vcc_lo
	v_cmp_lt_u32_e32 vcc_lo, 21, v0
	s_wait_dscnt 0x0
	s_delay_alu instid0(VALU_DEP_2) | instskip(SKIP_1) | instid1(SALU_CYCLE_1)
	v_fmac_f32_e32 v26, v28, v29
	s_or_b32 s0, vcc_lo, s0
	s_and_not1_b32 exec_lo, exec_lo, s0
	s_cbranch_execnz .LBB23_583
; %bb.584:
	s_or_b32 exec_lo, exec_lo, s0
.LBB23_585:
	s_delay_alu instid0(SALU_CYCLE_1)
	s_or_b32 exec_lo, exec_lo, s2
	v_mov_b32_e32 v0, 0
	ds_load_b32 v0, v0 offset:92
	s_wait_dscnt 0x0
	v_mul_f32_e32 v25, v26, v0
.LBB23_586:
	s_or_b32 exec_lo, exec_lo, s1
	v_mov_b64_e32 v[64:65], v[32:33]
	s_delay_alu instid0(VALU_DEP_2)
	v_mov_b64_e32 v[56:57], v[24:25]
	v_mov_b64_e32 v[54:55], v[22:23]
	;; [unrolled: 1-line block ×15, first 2 shown]
.LBB23_587:
	s_wait_xcnt 0x7
	v_lshl_add_u64 v[0:1], v[66:67], 2, s[26:27]
	s_wait_loadcnt 0x7
	v_lshl_add_u64 v[2:3], v[68:69], 2, s[26:27]
	v_lshl_add_u64 v[4:5], v[70:71], 2, s[26:27]
	;; [unrolled: 1-line block ×8, first 2 shown]
	s_wait_loadcnt 0x6
	v_lshl_add_u64 v[18:19], v[84:85], 2, s[26:27]
	s_wait_loadcnt 0x4
	v_lshl_add_u64 v[20:21], v[86:87], 2, s[26:27]
	;; [unrolled: 2-line block ×4, first 2 shown]
	v_lshl_add_u64 v[26:27], v[92:93], 2, s[26:27]
	v_lshl_add_u64 v[28:29], v[94:95], 2, s[26:27]
	;; [unrolled: 1-line block ×9, first 2 shown]
	s_clause 0x17
	global_store_b32 v[96:97], v34, off
	global_store_b32 v[100:101], v35, off
	;; [unrolled: 1-line block ×24, first 2 shown]
.LBB23_588:
	s_sendmsg sendmsg(MSG_DEALLOC_VGPRS)
	s_endpgm
	.section	.rodata,"a",@progbits
	.p2align	6, 0x0
	.amdhsa_kernel _ZN9rocsolver6v33100L18trti2_kernel_smallILi24EfPfEEv13rocblas_fill_17rocblas_diagonal_T1_iil
		.amdhsa_group_segment_fixed_size 192
		.amdhsa_private_segment_fixed_size 0
		.amdhsa_kernarg_size 32
		.amdhsa_user_sgpr_count 2
		.amdhsa_user_sgpr_dispatch_ptr 0
		.amdhsa_user_sgpr_queue_ptr 0
		.amdhsa_user_sgpr_kernarg_segment_ptr 1
		.amdhsa_user_sgpr_dispatch_id 0
		.amdhsa_user_sgpr_kernarg_preload_length 0
		.amdhsa_user_sgpr_kernarg_preload_offset 0
		.amdhsa_user_sgpr_private_segment_size 0
		.amdhsa_wavefront_size32 1
		.amdhsa_uses_dynamic_stack 0
		.amdhsa_enable_private_segment 0
		.amdhsa_system_sgpr_workgroup_id_x 1
		.amdhsa_system_sgpr_workgroup_id_y 0
		.amdhsa_system_sgpr_workgroup_id_z 0
		.amdhsa_system_sgpr_workgroup_info 0
		.amdhsa_system_vgpr_workitem_id 0
		.amdhsa_next_free_vgpr 128
		.amdhsa_next_free_sgpr 32
		.amdhsa_named_barrier_count 0
		.amdhsa_reserve_vcc 1
		.amdhsa_float_round_mode_32 0
		.amdhsa_float_round_mode_16_64 0
		.amdhsa_float_denorm_mode_32 3
		.amdhsa_float_denorm_mode_16_64 3
		.amdhsa_fp16_overflow 0
		.amdhsa_memory_ordered 1
		.amdhsa_forward_progress 1
		.amdhsa_inst_pref_size 255
		.amdhsa_round_robin_scheduling 0
		.amdhsa_exception_fp_ieee_invalid_op 0
		.amdhsa_exception_fp_denorm_src 0
		.amdhsa_exception_fp_ieee_div_zero 0
		.amdhsa_exception_fp_ieee_overflow 0
		.amdhsa_exception_fp_ieee_underflow 0
		.amdhsa_exception_fp_ieee_inexact 0
		.amdhsa_exception_int_div_zero 0
	.end_amdhsa_kernel
	.section	.text._ZN9rocsolver6v33100L18trti2_kernel_smallILi24EfPfEEv13rocblas_fill_17rocblas_diagonal_T1_iil,"axG",@progbits,_ZN9rocsolver6v33100L18trti2_kernel_smallILi24EfPfEEv13rocblas_fill_17rocblas_diagonal_T1_iil,comdat
.Lfunc_end23:
	.size	_ZN9rocsolver6v33100L18trti2_kernel_smallILi24EfPfEEv13rocblas_fill_17rocblas_diagonal_T1_iil, .Lfunc_end23-_ZN9rocsolver6v33100L18trti2_kernel_smallILi24EfPfEEv13rocblas_fill_17rocblas_diagonal_T1_iil
                                        ; -- End function
	.set _ZN9rocsolver6v33100L18trti2_kernel_smallILi24EfPfEEv13rocblas_fill_17rocblas_diagonal_T1_iil.num_vgpr, 128
	.set _ZN9rocsolver6v33100L18trti2_kernel_smallILi24EfPfEEv13rocblas_fill_17rocblas_diagonal_T1_iil.num_agpr, 0
	.set _ZN9rocsolver6v33100L18trti2_kernel_smallILi24EfPfEEv13rocblas_fill_17rocblas_diagonal_T1_iil.numbered_sgpr, 32
	.set _ZN9rocsolver6v33100L18trti2_kernel_smallILi24EfPfEEv13rocblas_fill_17rocblas_diagonal_T1_iil.num_named_barrier, 0
	.set _ZN9rocsolver6v33100L18trti2_kernel_smallILi24EfPfEEv13rocblas_fill_17rocblas_diagonal_T1_iil.private_seg_size, 0
	.set _ZN9rocsolver6v33100L18trti2_kernel_smallILi24EfPfEEv13rocblas_fill_17rocblas_diagonal_T1_iil.uses_vcc, 1
	.set _ZN9rocsolver6v33100L18trti2_kernel_smallILi24EfPfEEv13rocblas_fill_17rocblas_diagonal_T1_iil.uses_flat_scratch, 0
	.set _ZN9rocsolver6v33100L18trti2_kernel_smallILi24EfPfEEv13rocblas_fill_17rocblas_diagonal_T1_iil.has_dyn_sized_stack, 0
	.set _ZN9rocsolver6v33100L18trti2_kernel_smallILi24EfPfEEv13rocblas_fill_17rocblas_diagonal_T1_iil.has_recursion, 0
	.set _ZN9rocsolver6v33100L18trti2_kernel_smallILi24EfPfEEv13rocblas_fill_17rocblas_diagonal_T1_iil.has_indirect_call, 0
	.section	.AMDGPU.csdata,"",@progbits
; Kernel info:
; codeLenInByte = 38532
; TotalNumSgprs: 34
; NumVgprs: 128
; ScratchSize: 0
; MemoryBound: 0
; FloatMode: 240
; IeeeMode: 1
; LDSByteSize: 192 bytes/workgroup (compile time only)
; SGPRBlocks: 0
; VGPRBlocks: 7
; NumSGPRsForWavesPerEU: 34
; NumVGPRsForWavesPerEU: 128
; NamedBarCnt: 0
; Occupancy: 8
; WaveLimiterHint : 0
; COMPUTE_PGM_RSRC2:SCRATCH_EN: 0
; COMPUTE_PGM_RSRC2:USER_SGPR: 2
; COMPUTE_PGM_RSRC2:TRAP_HANDLER: 0
; COMPUTE_PGM_RSRC2:TGID_X_EN: 1
; COMPUTE_PGM_RSRC2:TGID_Y_EN: 0
; COMPUTE_PGM_RSRC2:TGID_Z_EN: 0
; COMPUTE_PGM_RSRC2:TIDIG_COMP_CNT: 0
	.section	.text._ZN9rocsolver6v33100L18trti2_kernel_smallILi25EfPfEEv13rocblas_fill_17rocblas_diagonal_T1_iil,"axG",@progbits,_ZN9rocsolver6v33100L18trti2_kernel_smallILi25EfPfEEv13rocblas_fill_17rocblas_diagonal_T1_iil,comdat
	.globl	_ZN9rocsolver6v33100L18trti2_kernel_smallILi25EfPfEEv13rocblas_fill_17rocblas_diagonal_T1_iil ; -- Begin function _ZN9rocsolver6v33100L18trti2_kernel_smallILi25EfPfEEv13rocblas_fill_17rocblas_diagonal_T1_iil
	.p2align	8
	.type	_ZN9rocsolver6v33100L18trti2_kernel_smallILi25EfPfEEv13rocblas_fill_17rocblas_diagonal_T1_iil,@function
_ZN9rocsolver6v33100L18trti2_kernel_smallILi25EfPfEEv13rocblas_fill_17rocblas_diagonal_T1_iil: ; @_ZN9rocsolver6v33100L18trti2_kernel_smallILi25EfPfEEv13rocblas_fill_17rocblas_diagonal_T1_iil
; %bb.0:
	s_mov_b32 s2, exec_lo
	v_cmpx_gt_u32_e32 25, v0
	s_cbranch_execz .LBB24_614
; %bb.1:
	s_load_b256 s[36:43], s[0:1], 0x0
	s_wait_xcnt 0x0
	s_bfe_u32 s0, ttmp6, 0x4000c
	s_and_b32 s1, ttmp6, 15
	s_add_co_i32 s0, s0, 1
	s_getreg_b32 s2, hwreg(HW_REG_IB_STS2, 6, 4)
	s_mul_i32 s0, ttmp9, s0
	v_mov_b32_e32 v1, 0
	s_add_co_i32 s0, s1, s0
	s_delay_alu instid0(VALU_DEP_1)
	v_dual_mov_b32 v35, v1 :: v_dual_lshlrev_b32 v34, 2, v0
	s_wait_kmcnt 0x0
	v_add3_u32 v66, s41, s41, v0
	s_ashr_i32 s1, s40, 31
	s_cmp_eq_u32 s2, 0
	s_cselect_b32 s2, ttmp9, s0
	s_delay_alu instid0(VALU_DEP_1)
	v_add_nc_u32_e32 v68, s41, v66
	s_ashr_i32 s3, s2, 31
	s_mov_b32 s0, s40
	s_mul_u64 s[2:3], s[42:43], s[2:3]
	s_lshl_b64 s[0:1], s[0:1], 2
	v_add_nc_u32_e32 v70, s41, v68
	s_lshl_b64 s[2:3], s[2:3], 2
	s_delay_alu instid0(SALU_CYCLE_1) | instskip(NEXT) | instid1(VALU_DEP_1)
	s_add_nc_u64 s[2:3], s[38:39], s[2:3]
	v_add_nc_u32_e32 v72, s41, v70
	s_add_nc_u64 s[26:27], s[2:3], s[0:1]
	s_mov_b32 s0, s41
	s_ashr_i32 s1, s41, 31
	global_load_b32 v2, v0, s[26:27] scale_offset
	v_add_nc_u32_e32 v74, s41, v72
	s_cmp_lg_u32 s37, 0x84
	v_add_nc_u64_e32 v[98:99], s[26:27], v[34:35]
	s_cselect_b32 s25, -1, 0
	s_cmp_eq_u32 s37, 0x84
	v_dual_mov_b32 v35, -1.0 :: v_dual_add_nc_u32 v76, s41, v74
	s_delay_alu instid0(VALU_DEP_2) | instskip(NEXT) | instid1(VALU_DEP_2)
	v_lshl_add_u64 v[102:103], s[0:1], 2, v[98:99]
	v_add_nc_u32_e32 v78, s41, v76
	v_cmp_eq_u32_e64 s0, 0, v0
	s_clause 0x7
	global_load_b32 v3, v[102:103], off
	global_load_b32 v4, v66, s[26:27] scale_offset
	global_load_b32 v5, v68, s[26:27] scale_offset
	global_load_b32 v6, v70, s[26:27] scale_offset
	global_load_b32 v7, v72, s[26:27] scale_offset
	global_load_b32 v8, v74, s[26:27] scale_offset
	global_load_b32 v9, v76, s[26:27] scale_offset
	global_load_b32 v10, v78, s[26:27] scale_offset
	v_add_nc_u32_e32 v80, s41, v78
	s_delay_alu instid0(VALU_DEP_1) | instskip(NEXT) | instid1(VALU_DEP_1)
	v_add_nc_u32_e32 v82, s41, v80
	v_add_nc_u32_e32 v84, s41, v82
	s_delay_alu instid0(VALU_DEP_1) | instskip(NEXT) | instid1(VALU_DEP_1)
	v_add_nc_u32_e32 v86, s41, v84
	;; [unrolled: 3-line block ×3, first 2 shown]
	v_add_nc_u32_e32 v92, s41, v90
	s_delay_alu instid0(VALU_DEP_1)
	v_add_nc_u32_e32 v94, s41, v92
	s_clause 0x7
	global_load_b32 v11, v80, s[26:27] scale_offset
	global_load_b32 v12, v82, s[26:27] scale_offset
	;; [unrolled: 1-line block ×8, first 2 shown]
	v_add_nc_u32_e32 v96, s41, v94
	s_delay_alu instid0(VALU_DEP_1) | instskip(NEXT) | instid1(VALU_DEP_1)
	v_add_nc_u32_e32 v100, s41, v96
	v_add_nc_u32_e32 v104, s41, v100
	s_delay_alu instid0(VALU_DEP_1) | instskip(NEXT) | instid1(VALU_DEP_1)
	v_add_nc_u32_e32 v106, s41, v104
	;; [unrolled: 3-line block ×3, first 2 shown]
	v_add_nc_u32_e32 v112, s41, v110
	s_delay_alu instid0(VALU_DEP_1)
	v_add_nc_u32_e32 v114, s41, v112
	s_clause 0x7
	global_load_b32 v19, v96, s[26:27] scale_offset
	global_load_b32 v20, v100, s[26:27] scale_offset
	;; [unrolled: 1-line block ×8, first 2 shown]
	s_cbranch_scc1 .LBB24_3
; %bb.2:
	v_cmp_eq_u32_e64 s1, 1, v0
	v_cmp_eq_u32_e64 s2, 2, v0
	;; [unrolled: 1-line block ×5, first 2 shown]
	s_wait_loadcnt 0x17
	v_cndmask_b32_e64 v27, v2, v3, s1
	v_cmp_eq_u32_e64 s6, 6, v0
	v_cmp_eq_u32_e64 s7, 7, v0
	v_cmp_eq_u32_e64 s8, 8, v0
	v_cmp_eq_u32_e64 s9, 9, v0
	s_wait_loadcnt 0x16
	v_cndmask_b32_e64 v27, v27, v4, s2
	v_cmp_eq_u32_e64 s10, 10, v0
	v_cmp_eq_u32_e64 s11, 11, v0
	v_cmp_eq_u32_e64 s12, 12, v0
	v_cmp_eq_u32_e64 s13, 13, v0
	;; [unrolled: 6-line block ×4, first 2 shown]
	s_wait_loadcnt 0x13
	v_cndmask_b32_e64 v27, v27, v7, s5
	v_cmp_eq_u32_e64 s22, 22, v0
	v_cmp_eq_u32_e64 s23, 23, v0
	;; [unrolled: 1-line block ×3, first 2 shown]
	s_wait_loadcnt 0x12
	v_cndmask_b32_e64 v27, v27, v8, s6
	s_wait_loadcnt 0x11
	s_delay_alu instid0(VALU_DEP_1) | instskip(SKIP_1) | instid1(VALU_DEP_1)
	v_cndmask_b32_e64 v27, v27, v9, s7
	s_wait_loadcnt 0x10
	v_cndmask_b32_e64 v27, v27, v10, s8
	s_wait_loadcnt 0xf
	s_delay_alu instid0(VALU_DEP_1) | instskip(SKIP_1) | instid1(VALU_DEP_1)
	v_cndmask_b32_e64 v27, v27, v11, s9
	;; [unrolled: 5-line block ×9, first 2 shown]
	s_wait_loadcnt 0x0
	v_cndmask_b32_e64 v27, v27, v26, s24
	s_delay_alu instid0(VALU_DEP_1) | instskip(SKIP_1) | instid1(VALU_DEP_2)
	v_div_scale_f32 v28, null, v27, v27, 1.0
	v_div_scale_f32 v31, vcc_lo, 1.0, v27, 1.0
	v_rcp_f32_e32 v29, v28
	v_nop
	s_delay_alu instid0(TRANS32_DEP_1) | instskip(NEXT) | instid1(VALU_DEP_1)
	v_fma_f32 v30, -v28, v29, 1.0
	v_fmac_f32_e32 v29, v30, v29
	s_delay_alu instid0(VALU_DEP_1) | instskip(NEXT) | instid1(VALU_DEP_1)
	v_mul_f32_e32 v30, v31, v29
	v_fma_f32 v32, -v28, v30, v31
	s_delay_alu instid0(VALU_DEP_1) | instskip(NEXT) | instid1(VALU_DEP_1)
	v_fmac_f32_e32 v30, v32, v29
	v_fma_f32 v28, -v28, v30, v31
	s_delay_alu instid0(VALU_DEP_1) | instskip(NEXT) | instid1(VALU_DEP_1)
	v_div_fmas_f32 v28, v28, v29, v30
	v_div_fixup_f32 v27, v28, v27, 1.0
	s_delay_alu instid0(VALU_DEP_1)
	v_dual_cndmask_b32 v26, v26, v27, s24 :: v_dual_cndmask_b32 v25, v25, v27, s23
	v_dual_cndmask_b32 v24, v24, v27, s22 :: v_dual_cndmask_b32 v23, v23, v27, s21
	;; [unrolled: 1-line block ×12, first 2 shown]
	v_cndmask_b32_e64 v2, v2, v27, s0
	v_xor_b32_e32 v35, 0x80000000, v27
.LBB24_3:
	v_dual_ashrrev_i32 v67, 31, v66 :: v_dual_ashrrev_i32 v69, 31, v68
	v_dual_ashrrev_i32 v71, 31, v70 :: v_dual_ashrrev_i32 v73, 31, v72
	;; [unrolled: 1-line block ×11, first 2 shown]
	v_ashrrev_i32_e32 v113, 31, v112
	v_add_nc_u32_e32 v119, 0x70, v34
	s_cmp_eq_u32 s36, 0x79
	ds_store_b32 v34, v35
	s_cbranch_scc1 .LBB24_7
; %bb.4:
	s_wait_loadcnt 0x0
	v_mov_b64_e32 v[64:65], v[32:33]
	v_mov_b64_e32 v[62:63], v[30:31]
	v_mov_b64_e32 v[60:61], v[28:29]
	v_mov_b64_e32 v[58:59], v[26:27]
	v_mov_b64_e32 v[56:57], v[24:25]
	v_mov_b64_e32 v[54:55], v[22:23]
	v_mov_b64_e32 v[52:53], v[20:21]
	v_mov_b64_e32 v[50:51], v[18:19]
	v_mov_b64_e32 v[48:49], v[16:17]
	v_mov_b64_e32 v[46:47], v[14:15]
	v_mov_b64_e32 v[44:45], v[12:13]
	v_mov_b64_e32 v[42:43], v[10:11]
	v_mov_b64_e32 v[40:41], v[8:9]
	v_mov_b64_e32 v[38:39], v[6:7]
	v_mov_b64_e32 v[36:37], v[4:5]
	v_mov_b64_e32 v[34:35], v[2:3]
	v_cmp_eq_u32_e64 s1, 24, v0
	ds_store_b32 v119, v25
	s_wait_dscnt 0x0
	s_barrier_signal -1
	s_barrier_wait -1
	s_and_saveexec_b32 s0, s1
	s_cbranch_execz .LBB24_11
; %bb.5:
	s_and_b32 vcc_lo, exec_lo, s25
	s_cbranch_vccz .LBB24_8
; %bb.6:
	v_cmp_eq_u32_e32 vcc_lo, 1, v0
	ds_load_b32 v35, v119
	v_cndmask_b32_e32 v34, v2, v3, vcc_lo
	v_cmp_eq_u32_e32 vcc_lo, 2, v0
	s_delay_alu instid0(VALU_DEP_2) | instskip(SKIP_1) | instid1(VALU_DEP_2)
	v_cndmask_b32_e32 v34, v34, v4, vcc_lo
	v_cmp_eq_u32_e32 vcc_lo, 3, v0
	v_cndmask_b32_e32 v34, v34, v5, vcc_lo
	v_cmp_eq_u32_e32 vcc_lo, 4, v0
	s_delay_alu instid0(VALU_DEP_2) | instskip(SKIP_1) | instid1(VALU_DEP_2)
	v_cndmask_b32_e32 v34, v34, v6, vcc_lo
	v_cmp_eq_u32_e32 vcc_lo, 5, v0
	;; [unrolled: 5-line block ×11, first 2 shown]
	v_cndmask_b32_e32 v34, v34, v25, vcc_lo
	v_cmp_eq_u32_e32 vcc_lo, 24, v0
	s_delay_alu instid0(VALU_DEP_2) | instskip(SKIP_1) | instid1(VALU_DEP_1)
	v_cndmask_b32_e32 v34, v34, v26, vcc_lo
	s_wait_dscnt 0x0
	v_mul_f32_e32 v57, v34, v35
	s_cbranch_execz .LBB24_9
	s_branch .LBB24_10
.LBB24_7:
                                        ; implicit-def: $vgpr34_vgpr35_vgpr36_vgpr37_vgpr38_vgpr39_vgpr40_vgpr41_vgpr42_vgpr43_vgpr44_vgpr45_vgpr46_vgpr47_vgpr48_vgpr49_vgpr50_vgpr51_vgpr52_vgpr53_vgpr54_vgpr55_vgpr56_vgpr57_vgpr58_vgpr59_vgpr60_vgpr61_vgpr62_vgpr63_vgpr64_vgpr65
	s_cbranch_execnz .LBB24_370
	s_branch .LBB24_613
.LBB24_8:
                                        ; implicit-def: $vgpr57
.LBB24_9:
	ds_load_b32 v57, v119
.LBB24_10:
	v_dual_mov_b32 v38, 0 :: v_dual_mov_b32 v34, v2
	v_dual_mov_b32 v35, v3 :: v_dual_mov_b32 v36, v4
	v_mov_b32_e32 v37, v5
	ds_load_b32 v58, v38 offset:92
	v_dual_mov_b32 v38, v6 :: v_dual_mov_b32 v39, v7
	v_dual_mov_b32 v40, v8 :: v_dual_mov_b32 v41, v9
	;; [unrolled: 1-line block ×9, first 2 shown]
	s_wait_dscnt 0x0
	v_dual_mov_b32 v56, v24 :: v_dual_mul_f32 v57, v57, v58
	v_mov_b32_e32 v58, v26
.LBB24_11:
	s_or_b32 exec_lo, exec_lo, s0
	v_cmp_lt_u32_e64 s0, 22, v0
	ds_store_b32 v119, v56
	s_wait_dscnt 0x0
	s_barrier_signal -1
	s_barrier_wait -1
	s_and_saveexec_b32 s2, s0
	s_cbranch_execz .LBB24_17
; %bb.12:
	s_and_not1_b32 vcc_lo, exec_lo, s25
	s_cbranch_vccnz .LBB24_14
; %bb.13:
	v_cmp_eq_u32_e32 vcc_lo, 1, v0
	ds_load_b32 v60, v119
	v_cndmask_b32_e32 v59, v34, v35, vcc_lo
	v_cmp_eq_u32_e32 vcc_lo, 2, v0
	s_delay_alu instid0(VALU_DEP_2) | instskip(SKIP_1) | instid1(VALU_DEP_2)
	v_cndmask_b32_e32 v59, v59, v36, vcc_lo
	v_cmp_eq_u32_e32 vcc_lo, 3, v0
	v_cndmask_b32_e32 v59, v59, v37, vcc_lo
	v_cmp_eq_u32_e32 vcc_lo, 4, v0
	s_delay_alu instid0(VALU_DEP_2) | instskip(SKIP_1) | instid1(VALU_DEP_2)
	v_cndmask_b32_e32 v59, v59, v38, vcc_lo
	v_cmp_eq_u32_e32 vcc_lo, 5, v0
	;; [unrolled: 5-line block ×11, first 2 shown]
	v_cndmask_b32_e32 v56, v56, v57, vcc_lo
	v_cmp_eq_u32_e32 vcc_lo, 24, v0
	s_delay_alu instid0(VALU_DEP_2) | instskip(SKIP_1) | instid1(VALU_DEP_1)
	v_cndmask_b32_e32 v56, v56, v58, vcc_lo
	s_wait_dscnt 0x0
	v_mul_f32_e32 v56, v56, v60
	s_cbranch_execz .LBB24_15
	s_branch .LBB24_16
.LBB24_14:
                                        ; implicit-def: $vgpr56
.LBB24_15:
	ds_load_b32 v56, v119
.LBB24_16:
	v_mov_b32_e32 v59, 0
	ds_load_2addr_b32 v[60:61], v59 offset0:22 offset1:51
	s_wait_dscnt 0x0
	v_fma_f32 v59, v57, v61, v56
	s_delay_alu instid0(VALU_DEP_1) | instskip(NEXT) | instid1(VALU_DEP_1)
	v_cndmask_b32_e64 v56, v56, v59, s1
	v_mul_f32_e32 v56, v56, v60
.LBB24_17:
	s_or_b32 exec_lo, exec_lo, s2
	v_cmp_lt_u32_e64 s1, 21, v0
	ds_store_b32 v119, v55
	s_wait_dscnt 0x0
	s_barrier_signal -1
	s_barrier_wait -1
	s_and_saveexec_b32 s4, s1
	s_cbranch_execz .LBB24_33
; %bb.18:
	s_and_not1_b32 vcc_lo, exec_lo, s25
	s_cbranch_vccnz .LBB24_20
; %bb.19:
	v_cmp_eq_u32_e32 vcc_lo, 1, v0
	ds_load_b32 v117, v119
	v_cndmask_b32_e32 v116, v34, v35, vcc_lo
	v_cmp_eq_u32_e32 vcc_lo, 2, v0
	s_delay_alu instid0(VALU_DEP_2) | instskip(SKIP_1) | instid1(VALU_DEP_2)
	v_cndmask_b32_e32 v116, v116, v36, vcc_lo
	v_cmp_eq_u32_e32 vcc_lo, 3, v0
	v_cndmask_b32_e32 v116, v116, v37, vcc_lo
	v_cmp_eq_u32_e32 vcc_lo, 4, v0
	s_delay_alu instid0(VALU_DEP_2) | instskip(SKIP_1) | instid1(VALU_DEP_2)
	v_cndmask_b32_e32 v116, v116, v38, vcc_lo
	v_cmp_eq_u32_e32 vcc_lo, 5, v0
	;; [unrolled: 5-line block ×11, first 2 shown]
	v_cndmask_b32_e32 v116, v116, v57, vcc_lo
	v_cmp_eq_u32_e32 vcc_lo, 24, v0
	s_delay_alu instid0(VALU_DEP_2) | instskip(SKIP_1) | instid1(VALU_DEP_1)
	v_cndmask_b32_e32 v116, v116, v58, vcc_lo
	s_wait_dscnt 0x0
	v_mul_f32_e32 v120, v116, v117
	s_cbranch_execz .LBB24_21
	s_branch .LBB24_22
.LBB24_20:
                                        ; implicit-def: $vgpr120
.LBB24_21:
	ds_load_b32 v120, v119
.LBB24_22:
	s_and_saveexec_b32 s5, s0
	s_cbranch_execz .LBB24_32
; %bb.23:
	v_subrev_nc_u32_e32 v118, 23, v0
	v_mov_b32_e32 v116, 22
	v_subrev_nc_u32_e32 v117, 22, v0
	s_mov_b32 s0, exec_lo
	s_delay_alu instid0(VALU_DEP_3)
	v_cmpx_lt_u32_e32 6, v118
	s_cbranch_execz .LBB24_27
; %bb.24:
	s_delay_alu instid0(VALU_DEP_2) | instskip(SKIP_3) | instid1(VALU_DEP_1)
	v_and_b32_e32 v116, -8, v117
	s_mov_b32 s6, 0
	s_mov_b64 s[2:3], 29
	s_movk_i32 s7, 0xc8
	v_sub_nc_u32_e32 v118, 0, v116
.LBB24_25:                              ; =>This Inner Loop Header: Depth=1
	s_add_co_i32 m0, s2, -7
	v_movrels_b32_e32 v116, v34
	v_mov_b32_e32 v121, s7
	s_add_co_i32 m0, s2, -6
	s_add_co_i32 s7, s7, 32
	ds_load_2addr_b64 v[122:125], v121 offset1:1
	s_wait_dscnt 0x0
	v_fmac_f32_e32 v120, v116, v122
	v_movrels_b32_e32 v116, v34
	s_add_co_i32 m0, s2, -5
	s_delay_alu instid0(VALU_DEP_1) | instskip(SKIP_2) | instid1(VALU_DEP_1)
	v_fmac_f32_e32 v120, v116, v123
	v_movrels_b32_e32 v116, v34
	s_add_co_i32 m0, s2, -4
	v_fmac_f32_e32 v120, v116, v124
	v_movrels_b32_e32 v116, v34
	s_add_co_i32 m0, s2, -3
	s_delay_alu instid0(VALU_DEP_1) | instskip(SKIP_4) | instid1(VALU_DEP_1)
	v_fmac_f32_e32 v120, v116, v125
	ds_load_2addr_b64 v[122:125], v121 offset0:2 offset1:3
	v_movrels_b32_e32 v116, v34
	s_add_co_i32 m0, s2, -2
	s_wait_dscnt 0x0
	v_fmac_f32_e32 v120, v116, v122
	v_movrels_b32_e32 v116, v34
	s_add_co_i32 m0, s2, -1
	s_delay_alu instid0(VALU_DEP_1) | instskip(SKIP_3) | instid1(SALU_CYCLE_1)
	v_fmac_f32_e32 v120, v116, v123
	v_movrels_b32_e32 v116, v34
	s_mov_b32 m0, s2
	s_add_nc_u64 s[2:3], s[2:3], 8
	s_add_co_i32 s8, s2, -7
	s_delay_alu instid0(VALU_DEP_1) | instskip(SKIP_1) | instid1(VALU_DEP_1)
	v_fmac_f32_e32 v120, v116, v124
	v_movrels_b32_e32 v116, v34
	v_dual_fmac_f32 v120, v116, v125 :: v_dual_add_nc_u32 v116, s2, v118
	s_delay_alu instid0(VALU_DEP_1) | instskip(SKIP_2) | instid1(SALU_CYCLE_1)
	v_cmp_eq_u32_e32 vcc_lo, 29, v116
	v_mov_b32_e32 v116, s8
	s_or_b32 s6, vcc_lo, s6
	s_and_not1_b32 exec_lo, exec_lo, s6
	s_cbranch_execnz .LBB24_25
; %bb.26:
	s_or_b32 exec_lo, exec_lo, s6
.LBB24_27:
	s_delay_alu instid0(SALU_CYCLE_1) | instskip(SKIP_3) | instid1(VALU_DEP_1)
	s_or_b32 exec_lo, exec_lo, s0
	v_and_b32_e32 v59, 7, v117
	s_mov_b32 s2, 0
	s_mov_b32 s0, exec_lo
	v_cmpx_ne_u32_e32 0, v59
	s_cbranch_execz .LBB24_31
; %bb.28:
	v_lshl_add_u32 v60, v116, 2, 0x70
	v_mov_b32_e32 v117, 0
.LBB24_29:                              ; =>This Inner Loop Header: Depth=1
	v_cmp_eq_u32_e32 vcc_lo, 1, v116
	ds_load_b32 v62, v60
	v_dual_add_nc_u32 v60, 4, v60 :: v_dual_add_nc_u32 v59, -1, v59
	v_cndmask_b32_e32 v61, v34, v35, vcc_lo
	v_cmp_eq_u32_e32 vcc_lo, 2, v116
	s_delay_alu instid0(VALU_DEP_2) | instskip(SKIP_1) | instid1(VALU_DEP_2)
	v_cndmask_b32_e32 v61, v61, v36, vcc_lo
	v_cmp_eq_u32_e32 vcc_lo, 3, v116
	v_cndmask_b32_e32 v61, v61, v37, vcc_lo
	v_cmp_eq_u32_e32 vcc_lo, 4, v116
	s_delay_alu instid0(VALU_DEP_2) | instskip(SKIP_1) | instid1(VALU_DEP_2)
	v_cndmask_b32_e32 v61, v61, v38, vcc_lo
	v_cmp_eq_u32_e32 vcc_lo, 5, v116
	;; [unrolled: 5-line block ×11, first 2 shown]
	v_cndmask_b32_e32 v61, v61, v57, vcc_lo
	v_cmp_eq_u32_e32 vcc_lo, 24, v116
	v_add_nc_u64_e32 v[116:117], 1, v[116:117]
	s_delay_alu instid0(VALU_DEP_3) | instskip(SKIP_2) | instid1(VALU_DEP_2)
	v_cndmask_b32_e32 v61, v61, v58, vcc_lo
	v_cmp_eq_u32_e32 vcc_lo, 0, v59
	s_wait_dscnt 0x0
	v_fmac_f32_e32 v120, v61, v62
	s_or_b32 s2, vcc_lo, s2
	s_delay_alu instid0(SALU_CYCLE_1)
	s_and_not1_b32 exec_lo, exec_lo, s2
	s_cbranch_execnz .LBB24_29
; %bb.30:
	s_or_b32 exec_lo, exec_lo, s2
.LBB24_31:
	s_delay_alu instid0(SALU_CYCLE_1)
	s_or_b32 exec_lo, exec_lo, s0
.LBB24_32:
	s_delay_alu instid0(SALU_CYCLE_1)
	s_or_b32 exec_lo, exec_lo, s5
	v_mov_b32_e32 v55, 0
	ds_load_b32 v55, v55 offset:84
	s_wait_dscnt 0x0
	v_mul_f32_e32 v55, v120, v55
.LBB24_33:
	s_or_b32 exec_lo, exec_lo, s4
	v_cmp_lt_u32_e64 s0, 20, v0
	ds_store_b32 v119, v54
	s_wait_dscnt 0x0
	s_barrier_signal -1
	s_barrier_wait -1
	s_and_saveexec_b32 s4, s0
	s_cbranch_execz .LBB24_49
; %bb.34:
	s_and_not1_b32 vcc_lo, exec_lo, s25
	s_cbranch_vccnz .LBB24_36
; %bb.35:
	v_cmp_eq_u32_e32 vcc_lo, 1, v0
	ds_load_b32 v117, v119
	v_cndmask_b32_e32 v116, v34, v35, vcc_lo
	v_cmp_eq_u32_e32 vcc_lo, 2, v0
	s_delay_alu instid0(VALU_DEP_2) | instskip(SKIP_1) | instid1(VALU_DEP_2)
	v_cndmask_b32_e32 v116, v116, v36, vcc_lo
	v_cmp_eq_u32_e32 vcc_lo, 3, v0
	v_cndmask_b32_e32 v116, v116, v37, vcc_lo
	v_cmp_eq_u32_e32 vcc_lo, 4, v0
	s_delay_alu instid0(VALU_DEP_2) | instskip(SKIP_1) | instid1(VALU_DEP_2)
	v_cndmask_b32_e32 v116, v116, v38, vcc_lo
	v_cmp_eq_u32_e32 vcc_lo, 5, v0
	;; [unrolled: 5-line block ×11, first 2 shown]
	v_cndmask_b32_e32 v116, v116, v57, vcc_lo
	v_cmp_eq_u32_e32 vcc_lo, 24, v0
	s_delay_alu instid0(VALU_DEP_2) | instskip(SKIP_1) | instid1(VALU_DEP_1)
	v_cndmask_b32_e32 v116, v116, v58, vcc_lo
	s_wait_dscnt 0x0
	v_mul_f32_e32 v120, v116, v117
	s_cbranch_execz .LBB24_37
	s_branch .LBB24_38
.LBB24_36:
                                        ; implicit-def: $vgpr120
.LBB24_37:
	ds_load_b32 v120, v119
.LBB24_38:
	s_and_saveexec_b32 s5, s1
	s_cbranch_execz .LBB24_48
; %bb.39:
	v_subrev_nc_u32_e32 v118, 22, v0
	v_mov_b32_e32 v116, 21
	v_subrev_nc_u32_e32 v117, 21, v0
	s_mov_b32 s1, exec_lo
	s_delay_alu instid0(VALU_DEP_3)
	v_cmpx_lt_u32_e32 6, v118
	s_cbranch_execz .LBB24_43
; %bb.40:
	s_delay_alu instid0(VALU_DEP_2) | instskip(SKIP_3) | instid1(VALU_DEP_1)
	v_and_b32_e32 v116, -8, v117
	s_mov_b32 s6, 0
	s_mov_b64 s[2:3], 28
	s_movk_i32 s7, 0xc4
	v_sub_nc_u32_e32 v118, 0, v116
.LBB24_41:                              ; =>This Inner Loop Header: Depth=1
	s_add_co_i32 m0, s2, -7
	v_movrels_b32_e32 v116, v34
	v_mov_b32_e32 v121, s7
	s_add_co_i32 m0, s2, -6
	s_add_co_i32 s7, s7, 32
	ds_load_2addr_b32 v[122:123], v121 offset1:1
	s_wait_dscnt 0x0
	v_fmac_f32_e32 v120, v116, v122
	v_movrels_b32_e32 v116, v34
	s_add_co_i32 m0, s2, -5
	s_delay_alu instid0(VALU_DEP_1) | instskip(SKIP_4) | instid1(VALU_DEP_1)
	v_fmac_f32_e32 v120, v116, v123
	ds_load_2addr_b32 v[122:123], v121 offset0:2 offset1:3
	v_movrels_b32_e32 v116, v34
	s_add_co_i32 m0, s2, -4
	s_wait_dscnt 0x0
	v_fmac_f32_e32 v120, v116, v122
	v_movrels_b32_e32 v116, v34
	s_add_co_i32 m0, s2, -3
	s_delay_alu instid0(VALU_DEP_1) | instskip(SKIP_4) | instid1(VALU_DEP_1)
	v_fmac_f32_e32 v120, v116, v123
	ds_load_2addr_b32 v[122:123], v121 offset0:4 offset1:5
	v_movrels_b32_e32 v116, v34
	s_add_co_i32 m0, s2, -2
	s_wait_dscnt 0x0
	v_fmac_f32_e32 v120, v116, v122
	v_movrels_b32_e32 v116, v34
	s_add_co_i32 m0, s2, -1
	s_delay_alu instid0(VALU_DEP_1) | instskip(SKIP_4) | instid1(SALU_CYCLE_1)
	v_fmac_f32_e32 v120, v116, v123
	ds_load_2addr_b32 v[122:123], v121 offset0:6 offset1:7
	v_movrels_b32_e32 v116, v34
	s_mov_b32 m0, s2
	s_add_nc_u64 s[2:3], s[2:3], 8
	s_add_co_i32 s8, s2, -7
	s_wait_dscnt 0x0
	v_fmac_f32_e32 v120, v116, v122
	v_movrels_b32_e32 v116, v34
	s_delay_alu instid0(VALU_DEP_1) | instskip(NEXT) | instid1(VALU_DEP_1)
	v_dual_fmac_f32 v120, v116, v123 :: v_dual_add_nc_u32 v116, s2, v118
	v_cmp_eq_u32_e32 vcc_lo, 28, v116
	v_mov_b32_e32 v116, s8
	s_or_b32 s6, vcc_lo, s6
	s_delay_alu instid0(SALU_CYCLE_1)
	s_and_not1_b32 exec_lo, exec_lo, s6
	s_cbranch_execnz .LBB24_41
; %bb.42:
	s_or_b32 exec_lo, exec_lo, s6
.LBB24_43:
	s_delay_alu instid0(SALU_CYCLE_1) | instskip(SKIP_3) | instid1(VALU_DEP_1)
	s_or_b32 exec_lo, exec_lo, s1
	v_and_b32_e32 v59, 7, v117
	s_mov_b32 s2, 0
	s_mov_b32 s1, exec_lo
	v_cmpx_ne_u32_e32 0, v59
	s_cbranch_execz .LBB24_47
; %bb.44:
	v_lshl_add_u32 v60, v116, 2, 0x70
	v_mov_b32_e32 v117, 0
.LBB24_45:                              ; =>This Inner Loop Header: Depth=1
	v_cmp_eq_u32_e32 vcc_lo, 1, v116
	ds_load_b32 v62, v60
	v_dual_add_nc_u32 v60, 4, v60 :: v_dual_add_nc_u32 v59, -1, v59
	v_cndmask_b32_e32 v61, v34, v35, vcc_lo
	v_cmp_eq_u32_e32 vcc_lo, 2, v116
	s_delay_alu instid0(VALU_DEP_2) | instskip(SKIP_1) | instid1(VALU_DEP_2)
	v_cndmask_b32_e32 v61, v61, v36, vcc_lo
	v_cmp_eq_u32_e32 vcc_lo, 3, v116
	v_cndmask_b32_e32 v61, v61, v37, vcc_lo
	v_cmp_eq_u32_e32 vcc_lo, 4, v116
	s_delay_alu instid0(VALU_DEP_2) | instskip(SKIP_1) | instid1(VALU_DEP_2)
	v_cndmask_b32_e32 v61, v61, v38, vcc_lo
	v_cmp_eq_u32_e32 vcc_lo, 5, v116
	;; [unrolled: 5-line block ×11, first 2 shown]
	v_cndmask_b32_e32 v61, v61, v57, vcc_lo
	v_cmp_eq_u32_e32 vcc_lo, 24, v116
	v_add_nc_u64_e32 v[116:117], 1, v[116:117]
	s_delay_alu instid0(VALU_DEP_3) | instskip(SKIP_2) | instid1(VALU_DEP_2)
	v_cndmask_b32_e32 v61, v61, v58, vcc_lo
	v_cmp_eq_u32_e32 vcc_lo, 0, v59
	s_wait_dscnt 0x0
	v_fmac_f32_e32 v120, v61, v62
	s_or_b32 s2, vcc_lo, s2
	s_delay_alu instid0(SALU_CYCLE_1)
	s_and_not1_b32 exec_lo, exec_lo, s2
	s_cbranch_execnz .LBB24_45
; %bb.46:
	s_or_b32 exec_lo, exec_lo, s2
.LBB24_47:
	s_delay_alu instid0(SALU_CYCLE_1)
	s_or_b32 exec_lo, exec_lo, s1
.LBB24_48:
	s_delay_alu instid0(SALU_CYCLE_1)
	s_or_b32 exec_lo, exec_lo, s5
	v_mov_b32_e32 v54, 0
	ds_load_b32 v54, v54 offset:80
	s_wait_dscnt 0x0
	v_mul_f32_e32 v54, v120, v54
.LBB24_49:
	s_or_b32 exec_lo, exec_lo, s4
	v_cmp_lt_u32_e64 s1, 19, v0
	ds_store_b32 v119, v53
	s_wait_dscnt 0x0
	s_barrier_signal -1
	s_barrier_wait -1
	s_and_saveexec_b32 s4, s1
	s_cbranch_execz .LBB24_65
; %bb.50:
	s_and_not1_b32 vcc_lo, exec_lo, s25
	s_cbranch_vccnz .LBB24_52
; %bb.51:
	v_cmp_eq_u32_e32 vcc_lo, 1, v0
	ds_load_b32 v117, v119
	v_cndmask_b32_e32 v116, v34, v35, vcc_lo
	v_cmp_eq_u32_e32 vcc_lo, 2, v0
	s_delay_alu instid0(VALU_DEP_2) | instskip(SKIP_1) | instid1(VALU_DEP_2)
	v_cndmask_b32_e32 v116, v116, v36, vcc_lo
	v_cmp_eq_u32_e32 vcc_lo, 3, v0
	v_cndmask_b32_e32 v116, v116, v37, vcc_lo
	v_cmp_eq_u32_e32 vcc_lo, 4, v0
	s_delay_alu instid0(VALU_DEP_2) | instskip(SKIP_1) | instid1(VALU_DEP_2)
	v_cndmask_b32_e32 v116, v116, v38, vcc_lo
	v_cmp_eq_u32_e32 vcc_lo, 5, v0
	;; [unrolled: 5-line block ×11, first 2 shown]
	v_cndmask_b32_e32 v116, v116, v57, vcc_lo
	v_cmp_eq_u32_e32 vcc_lo, 24, v0
	s_delay_alu instid0(VALU_DEP_2) | instskip(SKIP_1) | instid1(VALU_DEP_1)
	v_cndmask_b32_e32 v116, v116, v58, vcc_lo
	s_wait_dscnt 0x0
	v_mul_f32_e32 v120, v116, v117
	s_cbranch_execz .LBB24_53
	s_branch .LBB24_54
.LBB24_52:
                                        ; implicit-def: $vgpr120
.LBB24_53:
	ds_load_b32 v120, v119
.LBB24_54:
	s_and_saveexec_b32 s5, s0
	s_cbranch_execz .LBB24_64
; %bb.55:
	v_subrev_nc_u32_e32 v118, 21, v0
	v_mov_b32_e32 v116, 20
	v_subrev_nc_u32_e32 v117, 20, v0
	s_mov_b32 s0, exec_lo
	s_delay_alu instid0(VALU_DEP_3)
	v_cmpx_lt_u32_e32 6, v118
	s_cbranch_execz .LBB24_59
; %bb.56:
	s_delay_alu instid0(VALU_DEP_2) | instskip(SKIP_3) | instid1(VALU_DEP_1)
	v_and_b32_e32 v116, -8, v117
	s_mov_b32 s6, 0
	s_mov_b64 s[2:3], 27
	s_movk_i32 s7, 0xc0
	v_sub_nc_u32_e32 v118, 0, v116
.LBB24_57:                              ; =>This Inner Loop Header: Depth=1
	s_add_co_i32 m0, s2, -7
	v_movrels_b32_e32 v121, v34
	v_mov_b32_e32 v116, s7
	s_add_co_i32 m0, s2, -6
	s_add_co_i32 s7, s7, 32
	v_movrels_b32_e32 v130, v34
	s_add_co_i32 m0, s2, -5
	ds_load_b128 v[122:125], v116
	ds_load_b128 v[126:129], v116 offset:16
	v_movrels_b32_e32 v116, v34
	s_add_co_i32 m0, s2, -4
	s_wait_dscnt 0x1
	v_fmac_f32_e32 v120, v121, v122
	v_movrels_b32_e32 v121, v34
	s_add_co_i32 m0, s2, -3
	s_delay_alu instid0(VALU_DEP_2) | instskip(NEXT) | instid1(VALU_DEP_1)
	v_fmac_f32_e32 v120, v130, v123
	v_fmac_f32_e32 v120, v116, v124
	v_movrels_b32_e32 v116, v34
	s_add_co_i32 m0, s2, -2
	s_delay_alu instid0(VALU_DEP_2) | instskip(SKIP_3) | instid1(VALU_DEP_2)
	v_fmac_f32_e32 v120, v121, v125
	v_movrels_b32_e32 v121, v34
	s_add_co_i32 m0, s2, -1
	s_wait_dscnt 0x0
	v_fmac_f32_e32 v120, v116, v126
	v_movrels_b32_e32 v116, v34
	s_mov_b32 m0, s2
	s_add_nc_u64 s[2:3], s[2:3], 8
	v_movrels_b32_e32 v122, v34
	v_dual_fmac_f32 v120, v121, v127 :: v_dual_add_nc_u32 v121, s2, v118
	s_add_co_i32 s8, s2, -7
	s_delay_alu instid0(VALU_DEP_1) | instskip(NEXT) | instid1(VALU_DEP_2)
	v_fmac_f32_e32 v120, v116, v128
	v_cmp_eq_u32_e32 vcc_lo, 27, v121
	s_delay_alu instid0(VALU_DEP_2) | instskip(SKIP_1) | instid1(SALU_CYCLE_1)
	v_dual_mov_b32 v116, s8 :: v_dual_fmac_f32 v120, v122, v129
	s_or_b32 s6, vcc_lo, s6
	s_and_not1_b32 exec_lo, exec_lo, s6
	s_cbranch_execnz .LBB24_57
; %bb.58:
	s_or_b32 exec_lo, exec_lo, s6
.LBB24_59:
	s_delay_alu instid0(SALU_CYCLE_1) | instskip(SKIP_3) | instid1(VALU_DEP_1)
	s_or_b32 exec_lo, exec_lo, s0
	v_and_b32_e32 v59, 7, v117
	s_mov_b32 s2, 0
	s_mov_b32 s0, exec_lo
	v_cmpx_ne_u32_e32 0, v59
	s_cbranch_execz .LBB24_63
; %bb.60:
	v_lshl_add_u32 v60, v116, 2, 0x70
	v_mov_b32_e32 v117, 0
.LBB24_61:                              ; =>This Inner Loop Header: Depth=1
	v_cmp_eq_u32_e32 vcc_lo, 1, v116
	ds_load_b32 v62, v60
	v_dual_add_nc_u32 v60, 4, v60 :: v_dual_add_nc_u32 v59, -1, v59
	v_cndmask_b32_e32 v61, v34, v35, vcc_lo
	v_cmp_eq_u32_e32 vcc_lo, 2, v116
	s_delay_alu instid0(VALU_DEP_2) | instskip(SKIP_1) | instid1(VALU_DEP_2)
	v_cndmask_b32_e32 v61, v61, v36, vcc_lo
	v_cmp_eq_u32_e32 vcc_lo, 3, v116
	v_cndmask_b32_e32 v61, v61, v37, vcc_lo
	v_cmp_eq_u32_e32 vcc_lo, 4, v116
	s_delay_alu instid0(VALU_DEP_2) | instskip(SKIP_1) | instid1(VALU_DEP_2)
	v_cndmask_b32_e32 v61, v61, v38, vcc_lo
	v_cmp_eq_u32_e32 vcc_lo, 5, v116
	;; [unrolled: 5-line block ×11, first 2 shown]
	v_cndmask_b32_e32 v61, v61, v57, vcc_lo
	v_cmp_eq_u32_e32 vcc_lo, 24, v116
	v_add_nc_u64_e32 v[116:117], 1, v[116:117]
	s_delay_alu instid0(VALU_DEP_3) | instskip(SKIP_2) | instid1(VALU_DEP_2)
	v_cndmask_b32_e32 v61, v61, v58, vcc_lo
	v_cmp_eq_u32_e32 vcc_lo, 0, v59
	s_wait_dscnt 0x0
	v_fmac_f32_e32 v120, v61, v62
	s_or_b32 s2, vcc_lo, s2
	s_delay_alu instid0(SALU_CYCLE_1)
	s_and_not1_b32 exec_lo, exec_lo, s2
	s_cbranch_execnz .LBB24_61
; %bb.62:
	s_or_b32 exec_lo, exec_lo, s2
.LBB24_63:
	s_delay_alu instid0(SALU_CYCLE_1)
	s_or_b32 exec_lo, exec_lo, s0
.LBB24_64:
	s_delay_alu instid0(SALU_CYCLE_1)
	s_or_b32 exec_lo, exec_lo, s5
	v_mov_b32_e32 v53, 0
	ds_load_b32 v53, v53 offset:76
	s_wait_dscnt 0x0
	v_mul_f32_e32 v53, v120, v53
.LBB24_65:
	s_or_b32 exec_lo, exec_lo, s4
	v_cmp_lt_u32_e64 s0, 18, v0
	ds_store_b32 v119, v52
	s_wait_dscnt 0x0
	s_barrier_signal -1
	s_barrier_wait -1
	s_and_saveexec_b32 s4, s0
	s_cbranch_execz .LBB24_81
; %bb.66:
	s_and_not1_b32 vcc_lo, exec_lo, s25
	s_cbranch_vccnz .LBB24_68
; %bb.67:
	v_cmp_eq_u32_e32 vcc_lo, 1, v0
	ds_load_b32 v117, v119
	v_cndmask_b32_e32 v116, v34, v35, vcc_lo
	v_cmp_eq_u32_e32 vcc_lo, 2, v0
	s_delay_alu instid0(VALU_DEP_2) | instskip(SKIP_1) | instid1(VALU_DEP_2)
	v_cndmask_b32_e32 v116, v116, v36, vcc_lo
	v_cmp_eq_u32_e32 vcc_lo, 3, v0
	v_cndmask_b32_e32 v116, v116, v37, vcc_lo
	v_cmp_eq_u32_e32 vcc_lo, 4, v0
	s_delay_alu instid0(VALU_DEP_2) | instskip(SKIP_1) | instid1(VALU_DEP_2)
	v_cndmask_b32_e32 v116, v116, v38, vcc_lo
	v_cmp_eq_u32_e32 vcc_lo, 5, v0
	;; [unrolled: 5-line block ×11, first 2 shown]
	v_cndmask_b32_e32 v116, v116, v57, vcc_lo
	v_cmp_eq_u32_e32 vcc_lo, 24, v0
	s_delay_alu instid0(VALU_DEP_2) | instskip(SKIP_1) | instid1(VALU_DEP_1)
	v_cndmask_b32_e32 v116, v116, v58, vcc_lo
	s_wait_dscnt 0x0
	v_mul_f32_e32 v120, v116, v117
	s_cbranch_execz .LBB24_69
	s_branch .LBB24_70
.LBB24_68:
                                        ; implicit-def: $vgpr120
.LBB24_69:
	ds_load_b32 v120, v119
.LBB24_70:
	s_and_saveexec_b32 s5, s1
	s_cbranch_execz .LBB24_80
; %bb.71:
	v_subrev_nc_u32_e32 v118, 20, v0
	v_mov_b32_e32 v116, 19
	v_subrev_nc_u32_e32 v117, 19, v0
	s_mov_b32 s1, exec_lo
	s_delay_alu instid0(VALU_DEP_3)
	v_cmpx_lt_u32_e32 6, v118
	s_cbranch_execz .LBB24_75
; %bb.72:
	s_delay_alu instid0(VALU_DEP_2) | instskip(SKIP_3) | instid1(VALU_DEP_1)
	v_and_b32_e32 v116, -8, v117
	s_mov_b32 s6, 0
	s_mov_b64 s[2:3], 26
	s_movk_i32 s7, 0xbc
	v_sub_nc_u32_e32 v118, 0, v116
.LBB24_73:                              ; =>This Inner Loop Header: Depth=1
	s_add_co_i32 m0, s2, -7
	v_movrels_b32_e32 v121, v34
	v_mov_b32_e32 v116, s7
	s_add_co_i32 m0, s2, -6
	s_add_co_i32 s7, s7, 32
	v_movrels_b32_e32 v130, v34
	ds_load_2addr_b32 v[122:123], v116 offset1:1
	ds_load_2addr_b32 v[124:125], v116 offset0:2 offset1:3
	s_add_co_i32 m0, s2, -5
	s_wait_dscnt 0x1
	v_fmac_f32_e32 v120, v121, v122
	ds_load_2addr_b32 v[126:127], v116 offset0:4 offset1:5
	ds_load_2addr_b32 v[128:129], v116 offset0:6 offset1:7
	v_movrels_b32_e32 v116, v34
	s_add_co_i32 m0, s2, -4
	v_fmac_f32_e32 v120, v130, v123
	v_movrels_b32_e32 v121, v34
	s_add_co_i32 m0, s2, -3
	s_wait_dscnt 0x2
	s_delay_alu instid0(VALU_DEP_2) | instskip(SKIP_2) | instid1(VALU_DEP_2)
	v_fmac_f32_e32 v120, v116, v124
	v_movrels_b32_e32 v116, v34
	s_add_co_i32 m0, s2, -2
	v_fmac_f32_e32 v120, v121, v125
	v_movrels_b32_e32 v121, v34
	s_add_co_i32 m0, s2, -1
	s_wait_dscnt 0x1
	s_delay_alu instid0(VALU_DEP_2)
	v_fmac_f32_e32 v120, v116, v126
	v_movrels_b32_e32 v116, v34
	s_mov_b32 m0, s2
	s_add_nc_u64 s[2:3], s[2:3], 8
	v_movrels_b32_e32 v122, v34
	v_dual_fmac_f32 v120, v121, v127 :: v_dual_add_nc_u32 v121, s2, v118
	s_add_co_i32 s8, s2, -7
	s_wait_dscnt 0x0
	s_delay_alu instid0(VALU_DEP_1) | instskip(NEXT) | instid1(VALU_DEP_2)
	v_fmac_f32_e32 v120, v116, v128
	v_cmp_eq_u32_e32 vcc_lo, 26, v121
	s_delay_alu instid0(VALU_DEP_2) | instskip(SKIP_1) | instid1(SALU_CYCLE_1)
	v_dual_mov_b32 v116, s8 :: v_dual_fmac_f32 v120, v122, v129
	s_or_b32 s6, vcc_lo, s6
	s_and_not1_b32 exec_lo, exec_lo, s6
	s_cbranch_execnz .LBB24_73
; %bb.74:
	s_or_b32 exec_lo, exec_lo, s6
.LBB24_75:
	s_delay_alu instid0(SALU_CYCLE_1) | instskip(SKIP_3) | instid1(VALU_DEP_1)
	s_or_b32 exec_lo, exec_lo, s1
	v_and_b32_e32 v59, 7, v117
	s_mov_b32 s2, 0
	s_mov_b32 s1, exec_lo
	v_cmpx_ne_u32_e32 0, v59
	s_cbranch_execz .LBB24_79
; %bb.76:
	v_lshl_add_u32 v60, v116, 2, 0x70
	v_mov_b32_e32 v117, 0
.LBB24_77:                              ; =>This Inner Loop Header: Depth=1
	v_cmp_eq_u32_e32 vcc_lo, 1, v116
	ds_load_b32 v62, v60
	v_dual_add_nc_u32 v60, 4, v60 :: v_dual_add_nc_u32 v59, -1, v59
	v_cndmask_b32_e32 v61, v34, v35, vcc_lo
	v_cmp_eq_u32_e32 vcc_lo, 2, v116
	s_delay_alu instid0(VALU_DEP_2) | instskip(SKIP_1) | instid1(VALU_DEP_2)
	v_cndmask_b32_e32 v61, v61, v36, vcc_lo
	v_cmp_eq_u32_e32 vcc_lo, 3, v116
	v_cndmask_b32_e32 v61, v61, v37, vcc_lo
	v_cmp_eq_u32_e32 vcc_lo, 4, v116
	s_delay_alu instid0(VALU_DEP_2) | instskip(SKIP_1) | instid1(VALU_DEP_2)
	v_cndmask_b32_e32 v61, v61, v38, vcc_lo
	v_cmp_eq_u32_e32 vcc_lo, 5, v116
	;; [unrolled: 5-line block ×11, first 2 shown]
	v_cndmask_b32_e32 v61, v61, v57, vcc_lo
	v_cmp_eq_u32_e32 vcc_lo, 24, v116
	v_add_nc_u64_e32 v[116:117], 1, v[116:117]
	s_delay_alu instid0(VALU_DEP_3) | instskip(SKIP_2) | instid1(VALU_DEP_2)
	v_cndmask_b32_e32 v61, v61, v58, vcc_lo
	v_cmp_eq_u32_e32 vcc_lo, 0, v59
	s_wait_dscnt 0x0
	v_fmac_f32_e32 v120, v61, v62
	s_or_b32 s2, vcc_lo, s2
	s_delay_alu instid0(SALU_CYCLE_1)
	s_and_not1_b32 exec_lo, exec_lo, s2
	s_cbranch_execnz .LBB24_77
; %bb.78:
	s_or_b32 exec_lo, exec_lo, s2
.LBB24_79:
	s_delay_alu instid0(SALU_CYCLE_1)
	s_or_b32 exec_lo, exec_lo, s1
.LBB24_80:
	s_delay_alu instid0(SALU_CYCLE_1)
	s_or_b32 exec_lo, exec_lo, s5
	v_mov_b32_e32 v52, 0
	ds_load_b32 v52, v52 offset:72
	s_wait_dscnt 0x0
	v_mul_f32_e32 v52, v120, v52
.LBB24_81:
	s_or_b32 exec_lo, exec_lo, s4
	v_cmp_lt_u32_e64 s1, 17, v0
	ds_store_b32 v119, v51
	s_wait_dscnt 0x0
	s_barrier_signal -1
	s_barrier_wait -1
	s_and_saveexec_b32 s4, s1
	s_cbranch_execz .LBB24_97
; %bb.82:
	s_and_not1_b32 vcc_lo, exec_lo, s25
	s_cbranch_vccnz .LBB24_84
; %bb.83:
	v_cmp_eq_u32_e32 vcc_lo, 1, v0
	ds_load_b32 v117, v119
	v_cndmask_b32_e32 v116, v34, v35, vcc_lo
	v_cmp_eq_u32_e32 vcc_lo, 2, v0
	s_delay_alu instid0(VALU_DEP_2) | instskip(SKIP_1) | instid1(VALU_DEP_2)
	v_cndmask_b32_e32 v116, v116, v36, vcc_lo
	v_cmp_eq_u32_e32 vcc_lo, 3, v0
	v_cndmask_b32_e32 v116, v116, v37, vcc_lo
	v_cmp_eq_u32_e32 vcc_lo, 4, v0
	s_delay_alu instid0(VALU_DEP_2) | instskip(SKIP_1) | instid1(VALU_DEP_2)
	v_cndmask_b32_e32 v116, v116, v38, vcc_lo
	v_cmp_eq_u32_e32 vcc_lo, 5, v0
	;; [unrolled: 5-line block ×11, first 2 shown]
	v_cndmask_b32_e32 v116, v116, v57, vcc_lo
	v_cmp_eq_u32_e32 vcc_lo, 24, v0
	s_delay_alu instid0(VALU_DEP_2) | instskip(SKIP_1) | instid1(VALU_DEP_1)
	v_cndmask_b32_e32 v116, v116, v58, vcc_lo
	s_wait_dscnt 0x0
	v_mul_f32_e32 v120, v116, v117
	s_cbranch_execz .LBB24_85
	s_branch .LBB24_86
.LBB24_84:
                                        ; implicit-def: $vgpr120
.LBB24_85:
	ds_load_b32 v120, v119
.LBB24_86:
	s_and_saveexec_b32 s5, s0
	s_cbranch_execz .LBB24_96
; %bb.87:
	v_subrev_nc_u32_e32 v118, 19, v0
	v_mov_b32_e32 v116, 18
	v_subrev_nc_u32_e32 v117, 18, v0
	s_mov_b32 s0, exec_lo
	s_delay_alu instid0(VALU_DEP_3)
	v_cmpx_lt_u32_e32 6, v118
	s_cbranch_execz .LBB24_91
; %bb.88:
	s_delay_alu instid0(VALU_DEP_2) | instskip(SKIP_3) | instid1(VALU_DEP_1)
	v_and_b32_e32 v116, -8, v117
	s_mov_b32 s6, 0
	s_mov_b64 s[2:3], 25
	s_movk_i32 s7, 0xb8
	v_sub_nc_u32_e32 v118, 0, v116
.LBB24_89:                              ; =>This Inner Loop Header: Depth=1
	s_add_co_i32 m0, s2, -7
	v_movrels_b32_e32 v121, v34
	v_mov_b32_e32 v116, s7
	s_add_co_i32 m0, s2, -6
	s_add_co_i32 s7, s7, 32
	v_movrels_b32_e32 v130, v34
	s_add_co_i32 m0, s2, -5
	ds_load_2addr_b64 v[122:125], v116 offset1:1
	ds_load_2addr_b64 v[126:129], v116 offset0:2 offset1:3
	v_movrels_b32_e32 v116, v34
	s_add_co_i32 m0, s2, -4
	s_wait_dscnt 0x1
	v_fmac_f32_e32 v120, v121, v122
	v_movrels_b32_e32 v121, v34
	s_add_co_i32 m0, s2, -3
	s_delay_alu instid0(VALU_DEP_2) | instskip(NEXT) | instid1(VALU_DEP_1)
	v_fmac_f32_e32 v120, v130, v123
	v_fmac_f32_e32 v120, v116, v124
	v_movrels_b32_e32 v116, v34
	s_add_co_i32 m0, s2, -2
	s_delay_alu instid0(VALU_DEP_2) | instskip(SKIP_3) | instid1(VALU_DEP_2)
	v_fmac_f32_e32 v120, v121, v125
	v_movrels_b32_e32 v121, v34
	s_add_co_i32 m0, s2, -1
	s_wait_dscnt 0x0
	v_fmac_f32_e32 v120, v116, v126
	v_movrels_b32_e32 v116, v34
	s_mov_b32 m0, s2
	s_add_nc_u64 s[2:3], s[2:3], 8
	v_movrels_b32_e32 v122, v34
	v_dual_fmac_f32 v120, v121, v127 :: v_dual_add_nc_u32 v121, s2, v118
	s_add_co_i32 s8, s2, -7
	s_delay_alu instid0(VALU_DEP_1) | instskip(NEXT) | instid1(VALU_DEP_2)
	v_fmac_f32_e32 v120, v116, v128
	v_cmp_eq_u32_e32 vcc_lo, 25, v121
	s_delay_alu instid0(VALU_DEP_2) | instskip(SKIP_1) | instid1(SALU_CYCLE_1)
	v_dual_mov_b32 v116, s8 :: v_dual_fmac_f32 v120, v122, v129
	s_or_b32 s6, vcc_lo, s6
	s_and_not1_b32 exec_lo, exec_lo, s6
	s_cbranch_execnz .LBB24_89
; %bb.90:
	s_or_b32 exec_lo, exec_lo, s6
.LBB24_91:
	s_delay_alu instid0(SALU_CYCLE_1) | instskip(SKIP_3) | instid1(VALU_DEP_1)
	s_or_b32 exec_lo, exec_lo, s0
	v_and_b32_e32 v59, 7, v117
	s_mov_b32 s2, 0
	s_mov_b32 s0, exec_lo
	v_cmpx_ne_u32_e32 0, v59
	s_cbranch_execz .LBB24_95
; %bb.92:
	v_lshl_add_u32 v60, v116, 2, 0x70
	v_mov_b32_e32 v117, 0
.LBB24_93:                              ; =>This Inner Loop Header: Depth=1
	v_cmp_eq_u32_e32 vcc_lo, 1, v116
	ds_load_b32 v62, v60
	v_dual_add_nc_u32 v60, 4, v60 :: v_dual_add_nc_u32 v59, -1, v59
	v_cndmask_b32_e32 v61, v34, v35, vcc_lo
	v_cmp_eq_u32_e32 vcc_lo, 2, v116
	s_delay_alu instid0(VALU_DEP_2) | instskip(SKIP_1) | instid1(VALU_DEP_2)
	v_cndmask_b32_e32 v61, v61, v36, vcc_lo
	v_cmp_eq_u32_e32 vcc_lo, 3, v116
	v_cndmask_b32_e32 v61, v61, v37, vcc_lo
	v_cmp_eq_u32_e32 vcc_lo, 4, v116
	s_delay_alu instid0(VALU_DEP_2) | instskip(SKIP_1) | instid1(VALU_DEP_2)
	v_cndmask_b32_e32 v61, v61, v38, vcc_lo
	v_cmp_eq_u32_e32 vcc_lo, 5, v116
	;; [unrolled: 5-line block ×11, first 2 shown]
	v_cndmask_b32_e32 v61, v61, v57, vcc_lo
	v_cmp_eq_u32_e32 vcc_lo, 24, v116
	v_add_nc_u64_e32 v[116:117], 1, v[116:117]
	s_delay_alu instid0(VALU_DEP_3) | instskip(SKIP_2) | instid1(VALU_DEP_2)
	v_cndmask_b32_e32 v61, v61, v58, vcc_lo
	v_cmp_eq_u32_e32 vcc_lo, 0, v59
	s_wait_dscnt 0x0
	v_fmac_f32_e32 v120, v61, v62
	s_or_b32 s2, vcc_lo, s2
	s_delay_alu instid0(SALU_CYCLE_1)
	s_and_not1_b32 exec_lo, exec_lo, s2
	s_cbranch_execnz .LBB24_93
; %bb.94:
	s_or_b32 exec_lo, exec_lo, s2
.LBB24_95:
	s_delay_alu instid0(SALU_CYCLE_1)
	s_or_b32 exec_lo, exec_lo, s0
.LBB24_96:
	s_delay_alu instid0(SALU_CYCLE_1)
	s_or_b32 exec_lo, exec_lo, s5
	v_mov_b32_e32 v51, 0
	ds_load_b32 v51, v51 offset:68
	s_wait_dscnt 0x0
	v_mul_f32_e32 v51, v120, v51
.LBB24_97:
	s_or_b32 exec_lo, exec_lo, s4
	v_cmp_lt_u32_e64 s0, 16, v0
	ds_store_b32 v119, v50
	s_wait_dscnt 0x0
	s_barrier_signal -1
	s_barrier_wait -1
	s_and_saveexec_b32 s4, s0
	s_cbranch_execz .LBB24_113
; %bb.98:
	s_and_not1_b32 vcc_lo, exec_lo, s25
	s_cbranch_vccnz .LBB24_100
; %bb.99:
	v_cmp_eq_u32_e32 vcc_lo, 1, v0
	ds_load_b32 v117, v119
	v_cndmask_b32_e32 v116, v34, v35, vcc_lo
	v_cmp_eq_u32_e32 vcc_lo, 2, v0
	s_delay_alu instid0(VALU_DEP_2) | instskip(SKIP_1) | instid1(VALU_DEP_2)
	v_cndmask_b32_e32 v116, v116, v36, vcc_lo
	v_cmp_eq_u32_e32 vcc_lo, 3, v0
	v_cndmask_b32_e32 v116, v116, v37, vcc_lo
	v_cmp_eq_u32_e32 vcc_lo, 4, v0
	s_delay_alu instid0(VALU_DEP_2) | instskip(SKIP_1) | instid1(VALU_DEP_2)
	v_cndmask_b32_e32 v116, v116, v38, vcc_lo
	v_cmp_eq_u32_e32 vcc_lo, 5, v0
	;; [unrolled: 5-line block ×11, first 2 shown]
	v_cndmask_b32_e32 v116, v116, v57, vcc_lo
	v_cmp_eq_u32_e32 vcc_lo, 24, v0
	s_delay_alu instid0(VALU_DEP_2) | instskip(SKIP_1) | instid1(VALU_DEP_1)
	v_cndmask_b32_e32 v116, v116, v58, vcc_lo
	s_wait_dscnt 0x0
	v_mul_f32_e32 v120, v116, v117
	s_cbranch_execz .LBB24_101
	s_branch .LBB24_102
.LBB24_100:
                                        ; implicit-def: $vgpr120
.LBB24_101:
	ds_load_b32 v120, v119
.LBB24_102:
	s_and_saveexec_b32 s5, s1
	s_cbranch_execz .LBB24_112
; %bb.103:
	v_subrev_nc_u32_e32 v118, 18, v0
	v_mov_b32_e32 v116, 17
	v_subrev_nc_u32_e32 v117, 17, v0
	s_mov_b32 s1, exec_lo
	s_delay_alu instid0(VALU_DEP_3)
	v_cmpx_lt_u32_e32 6, v118
	s_cbranch_execz .LBB24_107
; %bb.104:
	s_delay_alu instid0(VALU_DEP_2) | instskip(SKIP_3) | instid1(VALU_DEP_1)
	v_and_b32_e32 v116, -8, v117
	s_mov_b32 s6, 0
	s_mov_b64 s[2:3], 24
	s_movk_i32 s7, 0xb4
	v_sub_nc_u32_e32 v118, 0, v116
.LBB24_105:                             ; =>This Inner Loop Header: Depth=1
	s_add_co_i32 m0, s2, -7
	v_movrels_b32_e32 v121, v34
	v_mov_b32_e32 v116, s7
	s_add_co_i32 m0, s2, -6
	s_add_co_i32 s7, s7, 32
	v_movrels_b32_e32 v130, v34
	ds_load_2addr_b32 v[122:123], v116 offset1:1
	ds_load_2addr_b32 v[124:125], v116 offset0:2 offset1:3
	s_add_co_i32 m0, s2, -5
	s_wait_dscnt 0x1
	v_fmac_f32_e32 v120, v121, v122
	ds_load_2addr_b32 v[126:127], v116 offset0:4 offset1:5
	ds_load_2addr_b32 v[128:129], v116 offset0:6 offset1:7
	v_movrels_b32_e32 v116, v34
	s_add_co_i32 m0, s2, -4
	v_fmac_f32_e32 v120, v130, v123
	v_movrels_b32_e32 v121, v34
	s_add_co_i32 m0, s2, -3
	s_wait_dscnt 0x2
	s_delay_alu instid0(VALU_DEP_2) | instskip(SKIP_2) | instid1(VALU_DEP_2)
	v_fmac_f32_e32 v120, v116, v124
	v_movrels_b32_e32 v116, v34
	s_add_co_i32 m0, s2, -2
	v_fmac_f32_e32 v120, v121, v125
	v_movrels_b32_e32 v121, v34
	s_add_co_i32 m0, s2, -1
	s_wait_dscnt 0x1
	s_delay_alu instid0(VALU_DEP_2)
	v_fmac_f32_e32 v120, v116, v126
	v_movrels_b32_e32 v116, v34
	s_mov_b32 m0, s2
	s_add_nc_u64 s[2:3], s[2:3], 8
	v_movrels_b32_e32 v122, v34
	v_dual_fmac_f32 v120, v121, v127 :: v_dual_add_nc_u32 v121, s2, v118
	s_add_co_i32 s8, s2, -7
	s_wait_dscnt 0x0
	s_delay_alu instid0(VALU_DEP_1) | instskip(NEXT) | instid1(VALU_DEP_2)
	v_fmac_f32_e32 v120, v116, v128
	v_cmp_eq_u32_e32 vcc_lo, 24, v121
	s_delay_alu instid0(VALU_DEP_2) | instskip(SKIP_1) | instid1(SALU_CYCLE_1)
	v_dual_mov_b32 v116, s8 :: v_dual_fmac_f32 v120, v122, v129
	s_or_b32 s6, vcc_lo, s6
	s_and_not1_b32 exec_lo, exec_lo, s6
	s_cbranch_execnz .LBB24_105
; %bb.106:
	s_or_b32 exec_lo, exec_lo, s6
.LBB24_107:
	s_delay_alu instid0(SALU_CYCLE_1) | instskip(SKIP_3) | instid1(VALU_DEP_1)
	s_or_b32 exec_lo, exec_lo, s1
	v_and_b32_e32 v59, 7, v117
	s_mov_b32 s2, 0
	s_mov_b32 s1, exec_lo
	v_cmpx_ne_u32_e32 0, v59
	s_cbranch_execz .LBB24_111
; %bb.108:
	v_lshl_add_u32 v60, v116, 2, 0x70
	v_mov_b32_e32 v117, 0
.LBB24_109:                             ; =>This Inner Loop Header: Depth=1
	v_cmp_eq_u32_e32 vcc_lo, 1, v116
	ds_load_b32 v62, v60
	v_dual_add_nc_u32 v60, 4, v60 :: v_dual_add_nc_u32 v59, -1, v59
	v_cndmask_b32_e32 v61, v34, v35, vcc_lo
	v_cmp_eq_u32_e32 vcc_lo, 2, v116
	s_delay_alu instid0(VALU_DEP_2) | instskip(SKIP_1) | instid1(VALU_DEP_2)
	v_cndmask_b32_e32 v61, v61, v36, vcc_lo
	v_cmp_eq_u32_e32 vcc_lo, 3, v116
	v_cndmask_b32_e32 v61, v61, v37, vcc_lo
	v_cmp_eq_u32_e32 vcc_lo, 4, v116
	s_delay_alu instid0(VALU_DEP_2) | instskip(SKIP_1) | instid1(VALU_DEP_2)
	v_cndmask_b32_e32 v61, v61, v38, vcc_lo
	v_cmp_eq_u32_e32 vcc_lo, 5, v116
	;; [unrolled: 5-line block ×11, first 2 shown]
	v_cndmask_b32_e32 v61, v61, v57, vcc_lo
	v_cmp_eq_u32_e32 vcc_lo, 24, v116
	v_add_nc_u64_e32 v[116:117], 1, v[116:117]
	s_delay_alu instid0(VALU_DEP_3) | instskip(SKIP_2) | instid1(VALU_DEP_2)
	v_cndmask_b32_e32 v61, v61, v58, vcc_lo
	v_cmp_eq_u32_e32 vcc_lo, 0, v59
	s_wait_dscnt 0x0
	v_fmac_f32_e32 v120, v61, v62
	s_or_b32 s2, vcc_lo, s2
	s_delay_alu instid0(SALU_CYCLE_1)
	s_and_not1_b32 exec_lo, exec_lo, s2
	s_cbranch_execnz .LBB24_109
; %bb.110:
	s_or_b32 exec_lo, exec_lo, s2
.LBB24_111:
	s_delay_alu instid0(SALU_CYCLE_1)
	s_or_b32 exec_lo, exec_lo, s1
.LBB24_112:
	s_delay_alu instid0(SALU_CYCLE_1)
	s_or_b32 exec_lo, exec_lo, s5
	v_mov_b32_e32 v50, 0
	ds_load_b32 v50, v50 offset:64
	s_wait_dscnt 0x0
	v_mul_f32_e32 v50, v120, v50
.LBB24_113:
	s_or_b32 exec_lo, exec_lo, s4
	v_cmp_lt_u32_e64 s1, 15, v0
	ds_store_b32 v119, v49
	s_wait_dscnt 0x0
	s_barrier_signal -1
	s_barrier_wait -1
	s_and_saveexec_b32 s4, s1
	s_cbranch_execz .LBB24_129
; %bb.114:
	s_and_not1_b32 vcc_lo, exec_lo, s25
	s_cbranch_vccnz .LBB24_116
; %bb.115:
	v_cmp_eq_u32_e32 vcc_lo, 1, v0
	ds_load_b32 v117, v119
	v_cndmask_b32_e32 v116, v34, v35, vcc_lo
	v_cmp_eq_u32_e32 vcc_lo, 2, v0
	s_delay_alu instid0(VALU_DEP_2) | instskip(SKIP_1) | instid1(VALU_DEP_2)
	v_cndmask_b32_e32 v116, v116, v36, vcc_lo
	v_cmp_eq_u32_e32 vcc_lo, 3, v0
	v_cndmask_b32_e32 v116, v116, v37, vcc_lo
	v_cmp_eq_u32_e32 vcc_lo, 4, v0
	s_delay_alu instid0(VALU_DEP_2) | instskip(SKIP_1) | instid1(VALU_DEP_2)
	v_cndmask_b32_e32 v116, v116, v38, vcc_lo
	v_cmp_eq_u32_e32 vcc_lo, 5, v0
	;; [unrolled: 5-line block ×11, first 2 shown]
	v_cndmask_b32_e32 v116, v116, v57, vcc_lo
	v_cmp_eq_u32_e32 vcc_lo, 24, v0
	s_delay_alu instid0(VALU_DEP_2) | instskip(SKIP_1) | instid1(VALU_DEP_1)
	v_cndmask_b32_e32 v116, v116, v58, vcc_lo
	s_wait_dscnt 0x0
	v_mul_f32_e32 v120, v116, v117
	s_cbranch_execz .LBB24_117
	s_branch .LBB24_118
.LBB24_116:
                                        ; implicit-def: $vgpr120
.LBB24_117:
	ds_load_b32 v120, v119
.LBB24_118:
	s_and_saveexec_b32 s5, s0
	s_cbranch_execz .LBB24_128
; %bb.119:
	v_subrev_nc_u32_e32 v116, 17, v0
	s_delay_alu instid0(VALU_DEP_1)
	v_cmp_lt_u32_e32 vcc_lo, 6, v116
	v_mov_b32_e32 v116, 16
	s_and_saveexec_b32 s0, vcc_lo
	s_cbranch_execz .LBB24_123
; %bb.120:
	v_and_b32_e32 v116, 24, v0
	s_mov_b32 s6, 0
	s_mov_b64 s[2:3], 23
	s_movk_i32 s7, 0xb0
	s_delay_alu instid0(VALU_DEP_1)
	v_sub_nc_u32_e32 v118, 0, v116
.LBB24_121:                             ; =>This Inner Loop Header: Depth=1
	s_add_co_i32 m0, s2, -7
	v_movrels_b32_e32 v117, v34
	v_mov_b32_e32 v116, s7
	s_add_co_i32 m0, s2, -6
	s_add_co_i32 s7, s7, 32
	v_movrels_b32_e32 v121, v34
	s_add_co_i32 m0, s2, -5
	ds_load_b128 v[122:125], v116
	ds_load_b128 v[126:129], v116 offset:16
	v_movrels_b32_e32 v116, v34
	s_add_co_i32 m0, s2, -4
	s_wait_dscnt 0x1
	v_fmac_f32_e32 v120, v117, v122
	v_movrels_b32_e32 v117, v34
	s_add_co_i32 m0, s2, -3
	s_delay_alu instid0(VALU_DEP_2) | instskip(NEXT) | instid1(VALU_DEP_1)
	v_fmac_f32_e32 v120, v121, v123
	v_fmac_f32_e32 v120, v116, v124
	v_movrels_b32_e32 v116, v34
	s_add_co_i32 m0, s2, -2
	s_delay_alu instid0(VALU_DEP_2) | instskip(SKIP_3) | instid1(VALU_DEP_2)
	v_fmac_f32_e32 v120, v117, v125
	v_movrels_b32_e32 v117, v34
	s_add_co_i32 m0, s2, -1
	s_wait_dscnt 0x0
	v_fmac_f32_e32 v120, v116, v126
	v_movrels_b32_e32 v116, v34
	s_mov_b32 m0, s2
	s_add_nc_u64 s[2:3], s[2:3], 8
	v_movrels_b32_e32 v121, v34
	v_dual_fmac_f32 v120, v117, v127 :: v_dual_add_nc_u32 v117, s2, v118
	s_add_co_i32 s8, s2, -7
	s_delay_alu instid0(VALU_DEP_1) | instskip(NEXT) | instid1(VALU_DEP_2)
	v_fmac_f32_e32 v120, v116, v128
	v_cmp_eq_u32_e32 vcc_lo, 7, v117
	s_delay_alu instid0(VALU_DEP_2) | instskip(SKIP_1) | instid1(SALU_CYCLE_1)
	v_dual_mov_b32 v116, s8 :: v_dual_fmac_f32 v120, v121, v129
	s_or_b32 s6, vcc_lo, s6
	s_and_not1_b32 exec_lo, exec_lo, s6
	s_cbranch_execnz .LBB24_121
; %bb.122:
	s_or_b32 exec_lo, exec_lo, s6
.LBB24_123:
	s_delay_alu instid0(SALU_CYCLE_1) | instskip(SKIP_3) | instid1(VALU_DEP_1)
	s_or_b32 exec_lo, exec_lo, s0
	v_and_b32_e32 v59, 7, v0
	s_mov_b32 s2, 0
	s_mov_b32 s0, exec_lo
	v_cmpx_ne_u32_e32 0, v59
	s_cbranch_execz .LBB24_127
; %bb.124:
	v_lshl_add_u32 v60, v116, 2, 0x70
	v_mov_b32_e32 v117, 0
.LBB24_125:                             ; =>This Inner Loop Header: Depth=1
	v_cmp_eq_u32_e32 vcc_lo, 1, v116
	ds_load_b32 v62, v60
	v_dual_add_nc_u32 v60, 4, v60 :: v_dual_add_nc_u32 v59, -1, v59
	v_cndmask_b32_e32 v61, v34, v35, vcc_lo
	v_cmp_eq_u32_e32 vcc_lo, 2, v116
	s_delay_alu instid0(VALU_DEP_2) | instskip(SKIP_1) | instid1(VALU_DEP_2)
	v_cndmask_b32_e32 v61, v61, v36, vcc_lo
	v_cmp_eq_u32_e32 vcc_lo, 3, v116
	v_cndmask_b32_e32 v61, v61, v37, vcc_lo
	v_cmp_eq_u32_e32 vcc_lo, 4, v116
	s_delay_alu instid0(VALU_DEP_2) | instskip(SKIP_1) | instid1(VALU_DEP_2)
	v_cndmask_b32_e32 v61, v61, v38, vcc_lo
	v_cmp_eq_u32_e32 vcc_lo, 5, v116
	;; [unrolled: 5-line block ×11, first 2 shown]
	v_cndmask_b32_e32 v61, v61, v57, vcc_lo
	v_cmp_eq_u32_e32 vcc_lo, 24, v116
	v_add_nc_u64_e32 v[116:117], 1, v[116:117]
	s_delay_alu instid0(VALU_DEP_3) | instskip(SKIP_2) | instid1(VALU_DEP_2)
	v_cndmask_b32_e32 v61, v61, v58, vcc_lo
	v_cmp_eq_u32_e32 vcc_lo, 0, v59
	s_wait_dscnt 0x0
	v_fmac_f32_e32 v120, v61, v62
	s_or_b32 s2, vcc_lo, s2
	s_delay_alu instid0(SALU_CYCLE_1)
	s_and_not1_b32 exec_lo, exec_lo, s2
	s_cbranch_execnz .LBB24_125
; %bb.126:
	s_or_b32 exec_lo, exec_lo, s2
.LBB24_127:
	s_delay_alu instid0(SALU_CYCLE_1)
	s_or_b32 exec_lo, exec_lo, s0
.LBB24_128:
	s_delay_alu instid0(SALU_CYCLE_1)
	s_or_b32 exec_lo, exec_lo, s5
	v_mov_b32_e32 v49, 0
	ds_load_b32 v49, v49 offset:60
	s_wait_dscnt 0x0
	v_mul_f32_e32 v49, v120, v49
.LBB24_129:
	s_or_b32 exec_lo, exec_lo, s4
	v_cmp_lt_u32_e64 s0, 14, v0
	ds_store_b32 v119, v48
	s_wait_dscnt 0x0
	s_barrier_signal -1
	s_barrier_wait -1
	s_and_saveexec_b32 s4, s0
	s_cbranch_execz .LBB24_145
; %bb.130:
	s_and_not1_b32 vcc_lo, exec_lo, s25
	s_cbranch_vccnz .LBB24_132
; %bb.131:
	v_cmp_eq_u32_e32 vcc_lo, 1, v0
	ds_load_b32 v117, v119
	v_cndmask_b32_e32 v116, v34, v35, vcc_lo
	v_cmp_eq_u32_e32 vcc_lo, 2, v0
	s_delay_alu instid0(VALU_DEP_2) | instskip(SKIP_1) | instid1(VALU_DEP_2)
	v_cndmask_b32_e32 v116, v116, v36, vcc_lo
	v_cmp_eq_u32_e32 vcc_lo, 3, v0
	v_cndmask_b32_e32 v116, v116, v37, vcc_lo
	v_cmp_eq_u32_e32 vcc_lo, 4, v0
	s_delay_alu instid0(VALU_DEP_2) | instskip(SKIP_1) | instid1(VALU_DEP_2)
	v_cndmask_b32_e32 v116, v116, v38, vcc_lo
	v_cmp_eq_u32_e32 vcc_lo, 5, v0
	;; [unrolled: 5-line block ×11, first 2 shown]
	v_cndmask_b32_e32 v116, v116, v57, vcc_lo
	v_cmp_eq_u32_e32 vcc_lo, 24, v0
	s_delay_alu instid0(VALU_DEP_2) | instskip(SKIP_1) | instid1(VALU_DEP_1)
	v_cndmask_b32_e32 v116, v116, v58, vcc_lo
	s_wait_dscnt 0x0
	v_mul_f32_e32 v120, v116, v117
	s_cbranch_execz .LBB24_133
	s_branch .LBB24_134
.LBB24_132:
                                        ; implicit-def: $vgpr120
.LBB24_133:
	ds_load_b32 v120, v119
.LBB24_134:
	s_and_saveexec_b32 s5, s1
	s_cbranch_execz .LBB24_144
; %bb.135:
	v_dual_add_nc_u32 v116, -16, v0 :: v_dual_add_nc_u32 v117, -15, v0
	s_delay_alu instid0(VALU_DEP_1)
	v_cmp_lt_u32_e32 vcc_lo, 6, v116
	v_mov_b32_e32 v116, 15
	s_and_saveexec_b32 s1, vcc_lo
	s_cbranch_execz .LBB24_139
; %bb.136:
	v_and_b32_e32 v116, -8, v117
	s_mov_b32 s6, 0
	s_mov_b64 s[2:3], 22
	s_movk_i32 s7, 0xac
	s_delay_alu instid0(VALU_DEP_1)
	v_sub_nc_u32_e32 v118, 0, v116
.LBB24_137:                             ; =>This Inner Loop Header: Depth=1
	s_add_co_i32 m0, s2, -7
	v_movrels_b32_e32 v121, v34
	v_mov_b32_e32 v116, s7
	s_add_co_i32 m0, s2, -6
	s_add_co_i32 s7, s7, 32
	v_movrels_b32_e32 v130, v34
	ds_load_2addr_b32 v[122:123], v116 offset1:1
	ds_load_2addr_b32 v[124:125], v116 offset0:2 offset1:3
	s_add_co_i32 m0, s2, -5
	s_wait_dscnt 0x1
	v_fmac_f32_e32 v120, v121, v122
	ds_load_2addr_b32 v[126:127], v116 offset0:4 offset1:5
	ds_load_2addr_b32 v[128:129], v116 offset0:6 offset1:7
	v_movrels_b32_e32 v116, v34
	s_add_co_i32 m0, s2, -4
	v_fmac_f32_e32 v120, v130, v123
	v_movrels_b32_e32 v121, v34
	s_add_co_i32 m0, s2, -3
	s_wait_dscnt 0x2
	s_delay_alu instid0(VALU_DEP_2) | instskip(SKIP_2) | instid1(VALU_DEP_2)
	v_fmac_f32_e32 v120, v116, v124
	v_movrels_b32_e32 v116, v34
	s_add_co_i32 m0, s2, -2
	v_fmac_f32_e32 v120, v121, v125
	v_movrels_b32_e32 v121, v34
	s_add_co_i32 m0, s2, -1
	s_wait_dscnt 0x1
	s_delay_alu instid0(VALU_DEP_2)
	v_fmac_f32_e32 v120, v116, v126
	v_movrels_b32_e32 v116, v34
	s_mov_b32 m0, s2
	s_add_nc_u64 s[2:3], s[2:3], 8
	v_movrels_b32_e32 v122, v34
	v_dual_fmac_f32 v120, v121, v127 :: v_dual_add_nc_u32 v121, s2, v118
	s_add_co_i32 s8, s2, -7
	s_wait_dscnt 0x0
	s_delay_alu instid0(VALU_DEP_1) | instskip(NEXT) | instid1(VALU_DEP_2)
	v_fmac_f32_e32 v120, v116, v128
	v_cmp_eq_u32_e32 vcc_lo, 22, v121
	s_delay_alu instid0(VALU_DEP_2) | instskip(SKIP_1) | instid1(SALU_CYCLE_1)
	v_dual_mov_b32 v116, s8 :: v_dual_fmac_f32 v120, v122, v129
	s_or_b32 s6, vcc_lo, s6
	s_and_not1_b32 exec_lo, exec_lo, s6
	s_cbranch_execnz .LBB24_137
; %bb.138:
	s_or_b32 exec_lo, exec_lo, s6
.LBB24_139:
	s_delay_alu instid0(SALU_CYCLE_1) | instskip(SKIP_3) | instid1(VALU_DEP_1)
	s_or_b32 exec_lo, exec_lo, s1
	v_and_b32_e32 v59, 7, v117
	s_mov_b32 s2, 0
	s_mov_b32 s1, exec_lo
	v_cmpx_ne_u32_e32 0, v59
	s_cbranch_execz .LBB24_143
; %bb.140:
	v_lshl_add_u32 v60, v116, 2, 0x70
	v_mov_b32_e32 v117, 0
.LBB24_141:                             ; =>This Inner Loop Header: Depth=1
	v_cmp_eq_u32_e32 vcc_lo, 1, v116
	ds_load_b32 v62, v60
	v_dual_add_nc_u32 v60, 4, v60 :: v_dual_add_nc_u32 v59, -1, v59
	v_cndmask_b32_e32 v61, v34, v35, vcc_lo
	v_cmp_eq_u32_e32 vcc_lo, 2, v116
	s_delay_alu instid0(VALU_DEP_2) | instskip(SKIP_1) | instid1(VALU_DEP_2)
	v_cndmask_b32_e32 v61, v61, v36, vcc_lo
	v_cmp_eq_u32_e32 vcc_lo, 3, v116
	v_cndmask_b32_e32 v61, v61, v37, vcc_lo
	v_cmp_eq_u32_e32 vcc_lo, 4, v116
	s_delay_alu instid0(VALU_DEP_2) | instskip(SKIP_1) | instid1(VALU_DEP_2)
	v_cndmask_b32_e32 v61, v61, v38, vcc_lo
	v_cmp_eq_u32_e32 vcc_lo, 5, v116
	;; [unrolled: 5-line block ×11, first 2 shown]
	v_cndmask_b32_e32 v61, v61, v57, vcc_lo
	v_cmp_eq_u32_e32 vcc_lo, 24, v116
	v_add_nc_u64_e32 v[116:117], 1, v[116:117]
	s_delay_alu instid0(VALU_DEP_3) | instskip(SKIP_2) | instid1(VALU_DEP_2)
	v_cndmask_b32_e32 v61, v61, v58, vcc_lo
	v_cmp_eq_u32_e32 vcc_lo, 0, v59
	s_wait_dscnt 0x0
	v_fmac_f32_e32 v120, v61, v62
	s_or_b32 s2, vcc_lo, s2
	s_delay_alu instid0(SALU_CYCLE_1)
	s_and_not1_b32 exec_lo, exec_lo, s2
	s_cbranch_execnz .LBB24_141
; %bb.142:
	s_or_b32 exec_lo, exec_lo, s2
.LBB24_143:
	s_delay_alu instid0(SALU_CYCLE_1)
	s_or_b32 exec_lo, exec_lo, s1
.LBB24_144:
	s_delay_alu instid0(SALU_CYCLE_1)
	s_or_b32 exec_lo, exec_lo, s5
	v_mov_b32_e32 v48, 0
	ds_load_b32 v48, v48 offset:56
	s_wait_dscnt 0x0
	v_mul_f32_e32 v48, v120, v48
.LBB24_145:
	s_or_b32 exec_lo, exec_lo, s4
	v_cmp_lt_u32_e64 s1, 13, v0
	ds_store_b32 v119, v47
	s_wait_dscnt 0x0
	s_barrier_signal -1
	s_barrier_wait -1
	s_and_saveexec_b32 s4, s1
	s_cbranch_execz .LBB24_161
; %bb.146:
	s_and_not1_b32 vcc_lo, exec_lo, s25
	s_cbranch_vccnz .LBB24_148
; %bb.147:
	v_cmp_eq_u32_e32 vcc_lo, 1, v0
	ds_load_b32 v117, v119
	v_cndmask_b32_e32 v116, v34, v35, vcc_lo
	v_cmp_eq_u32_e32 vcc_lo, 2, v0
	s_delay_alu instid0(VALU_DEP_2) | instskip(SKIP_1) | instid1(VALU_DEP_2)
	v_cndmask_b32_e32 v116, v116, v36, vcc_lo
	v_cmp_eq_u32_e32 vcc_lo, 3, v0
	v_cndmask_b32_e32 v116, v116, v37, vcc_lo
	v_cmp_eq_u32_e32 vcc_lo, 4, v0
	s_delay_alu instid0(VALU_DEP_2) | instskip(SKIP_1) | instid1(VALU_DEP_2)
	v_cndmask_b32_e32 v116, v116, v38, vcc_lo
	v_cmp_eq_u32_e32 vcc_lo, 5, v0
	;; [unrolled: 5-line block ×11, first 2 shown]
	v_cndmask_b32_e32 v116, v116, v57, vcc_lo
	v_cmp_eq_u32_e32 vcc_lo, 24, v0
	s_delay_alu instid0(VALU_DEP_2) | instskip(SKIP_1) | instid1(VALU_DEP_1)
	v_cndmask_b32_e32 v116, v116, v58, vcc_lo
	s_wait_dscnt 0x0
	v_mul_f32_e32 v120, v116, v117
	s_cbranch_execz .LBB24_149
	s_branch .LBB24_150
.LBB24_148:
                                        ; implicit-def: $vgpr120
.LBB24_149:
	ds_load_b32 v120, v119
.LBB24_150:
	s_and_saveexec_b32 s5, s0
	s_cbranch_execz .LBB24_160
; %bb.151:
	v_dual_add_nc_u32 v116, -15, v0 :: v_dual_add_nc_u32 v117, -14, v0
	s_delay_alu instid0(VALU_DEP_1)
	v_cmp_lt_u32_e32 vcc_lo, 6, v116
	v_mov_b32_e32 v116, 14
	s_and_saveexec_b32 s0, vcc_lo
	s_cbranch_execz .LBB24_155
; %bb.152:
	v_and_b32_e32 v116, -8, v117
	s_mov_b32 s6, 0
	s_mov_b64 s[2:3], 21
	s_movk_i32 s7, 0xa8
	s_delay_alu instid0(VALU_DEP_1)
	v_sub_nc_u32_e32 v118, 0, v116
.LBB24_153:                             ; =>This Inner Loop Header: Depth=1
	s_add_co_i32 m0, s2, -7
	v_movrels_b32_e32 v121, v34
	v_mov_b32_e32 v116, s7
	s_add_co_i32 m0, s2, -6
	s_add_co_i32 s7, s7, 32
	v_movrels_b32_e32 v130, v34
	s_add_co_i32 m0, s2, -5
	ds_load_2addr_b64 v[122:125], v116 offset1:1
	ds_load_2addr_b64 v[126:129], v116 offset0:2 offset1:3
	v_movrels_b32_e32 v116, v34
	s_add_co_i32 m0, s2, -4
	s_wait_dscnt 0x1
	v_fmac_f32_e32 v120, v121, v122
	v_movrels_b32_e32 v121, v34
	s_add_co_i32 m0, s2, -3
	s_delay_alu instid0(VALU_DEP_2) | instskip(NEXT) | instid1(VALU_DEP_1)
	v_fmac_f32_e32 v120, v130, v123
	v_fmac_f32_e32 v120, v116, v124
	v_movrels_b32_e32 v116, v34
	s_add_co_i32 m0, s2, -2
	s_delay_alu instid0(VALU_DEP_2) | instskip(SKIP_3) | instid1(VALU_DEP_2)
	v_fmac_f32_e32 v120, v121, v125
	v_movrels_b32_e32 v121, v34
	s_add_co_i32 m0, s2, -1
	s_wait_dscnt 0x0
	v_fmac_f32_e32 v120, v116, v126
	v_movrels_b32_e32 v116, v34
	s_mov_b32 m0, s2
	s_add_nc_u64 s[2:3], s[2:3], 8
	v_movrels_b32_e32 v122, v34
	v_dual_fmac_f32 v120, v121, v127 :: v_dual_add_nc_u32 v121, s2, v118
	s_add_co_i32 s8, s2, -7
	s_delay_alu instid0(VALU_DEP_1) | instskip(NEXT) | instid1(VALU_DEP_2)
	v_fmac_f32_e32 v120, v116, v128
	v_cmp_eq_u32_e32 vcc_lo, 21, v121
	s_delay_alu instid0(VALU_DEP_2) | instskip(SKIP_1) | instid1(SALU_CYCLE_1)
	v_dual_mov_b32 v116, s8 :: v_dual_fmac_f32 v120, v122, v129
	s_or_b32 s6, vcc_lo, s6
	s_and_not1_b32 exec_lo, exec_lo, s6
	s_cbranch_execnz .LBB24_153
; %bb.154:
	s_or_b32 exec_lo, exec_lo, s6
.LBB24_155:
	s_delay_alu instid0(SALU_CYCLE_1) | instskip(SKIP_3) | instid1(VALU_DEP_1)
	s_or_b32 exec_lo, exec_lo, s0
	v_and_b32_e32 v59, 7, v117
	s_mov_b32 s2, 0
	s_mov_b32 s0, exec_lo
	v_cmpx_ne_u32_e32 0, v59
	s_cbranch_execz .LBB24_159
; %bb.156:
	v_lshl_add_u32 v60, v116, 2, 0x70
	v_mov_b32_e32 v117, 0
.LBB24_157:                             ; =>This Inner Loop Header: Depth=1
	v_cmp_eq_u32_e32 vcc_lo, 1, v116
	ds_load_b32 v62, v60
	v_dual_add_nc_u32 v60, 4, v60 :: v_dual_add_nc_u32 v59, -1, v59
	v_cndmask_b32_e32 v61, v34, v35, vcc_lo
	v_cmp_eq_u32_e32 vcc_lo, 2, v116
	s_delay_alu instid0(VALU_DEP_2) | instskip(SKIP_1) | instid1(VALU_DEP_2)
	v_cndmask_b32_e32 v61, v61, v36, vcc_lo
	v_cmp_eq_u32_e32 vcc_lo, 3, v116
	v_cndmask_b32_e32 v61, v61, v37, vcc_lo
	v_cmp_eq_u32_e32 vcc_lo, 4, v116
	s_delay_alu instid0(VALU_DEP_2) | instskip(SKIP_1) | instid1(VALU_DEP_2)
	v_cndmask_b32_e32 v61, v61, v38, vcc_lo
	v_cmp_eq_u32_e32 vcc_lo, 5, v116
	;; [unrolled: 5-line block ×11, first 2 shown]
	v_cndmask_b32_e32 v61, v61, v57, vcc_lo
	v_cmp_eq_u32_e32 vcc_lo, 24, v116
	v_add_nc_u64_e32 v[116:117], 1, v[116:117]
	s_delay_alu instid0(VALU_DEP_3) | instskip(SKIP_2) | instid1(VALU_DEP_2)
	v_cndmask_b32_e32 v61, v61, v58, vcc_lo
	v_cmp_eq_u32_e32 vcc_lo, 0, v59
	s_wait_dscnt 0x0
	v_fmac_f32_e32 v120, v61, v62
	s_or_b32 s2, vcc_lo, s2
	s_delay_alu instid0(SALU_CYCLE_1)
	s_and_not1_b32 exec_lo, exec_lo, s2
	s_cbranch_execnz .LBB24_157
; %bb.158:
	s_or_b32 exec_lo, exec_lo, s2
.LBB24_159:
	s_delay_alu instid0(SALU_CYCLE_1)
	s_or_b32 exec_lo, exec_lo, s0
.LBB24_160:
	s_delay_alu instid0(SALU_CYCLE_1)
	s_or_b32 exec_lo, exec_lo, s5
	v_mov_b32_e32 v47, 0
	ds_load_b32 v47, v47 offset:52
	s_wait_dscnt 0x0
	v_mul_f32_e32 v47, v120, v47
.LBB24_161:
	s_or_b32 exec_lo, exec_lo, s4
	v_cmp_lt_u32_e64 s0, 12, v0
	ds_store_b32 v119, v46
	s_wait_dscnt 0x0
	s_barrier_signal -1
	s_barrier_wait -1
	s_and_saveexec_b32 s4, s0
	s_cbranch_execz .LBB24_177
; %bb.162:
	s_and_not1_b32 vcc_lo, exec_lo, s25
	s_cbranch_vccnz .LBB24_164
; %bb.163:
	v_cmp_eq_u32_e32 vcc_lo, 1, v0
	ds_load_b32 v117, v119
	v_cndmask_b32_e32 v116, v34, v35, vcc_lo
	v_cmp_eq_u32_e32 vcc_lo, 2, v0
	s_delay_alu instid0(VALU_DEP_2) | instskip(SKIP_1) | instid1(VALU_DEP_2)
	v_cndmask_b32_e32 v116, v116, v36, vcc_lo
	v_cmp_eq_u32_e32 vcc_lo, 3, v0
	v_cndmask_b32_e32 v116, v116, v37, vcc_lo
	v_cmp_eq_u32_e32 vcc_lo, 4, v0
	s_delay_alu instid0(VALU_DEP_2) | instskip(SKIP_1) | instid1(VALU_DEP_2)
	v_cndmask_b32_e32 v116, v116, v38, vcc_lo
	v_cmp_eq_u32_e32 vcc_lo, 5, v0
	v_cndmask_b32_e32 v116, v116, v39, vcc_lo
	v_cmp_eq_u32_e32 vcc_lo, 6, v0
	s_delay_alu instid0(VALU_DEP_2) | instskip(SKIP_1) | instid1(VALU_DEP_2)
	v_cndmask_b32_e32 v116, v116, v40, vcc_lo
	v_cmp_eq_u32_e32 vcc_lo, 7, v0
	v_cndmask_b32_e32 v116, v116, v41, vcc_lo
	v_cmp_eq_u32_e32 vcc_lo, 8, v0
	s_delay_alu instid0(VALU_DEP_2) | instskip(SKIP_1) | instid1(VALU_DEP_2)
	v_cndmask_b32_e32 v116, v116, v42, vcc_lo
	v_cmp_eq_u32_e32 vcc_lo, 9, v0
	v_cndmask_b32_e32 v116, v116, v43, vcc_lo
	v_cmp_eq_u32_e32 vcc_lo, 10, v0
	s_delay_alu instid0(VALU_DEP_2) | instskip(SKIP_1) | instid1(VALU_DEP_2)
	v_cndmask_b32_e32 v116, v116, v44, vcc_lo
	v_cmp_eq_u32_e32 vcc_lo, 11, v0
	v_cndmask_b32_e32 v116, v116, v45, vcc_lo
	v_cmp_eq_u32_e32 vcc_lo, 12, v0
	s_delay_alu instid0(VALU_DEP_2) | instskip(SKIP_1) | instid1(VALU_DEP_2)
	v_cndmask_b32_e32 v116, v116, v46, vcc_lo
	v_cmp_eq_u32_e32 vcc_lo, 13, v0
	v_cndmask_b32_e32 v116, v116, v47, vcc_lo
	v_cmp_eq_u32_e32 vcc_lo, 14, v0
	s_delay_alu instid0(VALU_DEP_2) | instskip(SKIP_1) | instid1(VALU_DEP_2)
	v_cndmask_b32_e32 v116, v116, v48, vcc_lo
	v_cmp_eq_u32_e32 vcc_lo, 15, v0
	v_cndmask_b32_e32 v116, v116, v49, vcc_lo
	v_cmp_eq_u32_e32 vcc_lo, 16, v0
	s_delay_alu instid0(VALU_DEP_2) | instskip(SKIP_1) | instid1(VALU_DEP_2)
	v_cndmask_b32_e32 v116, v116, v50, vcc_lo
	v_cmp_eq_u32_e32 vcc_lo, 17, v0
	v_cndmask_b32_e32 v116, v116, v51, vcc_lo
	v_cmp_eq_u32_e32 vcc_lo, 18, v0
	s_delay_alu instid0(VALU_DEP_2) | instskip(SKIP_1) | instid1(VALU_DEP_2)
	v_cndmask_b32_e32 v116, v116, v52, vcc_lo
	v_cmp_eq_u32_e32 vcc_lo, 19, v0
	v_cndmask_b32_e32 v116, v116, v53, vcc_lo
	v_cmp_eq_u32_e32 vcc_lo, 20, v0
	s_delay_alu instid0(VALU_DEP_2) | instskip(SKIP_1) | instid1(VALU_DEP_2)
	v_cndmask_b32_e32 v116, v116, v54, vcc_lo
	v_cmp_eq_u32_e32 vcc_lo, 21, v0
	v_cndmask_b32_e32 v116, v116, v55, vcc_lo
	v_cmp_eq_u32_e32 vcc_lo, 22, v0
	s_delay_alu instid0(VALU_DEP_2) | instskip(SKIP_1) | instid1(VALU_DEP_2)
	v_cndmask_b32_e32 v116, v116, v56, vcc_lo
	v_cmp_eq_u32_e32 vcc_lo, 23, v0
	v_cndmask_b32_e32 v116, v116, v57, vcc_lo
	v_cmp_eq_u32_e32 vcc_lo, 24, v0
	s_delay_alu instid0(VALU_DEP_2) | instskip(SKIP_1) | instid1(VALU_DEP_1)
	v_cndmask_b32_e32 v116, v116, v58, vcc_lo
	s_wait_dscnt 0x0
	v_mul_f32_e32 v120, v116, v117
	s_cbranch_execz .LBB24_165
	s_branch .LBB24_166
.LBB24_164:
                                        ; implicit-def: $vgpr120
.LBB24_165:
	ds_load_b32 v120, v119
.LBB24_166:
	s_and_saveexec_b32 s5, s1
	s_cbranch_execz .LBB24_176
; %bb.167:
	v_dual_add_nc_u32 v116, -14, v0 :: v_dual_add_nc_u32 v117, -13, v0
	s_delay_alu instid0(VALU_DEP_1)
	v_cmp_lt_u32_e32 vcc_lo, 6, v116
	v_mov_b32_e32 v116, 13
	s_and_saveexec_b32 s1, vcc_lo
	s_cbranch_execz .LBB24_171
; %bb.168:
	v_and_b32_e32 v116, -8, v117
	s_mov_b32 s6, 0
	s_mov_b64 s[2:3], 20
	s_movk_i32 s7, 0xa4
	s_delay_alu instid0(VALU_DEP_1)
	v_sub_nc_u32_e32 v118, 0, v116
.LBB24_169:                             ; =>This Inner Loop Header: Depth=1
	s_add_co_i32 m0, s2, -7
	v_movrels_b32_e32 v121, v34
	v_mov_b32_e32 v116, s7
	s_add_co_i32 m0, s2, -6
	s_add_co_i32 s7, s7, 32
	v_movrels_b32_e32 v130, v34
	ds_load_2addr_b32 v[122:123], v116 offset1:1
	ds_load_2addr_b32 v[124:125], v116 offset0:2 offset1:3
	s_add_co_i32 m0, s2, -5
	s_wait_dscnt 0x1
	v_fmac_f32_e32 v120, v121, v122
	ds_load_2addr_b32 v[126:127], v116 offset0:4 offset1:5
	ds_load_2addr_b32 v[128:129], v116 offset0:6 offset1:7
	v_movrels_b32_e32 v116, v34
	s_add_co_i32 m0, s2, -4
	v_fmac_f32_e32 v120, v130, v123
	v_movrels_b32_e32 v121, v34
	s_add_co_i32 m0, s2, -3
	s_wait_dscnt 0x2
	s_delay_alu instid0(VALU_DEP_2) | instskip(SKIP_2) | instid1(VALU_DEP_2)
	v_fmac_f32_e32 v120, v116, v124
	v_movrels_b32_e32 v116, v34
	s_add_co_i32 m0, s2, -2
	v_fmac_f32_e32 v120, v121, v125
	v_movrels_b32_e32 v121, v34
	s_add_co_i32 m0, s2, -1
	s_wait_dscnt 0x1
	s_delay_alu instid0(VALU_DEP_2)
	v_fmac_f32_e32 v120, v116, v126
	v_movrels_b32_e32 v116, v34
	s_mov_b32 m0, s2
	s_add_nc_u64 s[2:3], s[2:3], 8
	v_movrels_b32_e32 v122, v34
	v_dual_fmac_f32 v120, v121, v127 :: v_dual_add_nc_u32 v121, s2, v118
	s_add_co_i32 s8, s2, -7
	s_wait_dscnt 0x0
	s_delay_alu instid0(VALU_DEP_1) | instskip(NEXT) | instid1(VALU_DEP_2)
	v_fmac_f32_e32 v120, v116, v128
	v_cmp_eq_u32_e32 vcc_lo, 20, v121
	s_delay_alu instid0(VALU_DEP_2) | instskip(SKIP_1) | instid1(SALU_CYCLE_1)
	v_dual_mov_b32 v116, s8 :: v_dual_fmac_f32 v120, v122, v129
	s_or_b32 s6, vcc_lo, s6
	s_and_not1_b32 exec_lo, exec_lo, s6
	s_cbranch_execnz .LBB24_169
; %bb.170:
	s_or_b32 exec_lo, exec_lo, s6
.LBB24_171:
	s_delay_alu instid0(SALU_CYCLE_1) | instskip(SKIP_3) | instid1(VALU_DEP_1)
	s_or_b32 exec_lo, exec_lo, s1
	v_and_b32_e32 v59, 7, v117
	s_mov_b32 s2, 0
	s_mov_b32 s1, exec_lo
	v_cmpx_ne_u32_e32 0, v59
	s_cbranch_execz .LBB24_175
; %bb.172:
	v_lshl_add_u32 v60, v116, 2, 0x70
	v_mov_b32_e32 v117, 0
.LBB24_173:                             ; =>This Inner Loop Header: Depth=1
	v_cmp_eq_u32_e32 vcc_lo, 1, v116
	ds_load_b32 v62, v60
	v_dual_add_nc_u32 v60, 4, v60 :: v_dual_add_nc_u32 v59, -1, v59
	v_cndmask_b32_e32 v61, v34, v35, vcc_lo
	v_cmp_eq_u32_e32 vcc_lo, 2, v116
	s_delay_alu instid0(VALU_DEP_2) | instskip(SKIP_1) | instid1(VALU_DEP_2)
	v_cndmask_b32_e32 v61, v61, v36, vcc_lo
	v_cmp_eq_u32_e32 vcc_lo, 3, v116
	v_cndmask_b32_e32 v61, v61, v37, vcc_lo
	v_cmp_eq_u32_e32 vcc_lo, 4, v116
	s_delay_alu instid0(VALU_DEP_2) | instskip(SKIP_1) | instid1(VALU_DEP_2)
	v_cndmask_b32_e32 v61, v61, v38, vcc_lo
	v_cmp_eq_u32_e32 vcc_lo, 5, v116
	;; [unrolled: 5-line block ×11, first 2 shown]
	v_cndmask_b32_e32 v61, v61, v57, vcc_lo
	v_cmp_eq_u32_e32 vcc_lo, 24, v116
	v_add_nc_u64_e32 v[116:117], 1, v[116:117]
	s_delay_alu instid0(VALU_DEP_3) | instskip(SKIP_2) | instid1(VALU_DEP_2)
	v_cndmask_b32_e32 v61, v61, v58, vcc_lo
	v_cmp_eq_u32_e32 vcc_lo, 0, v59
	s_wait_dscnt 0x0
	v_fmac_f32_e32 v120, v61, v62
	s_or_b32 s2, vcc_lo, s2
	s_delay_alu instid0(SALU_CYCLE_1)
	s_and_not1_b32 exec_lo, exec_lo, s2
	s_cbranch_execnz .LBB24_173
; %bb.174:
	s_or_b32 exec_lo, exec_lo, s2
.LBB24_175:
	s_delay_alu instid0(SALU_CYCLE_1)
	s_or_b32 exec_lo, exec_lo, s1
.LBB24_176:
	s_delay_alu instid0(SALU_CYCLE_1)
	s_or_b32 exec_lo, exec_lo, s5
	v_mov_b32_e32 v46, 0
	ds_load_b32 v46, v46 offset:48
	s_wait_dscnt 0x0
	v_mul_f32_e32 v46, v120, v46
.LBB24_177:
	s_or_b32 exec_lo, exec_lo, s4
	v_cmp_lt_u32_e64 s1, 11, v0
	ds_store_b32 v119, v45
	s_wait_dscnt 0x0
	s_barrier_signal -1
	s_barrier_wait -1
	s_and_saveexec_b32 s4, s1
	s_cbranch_execz .LBB24_193
; %bb.178:
	s_and_not1_b32 vcc_lo, exec_lo, s25
	s_cbranch_vccnz .LBB24_180
; %bb.179:
	v_cmp_eq_u32_e32 vcc_lo, 1, v0
	ds_load_b32 v117, v119
	v_cndmask_b32_e32 v116, v34, v35, vcc_lo
	v_cmp_eq_u32_e32 vcc_lo, 2, v0
	s_delay_alu instid0(VALU_DEP_2) | instskip(SKIP_1) | instid1(VALU_DEP_2)
	v_cndmask_b32_e32 v116, v116, v36, vcc_lo
	v_cmp_eq_u32_e32 vcc_lo, 3, v0
	v_cndmask_b32_e32 v116, v116, v37, vcc_lo
	v_cmp_eq_u32_e32 vcc_lo, 4, v0
	s_delay_alu instid0(VALU_DEP_2) | instskip(SKIP_1) | instid1(VALU_DEP_2)
	v_cndmask_b32_e32 v116, v116, v38, vcc_lo
	v_cmp_eq_u32_e32 vcc_lo, 5, v0
	;; [unrolled: 5-line block ×11, first 2 shown]
	v_cndmask_b32_e32 v116, v116, v57, vcc_lo
	v_cmp_eq_u32_e32 vcc_lo, 24, v0
	s_delay_alu instid0(VALU_DEP_2) | instskip(SKIP_1) | instid1(VALU_DEP_1)
	v_cndmask_b32_e32 v116, v116, v58, vcc_lo
	s_wait_dscnt 0x0
	v_mul_f32_e32 v120, v116, v117
	s_cbranch_execz .LBB24_181
	s_branch .LBB24_182
.LBB24_180:
                                        ; implicit-def: $vgpr120
.LBB24_181:
	ds_load_b32 v120, v119
.LBB24_182:
	s_and_saveexec_b32 s5, s0
	s_cbranch_execz .LBB24_192
; %bb.183:
	v_dual_add_nc_u32 v116, -13, v0 :: v_dual_add_nc_u32 v117, -12, v0
	s_delay_alu instid0(VALU_DEP_1)
	v_cmp_lt_u32_e32 vcc_lo, 6, v116
	v_mov_b32_e32 v116, 12
	s_and_saveexec_b32 s0, vcc_lo
	s_cbranch_execz .LBB24_187
; %bb.184:
	v_and_b32_e32 v116, -8, v117
	s_mov_b32 s6, 0
	s_mov_b64 s[2:3], 19
	s_movk_i32 s7, 0xa0
	s_delay_alu instid0(VALU_DEP_1)
	v_sub_nc_u32_e32 v118, 0, v116
.LBB24_185:                             ; =>This Inner Loop Header: Depth=1
	s_add_co_i32 m0, s2, -7
	v_movrels_b32_e32 v121, v34
	v_mov_b32_e32 v116, s7
	s_add_co_i32 m0, s2, -6
	s_add_co_i32 s7, s7, 32
	v_movrels_b32_e32 v130, v34
	s_add_co_i32 m0, s2, -5
	ds_load_b128 v[122:125], v116
	ds_load_b128 v[126:129], v116 offset:16
	v_movrels_b32_e32 v116, v34
	s_add_co_i32 m0, s2, -4
	s_wait_dscnt 0x1
	v_fmac_f32_e32 v120, v121, v122
	v_movrels_b32_e32 v121, v34
	s_add_co_i32 m0, s2, -3
	s_delay_alu instid0(VALU_DEP_2) | instskip(NEXT) | instid1(VALU_DEP_1)
	v_fmac_f32_e32 v120, v130, v123
	v_fmac_f32_e32 v120, v116, v124
	v_movrels_b32_e32 v116, v34
	s_add_co_i32 m0, s2, -2
	s_delay_alu instid0(VALU_DEP_2) | instskip(SKIP_3) | instid1(VALU_DEP_2)
	v_fmac_f32_e32 v120, v121, v125
	v_movrels_b32_e32 v121, v34
	s_add_co_i32 m0, s2, -1
	s_wait_dscnt 0x0
	v_fmac_f32_e32 v120, v116, v126
	v_movrels_b32_e32 v116, v34
	s_mov_b32 m0, s2
	s_add_nc_u64 s[2:3], s[2:3], 8
	v_movrels_b32_e32 v122, v34
	v_dual_fmac_f32 v120, v121, v127 :: v_dual_add_nc_u32 v121, s2, v118
	s_add_co_i32 s8, s2, -7
	s_delay_alu instid0(VALU_DEP_1) | instskip(NEXT) | instid1(VALU_DEP_2)
	v_fmac_f32_e32 v120, v116, v128
	v_cmp_eq_u32_e32 vcc_lo, 19, v121
	s_delay_alu instid0(VALU_DEP_2) | instskip(SKIP_1) | instid1(SALU_CYCLE_1)
	v_dual_mov_b32 v116, s8 :: v_dual_fmac_f32 v120, v122, v129
	s_or_b32 s6, vcc_lo, s6
	s_and_not1_b32 exec_lo, exec_lo, s6
	s_cbranch_execnz .LBB24_185
; %bb.186:
	s_or_b32 exec_lo, exec_lo, s6
.LBB24_187:
	s_delay_alu instid0(SALU_CYCLE_1) | instskip(SKIP_3) | instid1(VALU_DEP_1)
	s_or_b32 exec_lo, exec_lo, s0
	v_and_b32_e32 v59, 7, v117
	s_mov_b32 s2, 0
	s_mov_b32 s0, exec_lo
	v_cmpx_ne_u32_e32 0, v59
	s_cbranch_execz .LBB24_191
; %bb.188:
	v_lshl_add_u32 v60, v116, 2, 0x70
	v_mov_b32_e32 v117, 0
.LBB24_189:                             ; =>This Inner Loop Header: Depth=1
	v_cmp_eq_u32_e32 vcc_lo, 1, v116
	ds_load_b32 v62, v60
	v_dual_add_nc_u32 v60, 4, v60 :: v_dual_add_nc_u32 v59, -1, v59
	v_cndmask_b32_e32 v61, v34, v35, vcc_lo
	v_cmp_eq_u32_e32 vcc_lo, 2, v116
	s_delay_alu instid0(VALU_DEP_2) | instskip(SKIP_1) | instid1(VALU_DEP_2)
	v_cndmask_b32_e32 v61, v61, v36, vcc_lo
	v_cmp_eq_u32_e32 vcc_lo, 3, v116
	v_cndmask_b32_e32 v61, v61, v37, vcc_lo
	v_cmp_eq_u32_e32 vcc_lo, 4, v116
	s_delay_alu instid0(VALU_DEP_2) | instskip(SKIP_1) | instid1(VALU_DEP_2)
	v_cndmask_b32_e32 v61, v61, v38, vcc_lo
	v_cmp_eq_u32_e32 vcc_lo, 5, v116
	;; [unrolled: 5-line block ×11, first 2 shown]
	v_cndmask_b32_e32 v61, v61, v57, vcc_lo
	v_cmp_eq_u32_e32 vcc_lo, 24, v116
	v_add_nc_u64_e32 v[116:117], 1, v[116:117]
	s_delay_alu instid0(VALU_DEP_3) | instskip(SKIP_2) | instid1(VALU_DEP_2)
	v_cndmask_b32_e32 v61, v61, v58, vcc_lo
	v_cmp_eq_u32_e32 vcc_lo, 0, v59
	s_wait_dscnt 0x0
	v_fmac_f32_e32 v120, v61, v62
	s_or_b32 s2, vcc_lo, s2
	s_delay_alu instid0(SALU_CYCLE_1)
	s_and_not1_b32 exec_lo, exec_lo, s2
	s_cbranch_execnz .LBB24_189
; %bb.190:
	s_or_b32 exec_lo, exec_lo, s2
.LBB24_191:
	s_delay_alu instid0(SALU_CYCLE_1)
	s_or_b32 exec_lo, exec_lo, s0
.LBB24_192:
	s_delay_alu instid0(SALU_CYCLE_1)
	s_or_b32 exec_lo, exec_lo, s5
	v_mov_b32_e32 v45, 0
	ds_load_b32 v45, v45 offset:44
	s_wait_dscnt 0x0
	v_mul_f32_e32 v45, v120, v45
.LBB24_193:
	s_or_b32 exec_lo, exec_lo, s4
	v_cmp_lt_u32_e64 s0, 10, v0
	ds_store_b32 v119, v44
	s_wait_dscnt 0x0
	s_barrier_signal -1
	s_barrier_wait -1
	s_and_saveexec_b32 s4, s0
	s_cbranch_execz .LBB24_209
; %bb.194:
	s_and_not1_b32 vcc_lo, exec_lo, s25
	s_cbranch_vccnz .LBB24_196
; %bb.195:
	v_cmp_eq_u32_e32 vcc_lo, 1, v0
	ds_load_b32 v117, v119
	v_cndmask_b32_e32 v116, v34, v35, vcc_lo
	v_cmp_eq_u32_e32 vcc_lo, 2, v0
	s_delay_alu instid0(VALU_DEP_2) | instskip(SKIP_1) | instid1(VALU_DEP_2)
	v_cndmask_b32_e32 v116, v116, v36, vcc_lo
	v_cmp_eq_u32_e32 vcc_lo, 3, v0
	v_cndmask_b32_e32 v116, v116, v37, vcc_lo
	v_cmp_eq_u32_e32 vcc_lo, 4, v0
	s_delay_alu instid0(VALU_DEP_2) | instskip(SKIP_1) | instid1(VALU_DEP_2)
	v_cndmask_b32_e32 v116, v116, v38, vcc_lo
	v_cmp_eq_u32_e32 vcc_lo, 5, v0
	;; [unrolled: 5-line block ×11, first 2 shown]
	v_cndmask_b32_e32 v116, v116, v57, vcc_lo
	v_cmp_eq_u32_e32 vcc_lo, 24, v0
	s_delay_alu instid0(VALU_DEP_2) | instskip(SKIP_1) | instid1(VALU_DEP_1)
	v_cndmask_b32_e32 v116, v116, v58, vcc_lo
	s_wait_dscnt 0x0
	v_mul_f32_e32 v120, v116, v117
	s_cbranch_execz .LBB24_197
	s_branch .LBB24_198
.LBB24_196:
                                        ; implicit-def: $vgpr120
.LBB24_197:
	ds_load_b32 v120, v119
.LBB24_198:
	s_and_saveexec_b32 s5, s1
	s_cbranch_execz .LBB24_208
; %bb.199:
	v_dual_add_nc_u32 v116, -12, v0 :: v_dual_add_nc_u32 v117, -11, v0
	s_delay_alu instid0(VALU_DEP_1)
	v_cmp_lt_u32_e32 vcc_lo, 6, v116
	v_mov_b32_e32 v116, 11
	s_and_saveexec_b32 s1, vcc_lo
	s_cbranch_execz .LBB24_203
; %bb.200:
	v_and_b32_e32 v116, -8, v117
	s_mov_b32 s6, 0
	s_mov_b64 s[2:3], 18
	s_movk_i32 s7, 0x9c
	s_delay_alu instid0(VALU_DEP_1)
	v_sub_nc_u32_e32 v118, 0, v116
.LBB24_201:                             ; =>This Inner Loop Header: Depth=1
	s_add_co_i32 m0, s2, -7
	v_movrels_b32_e32 v121, v34
	v_mov_b32_e32 v116, s7
	s_add_co_i32 m0, s2, -6
	s_add_co_i32 s7, s7, 32
	v_movrels_b32_e32 v130, v34
	ds_load_2addr_b32 v[122:123], v116 offset1:1
	ds_load_2addr_b32 v[124:125], v116 offset0:2 offset1:3
	s_add_co_i32 m0, s2, -5
	s_wait_dscnt 0x1
	v_fmac_f32_e32 v120, v121, v122
	ds_load_2addr_b32 v[126:127], v116 offset0:4 offset1:5
	ds_load_2addr_b32 v[128:129], v116 offset0:6 offset1:7
	v_movrels_b32_e32 v116, v34
	s_add_co_i32 m0, s2, -4
	v_fmac_f32_e32 v120, v130, v123
	v_movrels_b32_e32 v121, v34
	s_add_co_i32 m0, s2, -3
	s_wait_dscnt 0x2
	s_delay_alu instid0(VALU_DEP_2) | instskip(SKIP_2) | instid1(VALU_DEP_2)
	v_fmac_f32_e32 v120, v116, v124
	v_movrels_b32_e32 v116, v34
	s_add_co_i32 m0, s2, -2
	v_fmac_f32_e32 v120, v121, v125
	v_movrels_b32_e32 v121, v34
	s_add_co_i32 m0, s2, -1
	s_wait_dscnt 0x1
	s_delay_alu instid0(VALU_DEP_2)
	v_fmac_f32_e32 v120, v116, v126
	v_movrels_b32_e32 v116, v34
	s_mov_b32 m0, s2
	s_add_nc_u64 s[2:3], s[2:3], 8
	v_movrels_b32_e32 v122, v34
	v_dual_fmac_f32 v120, v121, v127 :: v_dual_add_nc_u32 v121, s2, v118
	s_add_co_i32 s8, s2, -7
	s_wait_dscnt 0x0
	s_delay_alu instid0(VALU_DEP_1) | instskip(NEXT) | instid1(VALU_DEP_2)
	v_fmac_f32_e32 v120, v116, v128
	v_cmp_eq_u32_e32 vcc_lo, 18, v121
	s_delay_alu instid0(VALU_DEP_2) | instskip(SKIP_1) | instid1(SALU_CYCLE_1)
	v_dual_mov_b32 v116, s8 :: v_dual_fmac_f32 v120, v122, v129
	s_or_b32 s6, vcc_lo, s6
	s_and_not1_b32 exec_lo, exec_lo, s6
	s_cbranch_execnz .LBB24_201
; %bb.202:
	s_or_b32 exec_lo, exec_lo, s6
.LBB24_203:
	s_delay_alu instid0(SALU_CYCLE_1) | instskip(SKIP_3) | instid1(VALU_DEP_1)
	s_or_b32 exec_lo, exec_lo, s1
	v_and_b32_e32 v59, 7, v117
	s_mov_b32 s2, 0
	s_mov_b32 s1, exec_lo
	v_cmpx_ne_u32_e32 0, v59
	s_cbranch_execz .LBB24_207
; %bb.204:
	v_lshl_add_u32 v60, v116, 2, 0x70
	v_mov_b32_e32 v117, 0
.LBB24_205:                             ; =>This Inner Loop Header: Depth=1
	v_cmp_eq_u32_e32 vcc_lo, 1, v116
	ds_load_b32 v62, v60
	v_dual_add_nc_u32 v60, 4, v60 :: v_dual_add_nc_u32 v59, -1, v59
	v_cndmask_b32_e32 v61, v34, v35, vcc_lo
	v_cmp_eq_u32_e32 vcc_lo, 2, v116
	s_delay_alu instid0(VALU_DEP_2) | instskip(SKIP_1) | instid1(VALU_DEP_2)
	v_cndmask_b32_e32 v61, v61, v36, vcc_lo
	v_cmp_eq_u32_e32 vcc_lo, 3, v116
	v_cndmask_b32_e32 v61, v61, v37, vcc_lo
	v_cmp_eq_u32_e32 vcc_lo, 4, v116
	s_delay_alu instid0(VALU_DEP_2) | instskip(SKIP_1) | instid1(VALU_DEP_2)
	v_cndmask_b32_e32 v61, v61, v38, vcc_lo
	v_cmp_eq_u32_e32 vcc_lo, 5, v116
	;; [unrolled: 5-line block ×11, first 2 shown]
	v_cndmask_b32_e32 v61, v61, v57, vcc_lo
	v_cmp_eq_u32_e32 vcc_lo, 24, v116
	v_add_nc_u64_e32 v[116:117], 1, v[116:117]
	s_delay_alu instid0(VALU_DEP_3) | instskip(SKIP_2) | instid1(VALU_DEP_2)
	v_cndmask_b32_e32 v61, v61, v58, vcc_lo
	v_cmp_eq_u32_e32 vcc_lo, 0, v59
	s_wait_dscnt 0x0
	v_fmac_f32_e32 v120, v61, v62
	s_or_b32 s2, vcc_lo, s2
	s_delay_alu instid0(SALU_CYCLE_1)
	s_and_not1_b32 exec_lo, exec_lo, s2
	s_cbranch_execnz .LBB24_205
; %bb.206:
	s_or_b32 exec_lo, exec_lo, s2
.LBB24_207:
	s_delay_alu instid0(SALU_CYCLE_1)
	s_or_b32 exec_lo, exec_lo, s1
.LBB24_208:
	s_delay_alu instid0(SALU_CYCLE_1)
	s_or_b32 exec_lo, exec_lo, s5
	v_mov_b32_e32 v44, 0
	ds_load_b32 v44, v44 offset:40
	s_wait_dscnt 0x0
	v_mul_f32_e32 v44, v120, v44
.LBB24_209:
	s_or_b32 exec_lo, exec_lo, s4
	v_cmp_lt_u32_e64 s1, 9, v0
	ds_store_b32 v119, v43
	s_wait_dscnt 0x0
	s_barrier_signal -1
	s_barrier_wait -1
	s_and_saveexec_b32 s4, s1
	s_cbranch_execz .LBB24_225
; %bb.210:
	s_and_not1_b32 vcc_lo, exec_lo, s25
	s_cbranch_vccnz .LBB24_212
; %bb.211:
	v_cmp_eq_u32_e32 vcc_lo, 1, v0
	ds_load_b32 v117, v119
	v_cndmask_b32_e32 v116, v34, v35, vcc_lo
	v_cmp_eq_u32_e32 vcc_lo, 2, v0
	s_delay_alu instid0(VALU_DEP_2) | instskip(SKIP_1) | instid1(VALU_DEP_2)
	v_cndmask_b32_e32 v116, v116, v36, vcc_lo
	v_cmp_eq_u32_e32 vcc_lo, 3, v0
	v_cndmask_b32_e32 v116, v116, v37, vcc_lo
	v_cmp_eq_u32_e32 vcc_lo, 4, v0
	s_delay_alu instid0(VALU_DEP_2) | instskip(SKIP_1) | instid1(VALU_DEP_2)
	v_cndmask_b32_e32 v116, v116, v38, vcc_lo
	v_cmp_eq_u32_e32 vcc_lo, 5, v0
	;; [unrolled: 5-line block ×11, first 2 shown]
	v_cndmask_b32_e32 v116, v116, v57, vcc_lo
	v_cmp_eq_u32_e32 vcc_lo, 24, v0
	s_delay_alu instid0(VALU_DEP_2) | instskip(SKIP_1) | instid1(VALU_DEP_1)
	v_cndmask_b32_e32 v116, v116, v58, vcc_lo
	s_wait_dscnt 0x0
	v_mul_f32_e32 v120, v116, v117
	s_cbranch_execz .LBB24_213
	s_branch .LBB24_214
.LBB24_212:
                                        ; implicit-def: $vgpr120
.LBB24_213:
	ds_load_b32 v120, v119
.LBB24_214:
	s_and_saveexec_b32 s5, s0
	s_cbranch_execz .LBB24_224
; %bb.215:
	v_dual_add_nc_u32 v116, -11, v0 :: v_dual_add_nc_u32 v117, -10, v0
	s_delay_alu instid0(VALU_DEP_1)
	v_cmp_lt_u32_e32 vcc_lo, 6, v116
	v_mov_b32_e32 v116, 10
	s_and_saveexec_b32 s0, vcc_lo
	s_cbranch_execz .LBB24_219
; %bb.216:
	v_and_b32_e32 v116, -8, v117
	s_mov_b32 s6, 0
	s_mov_b64 s[2:3], 17
	s_movk_i32 s7, 0x98
	s_delay_alu instid0(VALU_DEP_1)
	v_sub_nc_u32_e32 v118, 0, v116
.LBB24_217:                             ; =>This Inner Loop Header: Depth=1
	s_add_co_i32 m0, s2, -7
	v_movrels_b32_e32 v121, v34
	v_mov_b32_e32 v116, s7
	s_add_co_i32 m0, s2, -6
	s_add_co_i32 s7, s7, 32
	v_movrels_b32_e32 v130, v34
	s_add_co_i32 m0, s2, -5
	ds_load_2addr_b64 v[122:125], v116 offset1:1
	ds_load_2addr_b64 v[126:129], v116 offset0:2 offset1:3
	v_movrels_b32_e32 v116, v34
	s_add_co_i32 m0, s2, -4
	s_wait_dscnt 0x1
	v_fmac_f32_e32 v120, v121, v122
	v_movrels_b32_e32 v121, v34
	s_add_co_i32 m0, s2, -3
	s_delay_alu instid0(VALU_DEP_2) | instskip(NEXT) | instid1(VALU_DEP_1)
	v_fmac_f32_e32 v120, v130, v123
	v_fmac_f32_e32 v120, v116, v124
	v_movrels_b32_e32 v116, v34
	s_add_co_i32 m0, s2, -2
	s_delay_alu instid0(VALU_DEP_2) | instskip(SKIP_3) | instid1(VALU_DEP_2)
	v_fmac_f32_e32 v120, v121, v125
	v_movrels_b32_e32 v121, v34
	s_add_co_i32 m0, s2, -1
	s_wait_dscnt 0x0
	v_fmac_f32_e32 v120, v116, v126
	v_movrels_b32_e32 v116, v34
	s_mov_b32 m0, s2
	s_add_nc_u64 s[2:3], s[2:3], 8
	v_movrels_b32_e32 v122, v34
	v_dual_fmac_f32 v120, v121, v127 :: v_dual_add_nc_u32 v121, s2, v118
	s_add_co_i32 s8, s2, -7
	s_delay_alu instid0(VALU_DEP_1) | instskip(NEXT) | instid1(VALU_DEP_2)
	v_fmac_f32_e32 v120, v116, v128
	v_cmp_eq_u32_e32 vcc_lo, 17, v121
	s_delay_alu instid0(VALU_DEP_2) | instskip(SKIP_1) | instid1(SALU_CYCLE_1)
	v_dual_mov_b32 v116, s8 :: v_dual_fmac_f32 v120, v122, v129
	s_or_b32 s6, vcc_lo, s6
	s_and_not1_b32 exec_lo, exec_lo, s6
	s_cbranch_execnz .LBB24_217
; %bb.218:
	s_or_b32 exec_lo, exec_lo, s6
.LBB24_219:
	s_delay_alu instid0(SALU_CYCLE_1) | instskip(SKIP_3) | instid1(VALU_DEP_1)
	s_or_b32 exec_lo, exec_lo, s0
	v_and_b32_e32 v59, 7, v117
	s_mov_b32 s2, 0
	s_mov_b32 s0, exec_lo
	v_cmpx_ne_u32_e32 0, v59
	s_cbranch_execz .LBB24_223
; %bb.220:
	v_lshl_add_u32 v60, v116, 2, 0x70
	v_mov_b32_e32 v117, 0
.LBB24_221:                             ; =>This Inner Loop Header: Depth=1
	v_cmp_eq_u32_e32 vcc_lo, 1, v116
	ds_load_b32 v62, v60
	v_dual_add_nc_u32 v60, 4, v60 :: v_dual_add_nc_u32 v59, -1, v59
	v_cndmask_b32_e32 v61, v34, v35, vcc_lo
	v_cmp_eq_u32_e32 vcc_lo, 2, v116
	s_delay_alu instid0(VALU_DEP_2) | instskip(SKIP_1) | instid1(VALU_DEP_2)
	v_cndmask_b32_e32 v61, v61, v36, vcc_lo
	v_cmp_eq_u32_e32 vcc_lo, 3, v116
	v_cndmask_b32_e32 v61, v61, v37, vcc_lo
	v_cmp_eq_u32_e32 vcc_lo, 4, v116
	s_delay_alu instid0(VALU_DEP_2) | instskip(SKIP_1) | instid1(VALU_DEP_2)
	v_cndmask_b32_e32 v61, v61, v38, vcc_lo
	v_cmp_eq_u32_e32 vcc_lo, 5, v116
	;; [unrolled: 5-line block ×11, first 2 shown]
	v_cndmask_b32_e32 v61, v61, v57, vcc_lo
	v_cmp_eq_u32_e32 vcc_lo, 24, v116
	v_add_nc_u64_e32 v[116:117], 1, v[116:117]
	s_delay_alu instid0(VALU_DEP_3) | instskip(SKIP_2) | instid1(VALU_DEP_2)
	v_cndmask_b32_e32 v61, v61, v58, vcc_lo
	v_cmp_eq_u32_e32 vcc_lo, 0, v59
	s_wait_dscnt 0x0
	v_fmac_f32_e32 v120, v61, v62
	s_or_b32 s2, vcc_lo, s2
	s_delay_alu instid0(SALU_CYCLE_1)
	s_and_not1_b32 exec_lo, exec_lo, s2
	s_cbranch_execnz .LBB24_221
; %bb.222:
	s_or_b32 exec_lo, exec_lo, s2
.LBB24_223:
	s_delay_alu instid0(SALU_CYCLE_1)
	s_or_b32 exec_lo, exec_lo, s0
.LBB24_224:
	s_delay_alu instid0(SALU_CYCLE_1)
	s_or_b32 exec_lo, exec_lo, s5
	v_mov_b32_e32 v43, 0
	ds_load_b32 v43, v43 offset:36
	s_wait_dscnt 0x0
	v_mul_f32_e32 v43, v120, v43
.LBB24_225:
	s_or_b32 exec_lo, exec_lo, s4
	v_cmp_lt_u32_e64 s0, 8, v0
	ds_store_b32 v119, v42
	s_wait_dscnt 0x0
	s_barrier_signal -1
	s_barrier_wait -1
	s_and_saveexec_b32 s4, s0
	s_cbranch_execz .LBB24_241
; %bb.226:
	s_and_not1_b32 vcc_lo, exec_lo, s25
	s_cbranch_vccnz .LBB24_228
; %bb.227:
	v_cmp_eq_u32_e32 vcc_lo, 1, v0
	ds_load_b32 v117, v119
	v_cndmask_b32_e32 v116, v34, v35, vcc_lo
	v_cmp_eq_u32_e32 vcc_lo, 2, v0
	s_delay_alu instid0(VALU_DEP_2) | instskip(SKIP_1) | instid1(VALU_DEP_2)
	v_cndmask_b32_e32 v116, v116, v36, vcc_lo
	v_cmp_eq_u32_e32 vcc_lo, 3, v0
	v_cndmask_b32_e32 v116, v116, v37, vcc_lo
	v_cmp_eq_u32_e32 vcc_lo, 4, v0
	s_delay_alu instid0(VALU_DEP_2) | instskip(SKIP_1) | instid1(VALU_DEP_2)
	v_cndmask_b32_e32 v116, v116, v38, vcc_lo
	v_cmp_eq_u32_e32 vcc_lo, 5, v0
	;; [unrolled: 5-line block ×11, first 2 shown]
	v_cndmask_b32_e32 v116, v116, v57, vcc_lo
	v_cmp_eq_u32_e32 vcc_lo, 24, v0
	s_delay_alu instid0(VALU_DEP_2) | instskip(SKIP_1) | instid1(VALU_DEP_1)
	v_cndmask_b32_e32 v116, v116, v58, vcc_lo
	s_wait_dscnt 0x0
	v_mul_f32_e32 v120, v116, v117
	s_cbranch_execz .LBB24_229
	s_branch .LBB24_230
.LBB24_228:
                                        ; implicit-def: $vgpr120
.LBB24_229:
	ds_load_b32 v120, v119
.LBB24_230:
	s_and_saveexec_b32 s5, s1
	s_cbranch_execz .LBB24_240
; %bb.231:
	v_dual_add_nc_u32 v116, -10, v0 :: v_dual_add_nc_u32 v117, -9, v0
	s_delay_alu instid0(VALU_DEP_1)
	v_cmp_lt_u32_e32 vcc_lo, 6, v116
	v_mov_b32_e32 v116, 9
	s_and_saveexec_b32 s1, vcc_lo
	s_cbranch_execz .LBB24_235
; %bb.232:
	v_and_b32_e32 v116, -8, v117
	s_mov_b32 s6, 0
	s_mov_b64 s[2:3], 16
	s_movk_i32 s7, 0x94
	s_delay_alu instid0(VALU_DEP_1)
	v_sub_nc_u32_e32 v118, 0, v116
.LBB24_233:                             ; =>This Inner Loop Header: Depth=1
	s_add_co_i32 m0, s2, -7
	v_movrels_b32_e32 v121, v34
	v_mov_b32_e32 v116, s7
	s_add_co_i32 m0, s2, -6
	s_add_co_i32 s7, s7, 32
	v_movrels_b32_e32 v130, v34
	ds_load_2addr_b32 v[122:123], v116 offset1:1
	ds_load_2addr_b32 v[124:125], v116 offset0:2 offset1:3
	s_add_co_i32 m0, s2, -5
	s_wait_dscnt 0x1
	v_fmac_f32_e32 v120, v121, v122
	ds_load_2addr_b32 v[126:127], v116 offset0:4 offset1:5
	ds_load_2addr_b32 v[128:129], v116 offset0:6 offset1:7
	v_movrels_b32_e32 v116, v34
	s_add_co_i32 m0, s2, -4
	v_fmac_f32_e32 v120, v130, v123
	v_movrels_b32_e32 v121, v34
	s_add_co_i32 m0, s2, -3
	s_wait_dscnt 0x2
	s_delay_alu instid0(VALU_DEP_2) | instskip(SKIP_2) | instid1(VALU_DEP_2)
	v_fmac_f32_e32 v120, v116, v124
	v_movrels_b32_e32 v116, v34
	s_add_co_i32 m0, s2, -2
	v_fmac_f32_e32 v120, v121, v125
	v_movrels_b32_e32 v121, v34
	s_add_co_i32 m0, s2, -1
	s_wait_dscnt 0x1
	s_delay_alu instid0(VALU_DEP_2)
	v_fmac_f32_e32 v120, v116, v126
	v_movrels_b32_e32 v116, v34
	s_mov_b32 m0, s2
	s_add_nc_u64 s[2:3], s[2:3], 8
	v_movrels_b32_e32 v122, v34
	v_dual_fmac_f32 v120, v121, v127 :: v_dual_add_nc_u32 v121, s2, v118
	s_add_co_i32 s8, s2, -7
	s_wait_dscnt 0x0
	s_delay_alu instid0(VALU_DEP_1) | instskip(NEXT) | instid1(VALU_DEP_2)
	v_fmac_f32_e32 v120, v116, v128
	v_cmp_eq_u32_e32 vcc_lo, 16, v121
	s_delay_alu instid0(VALU_DEP_2) | instskip(SKIP_1) | instid1(SALU_CYCLE_1)
	v_dual_mov_b32 v116, s8 :: v_dual_fmac_f32 v120, v122, v129
	s_or_b32 s6, vcc_lo, s6
	s_and_not1_b32 exec_lo, exec_lo, s6
	s_cbranch_execnz .LBB24_233
; %bb.234:
	s_or_b32 exec_lo, exec_lo, s6
.LBB24_235:
	s_delay_alu instid0(SALU_CYCLE_1) | instskip(SKIP_3) | instid1(VALU_DEP_1)
	s_or_b32 exec_lo, exec_lo, s1
	v_and_b32_e32 v59, 7, v117
	s_mov_b32 s2, 0
	s_mov_b32 s1, exec_lo
	v_cmpx_ne_u32_e32 0, v59
	s_cbranch_execz .LBB24_239
; %bb.236:
	v_lshl_add_u32 v60, v116, 2, 0x70
	v_mov_b32_e32 v117, 0
.LBB24_237:                             ; =>This Inner Loop Header: Depth=1
	v_cmp_eq_u32_e32 vcc_lo, 1, v116
	ds_load_b32 v62, v60
	v_dual_add_nc_u32 v60, 4, v60 :: v_dual_add_nc_u32 v59, -1, v59
	v_cndmask_b32_e32 v61, v34, v35, vcc_lo
	v_cmp_eq_u32_e32 vcc_lo, 2, v116
	s_delay_alu instid0(VALU_DEP_2) | instskip(SKIP_1) | instid1(VALU_DEP_2)
	v_cndmask_b32_e32 v61, v61, v36, vcc_lo
	v_cmp_eq_u32_e32 vcc_lo, 3, v116
	v_cndmask_b32_e32 v61, v61, v37, vcc_lo
	v_cmp_eq_u32_e32 vcc_lo, 4, v116
	s_delay_alu instid0(VALU_DEP_2) | instskip(SKIP_1) | instid1(VALU_DEP_2)
	v_cndmask_b32_e32 v61, v61, v38, vcc_lo
	v_cmp_eq_u32_e32 vcc_lo, 5, v116
	;; [unrolled: 5-line block ×11, first 2 shown]
	v_cndmask_b32_e32 v61, v61, v57, vcc_lo
	v_cmp_eq_u32_e32 vcc_lo, 24, v116
	v_add_nc_u64_e32 v[116:117], 1, v[116:117]
	s_delay_alu instid0(VALU_DEP_3) | instskip(SKIP_2) | instid1(VALU_DEP_2)
	v_cndmask_b32_e32 v61, v61, v58, vcc_lo
	v_cmp_eq_u32_e32 vcc_lo, 0, v59
	s_wait_dscnt 0x0
	v_fmac_f32_e32 v120, v61, v62
	s_or_b32 s2, vcc_lo, s2
	s_delay_alu instid0(SALU_CYCLE_1)
	s_and_not1_b32 exec_lo, exec_lo, s2
	s_cbranch_execnz .LBB24_237
; %bb.238:
	s_or_b32 exec_lo, exec_lo, s2
.LBB24_239:
	s_delay_alu instid0(SALU_CYCLE_1)
	s_or_b32 exec_lo, exec_lo, s1
.LBB24_240:
	s_delay_alu instid0(SALU_CYCLE_1)
	s_or_b32 exec_lo, exec_lo, s5
	v_mov_b32_e32 v42, 0
	ds_load_b32 v42, v42 offset:32
	s_wait_dscnt 0x0
	v_mul_f32_e32 v42, v120, v42
.LBB24_241:
	s_or_b32 exec_lo, exec_lo, s4
	v_cmp_lt_u32_e64 s1, 7, v0
	ds_store_b32 v119, v41
	s_wait_dscnt 0x0
	s_barrier_signal -1
	s_barrier_wait -1
	s_and_saveexec_b32 s4, s1
	s_cbranch_execz .LBB24_257
; %bb.242:
	s_and_not1_b32 vcc_lo, exec_lo, s25
	s_cbranch_vccnz .LBB24_244
; %bb.243:
	v_cmp_eq_u32_e32 vcc_lo, 1, v0
	ds_load_b32 v117, v119
	v_cndmask_b32_e32 v116, v34, v35, vcc_lo
	v_cmp_eq_u32_e32 vcc_lo, 2, v0
	s_delay_alu instid0(VALU_DEP_2) | instskip(SKIP_1) | instid1(VALU_DEP_2)
	v_cndmask_b32_e32 v116, v116, v36, vcc_lo
	v_cmp_eq_u32_e32 vcc_lo, 3, v0
	v_cndmask_b32_e32 v116, v116, v37, vcc_lo
	v_cmp_eq_u32_e32 vcc_lo, 4, v0
	s_delay_alu instid0(VALU_DEP_2) | instskip(SKIP_1) | instid1(VALU_DEP_2)
	v_cndmask_b32_e32 v116, v116, v38, vcc_lo
	v_cmp_eq_u32_e32 vcc_lo, 5, v0
	;; [unrolled: 5-line block ×11, first 2 shown]
	v_cndmask_b32_e32 v116, v116, v57, vcc_lo
	v_cmp_eq_u32_e32 vcc_lo, 24, v0
	s_delay_alu instid0(VALU_DEP_2) | instskip(SKIP_1) | instid1(VALU_DEP_1)
	v_cndmask_b32_e32 v116, v116, v58, vcc_lo
	s_wait_dscnt 0x0
	v_mul_f32_e32 v120, v116, v117
	s_cbranch_execz .LBB24_245
	s_branch .LBB24_246
.LBB24_244:
                                        ; implicit-def: $vgpr120
.LBB24_245:
	ds_load_b32 v120, v119
.LBB24_246:
	s_and_saveexec_b32 s5, s0
	s_cbranch_execz .LBB24_256
; %bb.247:
	v_add_nc_u32_e32 v116, -9, v0
	s_delay_alu instid0(VALU_DEP_1)
	v_cmp_lt_u32_e32 vcc_lo, 6, v116
	v_mov_b32_e32 v116, 8
	s_and_saveexec_b32 s0, vcc_lo
	s_cbranch_execz .LBB24_251
; %bb.248:
	v_and_b32_e32 v116, 24, v0
	s_mov_b32 s6, 0
	s_mov_b64 s[2:3], 15
	s_movk_i32 s7, 0x90
	s_delay_alu instid0(VALU_DEP_1)
	v_sub_nc_u32_e32 v118, 0, v116
.LBB24_249:                             ; =>This Inner Loop Header: Depth=1
	s_add_co_i32 m0, s2, -7
	v_movrels_b32_e32 v117, v34
	v_mov_b32_e32 v116, s7
	s_add_co_i32 m0, s2, -6
	s_add_co_i32 s7, s7, 32
	v_movrels_b32_e32 v121, v34
	s_add_co_i32 m0, s2, -5
	ds_load_b128 v[122:125], v116
	ds_load_b128 v[126:129], v116 offset:16
	v_movrels_b32_e32 v116, v34
	s_add_co_i32 m0, s2, -4
	s_wait_dscnt 0x1
	v_fmac_f32_e32 v120, v117, v122
	v_movrels_b32_e32 v117, v34
	s_add_co_i32 m0, s2, -3
	s_delay_alu instid0(VALU_DEP_2) | instskip(NEXT) | instid1(VALU_DEP_1)
	v_fmac_f32_e32 v120, v121, v123
	v_fmac_f32_e32 v120, v116, v124
	v_movrels_b32_e32 v116, v34
	s_add_co_i32 m0, s2, -2
	s_delay_alu instid0(VALU_DEP_2) | instskip(SKIP_3) | instid1(VALU_DEP_2)
	v_fmac_f32_e32 v120, v117, v125
	v_movrels_b32_e32 v117, v34
	s_add_co_i32 m0, s2, -1
	s_wait_dscnt 0x0
	v_fmac_f32_e32 v120, v116, v126
	v_movrels_b32_e32 v116, v34
	s_mov_b32 m0, s2
	s_add_nc_u64 s[2:3], s[2:3], 8
	v_movrels_b32_e32 v121, v34
	v_dual_fmac_f32 v120, v117, v127 :: v_dual_add_nc_u32 v117, s2, v118
	s_add_co_i32 s8, s2, -7
	s_delay_alu instid0(VALU_DEP_1) | instskip(NEXT) | instid1(VALU_DEP_2)
	v_fmac_f32_e32 v120, v116, v128
	v_cmp_eq_u32_e32 vcc_lo, 7, v117
	s_delay_alu instid0(VALU_DEP_2) | instskip(SKIP_1) | instid1(SALU_CYCLE_1)
	v_dual_mov_b32 v116, s8 :: v_dual_fmac_f32 v120, v121, v129
	s_or_b32 s6, vcc_lo, s6
	s_and_not1_b32 exec_lo, exec_lo, s6
	s_cbranch_execnz .LBB24_249
; %bb.250:
	s_or_b32 exec_lo, exec_lo, s6
.LBB24_251:
	s_delay_alu instid0(SALU_CYCLE_1) | instskip(SKIP_3) | instid1(VALU_DEP_1)
	s_or_b32 exec_lo, exec_lo, s0
	v_and_b32_e32 v59, 7, v0
	s_mov_b32 s2, 0
	s_mov_b32 s0, exec_lo
	v_cmpx_ne_u32_e32 0, v59
	s_cbranch_execz .LBB24_255
; %bb.252:
	v_lshl_add_u32 v60, v116, 2, 0x70
	v_mov_b32_e32 v117, 0
.LBB24_253:                             ; =>This Inner Loop Header: Depth=1
	v_cmp_eq_u32_e32 vcc_lo, 1, v116
	ds_load_b32 v62, v60
	v_dual_add_nc_u32 v60, 4, v60 :: v_dual_add_nc_u32 v59, -1, v59
	v_cndmask_b32_e32 v61, v34, v35, vcc_lo
	v_cmp_eq_u32_e32 vcc_lo, 2, v116
	s_delay_alu instid0(VALU_DEP_2) | instskip(SKIP_1) | instid1(VALU_DEP_2)
	v_cndmask_b32_e32 v61, v61, v36, vcc_lo
	v_cmp_eq_u32_e32 vcc_lo, 3, v116
	v_cndmask_b32_e32 v61, v61, v37, vcc_lo
	v_cmp_eq_u32_e32 vcc_lo, 4, v116
	s_delay_alu instid0(VALU_DEP_2) | instskip(SKIP_1) | instid1(VALU_DEP_2)
	v_cndmask_b32_e32 v61, v61, v38, vcc_lo
	v_cmp_eq_u32_e32 vcc_lo, 5, v116
	;; [unrolled: 5-line block ×11, first 2 shown]
	v_cndmask_b32_e32 v61, v61, v57, vcc_lo
	v_cmp_eq_u32_e32 vcc_lo, 24, v116
	v_add_nc_u64_e32 v[116:117], 1, v[116:117]
	s_delay_alu instid0(VALU_DEP_3) | instskip(SKIP_2) | instid1(VALU_DEP_2)
	v_cndmask_b32_e32 v61, v61, v58, vcc_lo
	v_cmp_eq_u32_e32 vcc_lo, 0, v59
	s_wait_dscnt 0x0
	v_fmac_f32_e32 v120, v61, v62
	s_or_b32 s2, vcc_lo, s2
	s_delay_alu instid0(SALU_CYCLE_1)
	s_and_not1_b32 exec_lo, exec_lo, s2
	s_cbranch_execnz .LBB24_253
; %bb.254:
	s_or_b32 exec_lo, exec_lo, s2
.LBB24_255:
	s_delay_alu instid0(SALU_CYCLE_1)
	s_or_b32 exec_lo, exec_lo, s0
.LBB24_256:
	s_delay_alu instid0(SALU_CYCLE_1)
	s_or_b32 exec_lo, exec_lo, s5
	v_mov_b32_e32 v41, 0
	ds_load_b32 v41, v41 offset:28
	s_wait_dscnt 0x0
	v_mul_f32_e32 v41, v120, v41
.LBB24_257:
	s_or_b32 exec_lo, exec_lo, s4
	v_cmp_lt_u32_e64 s0, 6, v0
	ds_store_b32 v119, v40
	s_wait_dscnt 0x0
	s_barrier_signal -1
	s_barrier_wait -1
	s_and_saveexec_b32 s4, s0
	s_cbranch_execz .LBB24_273
; %bb.258:
	s_and_not1_b32 vcc_lo, exec_lo, s25
	s_cbranch_vccnz .LBB24_260
; %bb.259:
	v_cmp_eq_u32_e32 vcc_lo, 1, v0
	ds_load_b32 v117, v119
	v_cndmask_b32_e32 v116, v34, v35, vcc_lo
	v_cmp_eq_u32_e32 vcc_lo, 2, v0
	s_delay_alu instid0(VALU_DEP_2) | instskip(SKIP_1) | instid1(VALU_DEP_2)
	v_cndmask_b32_e32 v116, v116, v36, vcc_lo
	v_cmp_eq_u32_e32 vcc_lo, 3, v0
	v_cndmask_b32_e32 v116, v116, v37, vcc_lo
	v_cmp_eq_u32_e32 vcc_lo, 4, v0
	s_delay_alu instid0(VALU_DEP_2) | instskip(SKIP_1) | instid1(VALU_DEP_2)
	v_cndmask_b32_e32 v116, v116, v38, vcc_lo
	v_cmp_eq_u32_e32 vcc_lo, 5, v0
	;; [unrolled: 5-line block ×11, first 2 shown]
	v_cndmask_b32_e32 v116, v116, v57, vcc_lo
	v_cmp_eq_u32_e32 vcc_lo, 24, v0
	s_delay_alu instid0(VALU_DEP_2) | instskip(SKIP_1) | instid1(VALU_DEP_1)
	v_cndmask_b32_e32 v116, v116, v58, vcc_lo
	s_wait_dscnt 0x0
	v_mul_f32_e32 v120, v116, v117
	s_cbranch_execz .LBB24_261
	s_branch .LBB24_262
.LBB24_260:
                                        ; implicit-def: $vgpr120
.LBB24_261:
	ds_load_b32 v120, v119
.LBB24_262:
	s_and_saveexec_b32 s5, s1
	s_cbranch_execz .LBB24_272
; %bb.263:
	v_dual_add_nc_u32 v116, -8, v0 :: v_dual_add_nc_u32 v117, -7, v0
	s_delay_alu instid0(VALU_DEP_1)
	v_cmp_lt_u32_e32 vcc_lo, 6, v116
	v_mov_b32_e32 v116, 7
	s_and_saveexec_b32 s1, vcc_lo
	s_cbranch_execz .LBB24_267
; %bb.264:
	v_and_b32_e32 v116, -8, v117
	s_mov_b32 s6, 0
	s_mov_b64 s[2:3], 14
	s_movk_i32 s7, 0x8c
	s_delay_alu instid0(VALU_DEP_1)
	v_sub_nc_u32_e32 v118, 0, v116
.LBB24_265:                             ; =>This Inner Loop Header: Depth=1
	s_add_co_i32 m0, s2, -7
	v_movrels_b32_e32 v121, v34
	v_mov_b32_e32 v116, s7
	s_add_co_i32 m0, s2, -6
	s_add_co_i32 s7, s7, 32
	v_movrels_b32_e32 v130, v34
	ds_load_2addr_b32 v[122:123], v116 offset1:1
	ds_load_2addr_b32 v[124:125], v116 offset0:2 offset1:3
	s_add_co_i32 m0, s2, -5
	s_wait_dscnt 0x1
	v_fmac_f32_e32 v120, v121, v122
	ds_load_2addr_b32 v[126:127], v116 offset0:4 offset1:5
	ds_load_2addr_b32 v[128:129], v116 offset0:6 offset1:7
	v_movrels_b32_e32 v116, v34
	s_add_co_i32 m0, s2, -4
	v_fmac_f32_e32 v120, v130, v123
	v_movrels_b32_e32 v121, v34
	s_add_co_i32 m0, s2, -3
	s_wait_dscnt 0x2
	s_delay_alu instid0(VALU_DEP_2) | instskip(SKIP_2) | instid1(VALU_DEP_2)
	v_fmac_f32_e32 v120, v116, v124
	v_movrels_b32_e32 v116, v34
	s_add_co_i32 m0, s2, -2
	v_fmac_f32_e32 v120, v121, v125
	v_movrels_b32_e32 v121, v34
	s_add_co_i32 m0, s2, -1
	s_wait_dscnt 0x1
	s_delay_alu instid0(VALU_DEP_2)
	v_fmac_f32_e32 v120, v116, v126
	v_movrels_b32_e32 v116, v34
	s_mov_b32 m0, s2
	s_add_nc_u64 s[2:3], s[2:3], 8
	v_movrels_b32_e32 v122, v34
	v_dual_fmac_f32 v120, v121, v127 :: v_dual_add_nc_u32 v121, s2, v118
	s_add_co_i32 s8, s2, -7
	s_wait_dscnt 0x0
	s_delay_alu instid0(VALU_DEP_1) | instskip(NEXT) | instid1(VALU_DEP_2)
	v_fmac_f32_e32 v120, v116, v128
	v_cmp_eq_u32_e32 vcc_lo, 14, v121
	s_delay_alu instid0(VALU_DEP_2) | instskip(SKIP_1) | instid1(SALU_CYCLE_1)
	v_dual_mov_b32 v116, s8 :: v_dual_fmac_f32 v120, v122, v129
	s_or_b32 s6, vcc_lo, s6
	s_and_not1_b32 exec_lo, exec_lo, s6
	s_cbranch_execnz .LBB24_265
; %bb.266:
	s_or_b32 exec_lo, exec_lo, s6
.LBB24_267:
	s_delay_alu instid0(SALU_CYCLE_1) | instskip(SKIP_3) | instid1(VALU_DEP_1)
	s_or_b32 exec_lo, exec_lo, s1
	v_and_b32_e32 v59, 7, v117
	s_mov_b32 s2, 0
	s_mov_b32 s1, exec_lo
	v_cmpx_ne_u32_e32 0, v59
	s_cbranch_execz .LBB24_271
; %bb.268:
	v_lshl_add_u32 v60, v116, 2, 0x70
	v_mov_b32_e32 v117, 0
.LBB24_269:                             ; =>This Inner Loop Header: Depth=1
	v_cmp_eq_u32_e32 vcc_lo, 1, v116
	ds_load_b32 v62, v60
	v_dual_add_nc_u32 v60, 4, v60 :: v_dual_add_nc_u32 v59, -1, v59
	v_cndmask_b32_e32 v61, v34, v35, vcc_lo
	v_cmp_eq_u32_e32 vcc_lo, 2, v116
	s_delay_alu instid0(VALU_DEP_2) | instskip(SKIP_1) | instid1(VALU_DEP_2)
	v_cndmask_b32_e32 v61, v61, v36, vcc_lo
	v_cmp_eq_u32_e32 vcc_lo, 3, v116
	v_cndmask_b32_e32 v61, v61, v37, vcc_lo
	v_cmp_eq_u32_e32 vcc_lo, 4, v116
	s_delay_alu instid0(VALU_DEP_2) | instskip(SKIP_1) | instid1(VALU_DEP_2)
	v_cndmask_b32_e32 v61, v61, v38, vcc_lo
	v_cmp_eq_u32_e32 vcc_lo, 5, v116
	;; [unrolled: 5-line block ×11, first 2 shown]
	v_cndmask_b32_e32 v61, v61, v57, vcc_lo
	v_cmp_eq_u32_e32 vcc_lo, 24, v116
	v_add_nc_u64_e32 v[116:117], 1, v[116:117]
	s_delay_alu instid0(VALU_DEP_3) | instskip(SKIP_2) | instid1(VALU_DEP_2)
	v_cndmask_b32_e32 v61, v61, v58, vcc_lo
	v_cmp_eq_u32_e32 vcc_lo, 0, v59
	s_wait_dscnt 0x0
	v_fmac_f32_e32 v120, v61, v62
	s_or_b32 s2, vcc_lo, s2
	s_delay_alu instid0(SALU_CYCLE_1)
	s_and_not1_b32 exec_lo, exec_lo, s2
	s_cbranch_execnz .LBB24_269
; %bb.270:
	s_or_b32 exec_lo, exec_lo, s2
.LBB24_271:
	s_delay_alu instid0(SALU_CYCLE_1)
	s_or_b32 exec_lo, exec_lo, s1
.LBB24_272:
	s_delay_alu instid0(SALU_CYCLE_1)
	s_or_b32 exec_lo, exec_lo, s5
	v_mov_b32_e32 v40, 0
	ds_load_b32 v40, v40 offset:24
	s_wait_dscnt 0x0
	v_mul_f32_e32 v40, v120, v40
.LBB24_273:
	s_or_b32 exec_lo, exec_lo, s4
	v_cmp_lt_u32_e64 s1, 5, v0
	ds_store_b32 v119, v39
	s_wait_dscnt 0x0
	s_barrier_signal -1
	s_barrier_wait -1
	s_and_saveexec_b32 s4, s1
	s_cbranch_execz .LBB24_289
; %bb.274:
	s_and_not1_b32 vcc_lo, exec_lo, s25
	s_cbranch_vccnz .LBB24_276
; %bb.275:
	v_cmp_eq_u32_e32 vcc_lo, 1, v0
	ds_load_b32 v117, v119
	v_cndmask_b32_e32 v116, v34, v35, vcc_lo
	v_cmp_eq_u32_e32 vcc_lo, 2, v0
	s_delay_alu instid0(VALU_DEP_2) | instskip(SKIP_1) | instid1(VALU_DEP_2)
	v_cndmask_b32_e32 v116, v116, v36, vcc_lo
	v_cmp_eq_u32_e32 vcc_lo, 3, v0
	v_cndmask_b32_e32 v116, v116, v37, vcc_lo
	v_cmp_eq_u32_e32 vcc_lo, 4, v0
	s_delay_alu instid0(VALU_DEP_2) | instskip(SKIP_1) | instid1(VALU_DEP_2)
	v_cndmask_b32_e32 v116, v116, v38, vcc_lo
	v_cmp_eq_u32_e32 vcc_lo, 5, v0
	;; [unrolled: 5-line block ×11, first 2 shown]
	v_cndmask_b32_e32 v116, v116, v57, vcc_lo
	v_cmp_eq_u32_e32 vcc_lo, 24, v0
	s_delay_alu instid0(VALU_DEP_2) | instskip(SKIP_1) | instid1(VALU_DEP_1)
	v_cndmask_b32_e32 v116, v116, v58, vcc_lo
	s_wait_dscnt 0x0
	v_mul_f32_e32 v120, v116, v117
	s_cbranch_execz .LBB24_277
	s_branch .LBB24_278
.LBB24_276:
                                        ; implicit-def: $vgpr120
.LBB24_277:
	ds_load_b32 v120, v119
.LBB24_278:
	s_and_saveexec_b32 s5, s0
	s_cbranch_execz .LBB24_288
; %bb.279:
	v_dual_add_nc_u32 v118, -7, v0 :: v_dual_add_nc_u32 v117, -6, v0
	v_mov_b32_e32 v116, 6
	s_mov_b32 s0, exec_lo
	s_delay_alu instid0(VALU_DEP_2)
	v_cmpx_lt_u32_e32 6, v118
	s_cbranch_execz .LBB24_283
; %bb.280:
	v_and_b32_e32 v116, -8, v117
	s_mov_b32 s6, 0
	s_mov_b64 s[2:3], 13
	s_movk_i32 s7, 0x88
	s_delay_alu instid0(VALU_DEP_1)
	v_sub_nc_u32_e32 v118, 0, v116
.LBB24_281:                             ; =>This Inner Loop Header: Depth=1
	s_add_co_i32 m0, s2, -7
	v_movrels_b32_e32 v121, v34
	v_mov_b32_e32 v116, s7
	s_add_co_i32 m0, s2, -6
	s_add_co_i32 s7, s7, 32
	v_movrels_b32_e32 v130, v34
	s_add_co_i32 m0, s2, -5
	ds_load_2addr_b64 v[122:125], v116 offset1:1
	ds_load_2addr_b64 v[126:129], v116 offset0:2 offset1:3
	v_movrels_b32_e32 v116, v34
	s_add_co_i32 m0, s2, -4
	s_wait_dscnt 0x1
	v_fmac_f32_e32 v120, v121, v122
	v_movrels_b32_e32 v121, v34
	s_add_co_i32 m0, s2, -3
	s_delay_alu instid0(VALU_DEP_2) | instskip(NEXT) | instid1(VALU_DEP_1)
	v_fmac_f32_e32 v120, v130, v123
	v_fmac_f32_e32 v120, v116, v124
	v_movrels_b32_e32 v116, v34
	s_add_co_i32 m0, s2, -2
	s_delay_alu instid0(VALU_DEP_2) | instskip(SKIP_3) | instid1(VALU_DEP_2)
	v_fmac_f32_e32 v120, v121, v125
	v_movrels_b32_e32 v121, v34
	s_add_co_i32 m0, s2, -1
	s_wait_dscnt 0x0
	v_fmac_f32_e32 v120, v116, v126
	v_movrels_b32_e32 v116, v34
	s_mov_b32 m0, s2
	s_add_nc_u64 s[2:3], s[2:3], 8
	v_movrels_b32_e32 v122, v34
	v_dual_fmac_f32 v120, v121, v127 :: v_dual_add_nc_u32 v121, s2, v118
	s_add_co_i32 s8, s2, -7
	s_delay_alu instid0(VALU_DEP_1) | instskip(NEXT) | instid1(VALU_DEP_2)
	v_fmac_f32_e32 v120, v116, v128
	v_cmp_eq_u32_e32 vcc_lo, 13, v121
	s_delay_alu instid0(VALU_DEP_2) | instskip(SKIP_1) | instid1(SALU_CYCLE_1)
	v_dual_mov_b32 v116, s8 :: v_dual_fmac_f32 v120, v122, v129
	s_or_b32 s6, vcc_lo, s6
	s_and_not1_b32 exec_lo, exec_lo, s6
	s_cbranch_execnz .LBB24_281
; %bb.282:
	s_or_b32 exec_lo, exec_lo, s6
.LBB24_283:
	s_delay_alu instid0(SALU_CYCLE_1) | instskip(SKIP_3) | instid1(VALU_DEP_1)
	s_or_b32 exec_lo, exec_lo, s0
	v_and_b32_e32 v59, 7, v117
	s_mov_b32 s2, 0
	s_mov_b32 s0, exec_lo
	v_cmpx_ne_u32_e32 0, v59
	s_cbranch_execz .LBB24_287
; %bb.284:
	v_lshl_add_u32 v60, v116, 2, 0x70
	v_mov_b32_e32 v117, 0
.LBB24_285:                             ; =>This Inner Loop Header: Depth=1
	v_cmp_eq_u32_e32 vcc_lo, 1, v116
	ds_load_b32 v62, v60
	v_dual_add_nc_u32 v60, 4, v60 :: v_dual_add_nc_u32 v59, -1, v59
	v_cndmask_b32_e32 v61, v34, v35, vcc_lo
	v_cmp_eq_u32_e32 vcc_lo, 2, v116
	s_delay_alu instid0(VALU_DEP_2) | instskip(SKIP_1) | instid1(VALU_DEP_2)
	v_cndmask_b32_e32 v61, v61, v36, vcc_lo
	v_cmp_eq_u32_e32 vcc_lo, 3, v116
	v_cndmask_b32_e32 v61, v61, v37, vcc_lo
	v_cmp_eq_u32_e32 vcc_lo, 4, v116
	s_delay_alu instid0(VALU_DEP_2) | instskip(SKIP_1) | instid1(VALU_DEP_2)
	v_cndmask_b32_e32 v61, v61, v38, vcc_lo
	v_cmp_eq_u32_e32 vcc_lo, 5, v116
	;; [unrolled: 5-line block ×11, first 2 shown]
	v_cndmask_b32_e32 v61, v61, v57, vcc_lo
	v_cmp_eq_u32_e32 vcc_lo, 24, v116
	v_add_nc_u64_e32 v[116:117], 1, v[116:117]
	s_delay_alu instid0(VALU_DEP_3) | instskip(SKIP_2) | instid1(VALU_DEP_2)
	v_cndmask_b32_e32 v61, v61, v58, vcc_lo
	v_cmp_eq_u32_e32 vcc_lo, 0, v59
	s_wait_dscnt 0x0
	v_fmac_f32_e32 v120, v61, v62
	s_or_b32 s2, vcc_lo, s2
	s_delay_alu instid0(SALU_CYCLE_1)
	s_and_not1_b32 exec_lo, exec_lo, s2
	s_cbranch_execnz .LBB24_285
; %bb.286:
	s_or_b32 exec_lo, exec_lo, s2
.LBB24_287:
	s_delay_alu instid0(SALU_CYCLE_1)
	s_or_b32 exec_lo, exec_lo, s0
.LBB24_288:
	s_delay_alu instid0(SALU_CYCLE_1)
	s_or_b32 exec_lo, exec_lo, s5
	v_mov_b32_e32 v39, 0
	ds_load_b32 v39, v39 offset:20
	s_wait_dscnt 0x0
	v_mul_f32_e32 v39, v120, v39
.LBB24_289:
	s_or_b32 exec_lo, exec_lo, s4
	v_cmp_lt_u32_e64 s0, 4, v0
	ds_store_b32 v119, v38
	s_wait_dscnt 0x0
	s_barrier_signal -1
	s_barrier_wait -1
	s_and_saveexec_b32 s4, s0
	s_cbranch_execz .LBB24_305
; %bb.290:
	s_and_not1_b32 vcc_lo, exec_lo, s25
	s_cbranch_vccnz .LBB24_292
; %bb.291:
	v_cmp_eq_u32_e32 vcc_lo, 1, v0
	ds_load_b32 v117, v119
	v_cndmask_b32_e32 v116, v34, v35, vcc_lo
	v_cmp_eq_u32_e32 vcc_lo, 2, v0
	s_delay_alu instid0(VALU_DEP_2) | instskip(SKIP_1) | instid1(VALU_DEP_2)
	v_cndmask_b32_e32 v116, v116, v36, vcc_lo
	v_cmp_eq_u32_e32 vcc_lo, 3, v0
	v_cndmask_b32_e32 v116, v116, v37, vcc_lo
	v_cmp_eq_u32_e32 vcc_lo, 4, v0
	s_delay_alu instid0(VALU_DEP_2) | instskip(SKIP_1) | instid1(VALU_DEP_2)
	v_cndmask_b32_e32 v116, v116, v38, vcc_lo
	v_cmp_eq_u32_e32 vcc_lo, 5, v0
	v_cndmask_b32_e32 v116, v116, v39, vcc_lo
	v_cmp_eq_u32_e32 vcc_lo, 6, v0
	s_delay_alu instid0(VALU_DEP_2) | instskip(SKIP_1) | instid1(VALU_DEP_2)
	v_cndmask_b32_e32 v116, v116, v40, vcc_lo
	v_cmp_eq_u32_e32 vcc_lo, 7, v0
	v_cndmask_b32_e32 v116, v116, v41, vcc_lo
	v_cmp_eq_u32_e32 vcc_lo, 8, v0
	s_delay_alu instid0(VALU_DEP_2) | instskip(SKIP_1) | instid1(VALU_DEP_2)
	v_cndmask_b32_e32 v116, v116, v42, vcc_lo
	v_cmp_eq_u32_e32 vcc_lo, 9, v0
	v_cndmask_b32_e32 v116, v116, v43, vcc_lo
	v_cmp_eq_u32_e32 vcc_lo, 10, v0
	s_delay_alu instid0(VALU_DEP_2) | instskip(SKIP_1) | instid1(VALU_DEP_2)
	v_cndmask_b32_e32 v116, v116, v44, vcc_lo
	v_cmp_eq_u32_e32 vcc_lo, 11, v0
	v_cndmask_b32_e32 v116, v116, v45, vcc_lo
	v_cmp_eq_u32_e32 vcc_lo, 12, v0
	s_delay_alu instid0(VALU_DEP_2) | instskip(SKIP_1) | instid1(VALU_DEP_2)
	v_cndmask_b32_e32 v116, v116, v46, vcc_lo
	v_cmp_eq_u32_e32 vcc_lo, 13, v0
	v_cndmask_b32_e32 v116, v116, v47, vcc_lo
	v_cmp_eq_u32_e32 vcc_lo, 14, v0
	s_delay_alu instid0(VALU_DEP_2) | instskip(SKIP_1) | instid1(VALU_DEP_2)
	v_cndmask_b32_e32 v116, v116, v48, vcc_lo
	v_cmp_eq_u32_e32 vcc_lo, 15, v0
	v_cndmask_b32_e32 v116, v116, v49, vcc_lo
	v_cmp_eq_u32_e32 vcc_lo, 16, v0
	s_delay_alu instid0(VALU_DEP_2) | instskip(SKIP_1) | instid1(VALU_DEP_2)
	v_cndmask_b32_e32 v116, v116, v50, vcc_lo
	v_cmp_eq_u32_e32 vcc_lo, 17, v0
	v_cndmask_b32_e32 v116, v116, v51, vcc_lo
	v_cmp_eq_u32_e32 vcc_lo, 18, v0
	s_delay_alu instid0(VALU_DEP_2) | instskip(SKIP_1) | instid1(VALU_DEP_2)
	v_cndmask_b32_e32 v116, v116, v52, vcc_lo
	v_cmp_eq_u32_e32 vcc_lo, 19, v0
	v_cndmask_b32_e32 v116, v116, v53, vcc_lo
	v_cmp_eq_u32_e32 vcc_lo, 20, v0
	s_delay_alu instid0(VALU_DEP_2) | instskip(SKIP_1) | instid1(VALU_DEP_2)
	v_cndmask_b32_e32 v116, v116, v54, vcc_lo
	v_cmp_eq_u32_e32 vcc_lo, 21, v0
	v_cndmask_b32_e32 v116, v116, v55, vcc_lo
	v_cmp_eq_u32_e32 vcc_lo, 22, v0
	s_delay_alu instid0(VALU_DEP_2) | instskip(SKIP_1) | instid1(VALU_DEP_2)
	v_cndmask_b32_e32 v116, v116, v56, vcc_lo
	v_cmp_eq_u32_e32 vcc_lo, 23, v0
	v_cndmask_b32_e32 v116, v116, v57, vcc_lo
	v_cmp_eq_u32_e32 vcc_lo, 24, v0
	s_delay_alu instid0(VALU_DEP_2) | instskip(SKIP_1) | instid1(VALU_DEP_1)
	v_cndmask_b32_e32 v116, v116, v58, vcc_lo
	s_wait_dscnt 0x0
	v_mul_f32_e32 v120, v116, v117
	s_cbranch_execz .LBB24_293
	s_branch .LBB24_294
.LBB24_292:
                                        ; implicit-def: $vgpr120
.LBB24_293:
	ds_load_b32 v120, v119
.LBB24_294:
	s_and_saveexec_b32 s5, s1
	s_cbranch_execz .LBB24_304
; %bb.295:
	v_dual_add_nc_u32 v116, -6, v0 :: v_dual_add_nc_u32 v117, -5, v0
	s_delay_alu instid0(VALU_DEP_1)
	v_cmp_lt_u32_e32 vcc_lo, 6, v116
	v_mov_b32_e32 v116, 5
	s_and_saveexec_b32 s1, vcc_lo
	s_cbranch_execz .LBB24_299
; %bb.296:
	v_and_b32_e32 v116, -8, v117
	s_mov_b32 s6, 0
	s_mov_b64 s[2:3], 12
	s_movk_i32 s7, 0x84
	s_delay_alu instid0(VALU_DEP_1)
	v_sub_nc_u32_e32 v118, 0, v116
.LBB24_297:                             ; =>This Inner Loop Header: Depth=1
	s_add_co_i32 m0, s2, -7
	v_movrels_b32_e32 v121, v34
	v_mov_b32_e32 v116, s7
	s_add_co_i32 m0, s2, -6
	s_add_co_i32 s7, s7, 32
	v_movrels_b32_e32 v130, v34
	ds_load_2addr_b32 v[122:123], v116 offset1:1
	ds_load_2addr_b32 v[124:125], v116 offset0:2 offset1:3
	s_add_co_i32 m0, s2, -5
	s_wait_dscnt 0x1
	v_fmac_f32_e32 v120, v121, v122
	ds_load_2addr_b32 v[126:127], v116 offset0:4 offset1:5
	ds_load_2addr_b32 v[128:129], v116 offset0:6 offset1:7
	v_movrels_b32_e32 v116, v34
	s_add_co_i32 m0, s2, -4
	v_fmac_f32_e32 v120, v130, v123
	v_movrels_b32_e32 v121, v34
	s_add_co_i32 m0, s2, -3
	s_wait_dscnt 0x2
	s_delay_alu instid0(VALU_DEP_2) | instskip(SKIP_2) | instid1(VALU_DEP_2)
	v_fmac_f32_e32 v120, v116, v124
	v_movrels_b32_e32 v116, v34
	s_add_co_i32 m0, s2, -2
	v_fmac_f32_e32 v120, v121, v125
	v_movrels_b32_e32 v121, v34
	s_add_co_i32 m0, s2, -1
	s_wait_dscnt 0x1
	s_delay_alu instid0(VALU_DEP_2)
	v_fmac_f32_e32 v120, v116, v126
	v_movrels_b32_e32 v116, v34
	s_mov_b32 m0, s2
	s_add_nc_u64 s[2:3], s[2:3], 8
	v_movrels_b32_e32 v122, v34
	v_dual_fmac_f32 v120, v121, v127 :: v_dual_add_nc_u32 v121, s2, v118
	s_add_co_i32 s8, s2, -7
	s_wait_dscnt 0x0
	s_delay_alu instid0(VALU_DEP_1) | instskip(NEXT) | instid1(VALU_DEP_2)
	v_fmac_f32_e32 v120, v116, v128
	v_cmp_eq_u32_e32 vcc_lo, 12, v121
	s_delay_alu instid0(VALU_DEP_2) | instskip(SKIP_1) | instid1(SALU_CYCLE_1)
	v_dual_mov_b32 v116, s8 :: v_dual_fmac_f32 v120, v122, v129
	s_or_b32 s6, vcc_lo, s6
	s_and_not1_b32 exec_lo, exec_lo, s6
	s_cbranch_execnz .LBB24_297
; %bb.298:
	s_or_b32 exec_lo, exec_lo, s6
.LBB24_299:
	s_delay_alu instid0(SALU_CYCLE_1) | instskip(SKIP_3) | instid1(VALU_DEP_1)
	s_or_b32 exec_lo, exec_lo, s1
	v_and_b32_e32 v59, 7, v117
	s_mov_b32 s2, 0
	s_mov_b32 s1, exec_lo
	v_cmpx_ne_u32_e32 0, v59
	s_cbranch_execz .LBB24_303
; %bb.300:
	v_lshl_add_u32 v60, v116, 2, 0x70
	v_mov_b32_e32 v117, 0
.LBB24_301:                             ; =>This Inner Loop Header: Depth=1
	v_cmp_eq_u32_e32 vcc_lo, 1, v116
	ds_load_b32 v62, v60
	v_dual_add_nc_u32 v60, 4, v60 :: v_dual_add_nc_u32 v59, -1, v59
	v_cndmask_b32_e32 v61, v34, v35, vcc_lo
	v_cmp_eq_u32_e32 vcc_lo, 2, v116
	s_delay_alu instid0(VALU_DEP_2) | instskip(SKIP_1) | instid1(VALU_DEP_2)
	v_cndmask_b32_e32 v61, v61, v36, vcc_lo
	v_cmp_eq_u32_e32 vcc_lo, 3, v116
	v_cndmask_b32_e32 v61, v61, v37, vcc_lo
	v_cmp_eq_u32_e32 vcc_lo, 4, v116
	s_delay_alu instid0(VALU_DEP_2) | instskip(SKIP_1) | instid1(VALU_DEP_2)
	v_cndmask_b32_e32 v61, v61, v38, vcc_lo
	v_cmp_eq_u32_e32 vcc_lo, 5, v116
	;; [unrolled: 5-line block ×11, first 2 shown]
	v_cndmask_b32_e32 v61, v61, v57, vcc_lo
	v_cmp_eq_u32_e32 vcc_lo, 24, v116
	v_add_nc_u64_e32 v[116:117], 1, v[116:117]
	s_delay_alu instid0(VALU_DEP_3) | instskip(SKIP_2) | instid1(VALU_DEP_2)
	v_cndmask_b32_e32 v61, v61, v58, vcc_lo
	v_cmp_eq_u32_e32 vcc_lo, 0, v59
	s_wait_dscnt 0x0
	v_fmac_f32_e32 v120, v61, v62
	s_or_b32 s2, vcc_lo, s2
	s_delay_alu instid0(SALU_CYCLE_1)
	s_and_not1_b32 exec_lo, exec_lo, s2
	s_cbranch_execnz .LBB24_301
; %bb.302:
	s_or_b32 exec_lo, exec_lo, s2
.LBB24_303:
	s_delay_alu instid0(SALU_CYCLE_1)
	s_or_b32 exec_lo, exec_lo, s1
.LBB24_304:
	s_delay_alu instid0(SALU_CYCLE_1)
	s_or_b32 exec_lo, exec_lo, s5
	v_mov_b32_e32 v38, 0
	ds_load_b32 v38, v38 offset:16
	s_wait_dscnt 0x0
	v_mul_f32_e32 v38, v120, v38
.LBB24_305:
	s_or_b32 exec_lo, exec_lo, s4
	v_cmp_lt_u32_e64 s1, 3, v0
	ds_store_b32 v119, v37
	s_wait_dscnt 0x0
	s_barrier_signal -1
	s_barrier_wait -1
	s_and_saveexec_b32 s4, s1
	s_cbranch_execz .LBB24_321
; %bb.306:
	s_and_not1_b32 vcc_lo, exec_lo, s25
	s_cbranch_vccnz .LBB24_308
; %bb.307:
	v_cmp_eq_u32_e32 vcc_lo, 1, v0
	ds_load_b32 v117, v119
	v_cndmask_b32_e32 v116, v34, v35, vcc_lo
	v_cmp_eq_u32_e32 vcc_lo, 2, v0
	s_delay_alu instid0(VALU_DEP_2) | instskip(SKIP_1) | instid1(VALU_DEP_2)
	v_cndmask_b32_e32 v116, v116, v36, vcc_lo
	v_cmp_eq_u32_e32 vcc_lo, 3, v0
	v_cndmask_b32_e32 v116, v116, v37, vcc_lo
	v_cmp_eq_u32_e32 vcc_lo, 4, v0
	s_delay_alu instid0(VALU_DEP_2) | instskip(SKIP_1) | instid1(VALU_DEP_2)
	v_cndmask_b32_e32 v116, v116, v38, vcc_lo
	v_cmp_eq_u32_e32 vcc_lo, 5, v0
	;; [unrolled: 5-line block ×11, first 2 shown]
	v_cndmask_b32_e32 v116, v116, v57, vcc_lo
	v_cmp_eq_u32_e32 vcc_lo, 24, v0
	s_delay_alu instid0(VALU_DEP_2) | instskip(SKIP_1) | instid1(VALU_DEP_1)
	v_cndmask_b32_e32 v116, v116, v58, vcc_lo
	s_wait_dscnt 0x0
	v_mul_f32_e32 v120, v116, v117
	s_cbranch_execz .LBB24_309
	s_branch .LBB24_310
.LBB24_308:
                                        ; implicit-def: $vgpr120
.LBB24_309:
	ds_load_b32 v120, v119
.LBB24_310:
	s_and_saveexec_b32 s5, s0
	s_cbranch_execz .LBB24_320
; %bb.311:
	v_dual_add_nc_u32 v116, -5, v0 :: v_dual_add_nc_u32 v117, -4, v0
	s_delay_alu instid0(VALU_DEP_1)
	v_cmp_lt_u32_e32 vcc_lo, 6, v116
	v_mov_b32_e32 v116, 4
	s_and_saveexec_b32 s0, vcc_lo
	s_cbranch_execz .LBB24_315
; %bb.312:
	v_and_b32_e32 v116, -8, v117
	s_mov_b32 s6, 0
	s_mov_b64 s[2:3], 5
	s_movk_i32 s7, 0x80
	s_delay_alu instid0(VALU_DEP_1)
	v_sub_nc_u32_e32 v118, 0, v116
.LBB24_313:                             ; =>This Inner Loop Header: Depth=1
	s_add_co_i32 m0, s2, -1
	v_movrels_b32_e32 v121, v34
	v_mov_b32_e32 v116, s7
	s_mov_b32 m0, s2
	s_add_co_i32 s7, s7, 32
	v_movrels_b32_e32 v130, v34
	s_add_co_i32 m0, s2, 1
	ds_load_b128 v[122:125], v116
	ds_load_b128 v[126:129], v116 offset:16
	v_movrels_b32_e32 v116, v34
	s_add_co_i32 m0, s2, 2
	s_wait_dscnt 0x1
	v_fmac_f32_e32 v120, v121, v122
	v_movrels_b32_e32 v121, v34
	s_add_co_i32 m0, s2, 3
	s_delay_alu instid0(VALU_DEP_2) | instskip(NEXT) | instid1(VALU_DEP_1)
	v_fmac_f32_e32 v120, v130, v123
	v_fmac_f32_e32 v120, v116, v124
	v_movrels_b32_e32 v116, v34
	s_add_co_i32 m0, s2, 4
	s_delay_alu instid0(VALU_DEP_2) | instskip(SKIP_3) | instid1(VALU_DEP_2)
	v_fmac_f32_e32 v120, v121, v125
	v_movrels_b32_e32 v121, v34
	s_add_co_i32 m0, s2, 5
	s_wait_dscnt 0x0
	v_fmac_f32_e32 v120, v116, v126
	v_movrels_b32_e32 v116, v34
	s_add_co_i32 m0, s2, 6
	s_add_nc_u64 s[2:3], s[2:3], 8
	v_movrels_b32_e32 v122, v34
	v_dual_fmac_f32 v120, v121, v127 :: v_dual_add_nc_u32 v121, s2, v118
	s_add_co_i32 s8, s2, -1
	s_delay_alu instid0(VALU_DEP_1) | instskip(NEXT) | instid1(VALU_DEP_2)
	v_fmac_f32_e32 v120, v116, v128
	v_cmp_eq_u32_e32 vcc_lo, 5, v121
	s_delay_alu instid0(VALU_DEP_2) | instskip(SKIP_1) | instid1(SALU_CYCLE_1)
	v_dual_mov_b32 v116, s8 :: v_dual_fmac_f32 v120, v122, v129
	s_or_b32 s6, vcc_lo, s6
	s_and_not1_b32 exec_lo, exec_lo, s6
	s_cbranch_execnz .LBB24_313
; %bb.314:
	s_or_b32 exec_lo, exec_lo, s6
.LBB24_315:
	s_delay_alu instid0(SALU_CYCLE_1) | instskip(SKIP_3) | instid1(VALU_DEP_1)
	s_or_b32 exec_lo, exec_lo, s0
	v_and_b32_e32 v59, 7, v117
	s_mov_b32 s2, 0
	s_mov_b32 s0, exec_lo
	v_cmpx_ne_u32_e32 0, v59
	s_cbranch_execz .LBB24_319
; %bb.316:
	v_lshl_add_u32 v60, v116, 2, 0x70
	v_mov_b32_e32 v117, 0
.LBB24_317:                             ; =>This Inner Loop Header: Depth=1
	v_cmp_eq_u32_e32 vcc_lo, 1, v116
	ds_load_b32 v62, v60
	v_dual_add_nc_u32 v60, 4, v60 :: v_dual_add_nc_u32 v59, -1, v59
	v_cndmask_b32_e32 v61, v34, v35, vcc_lo
	v_cmp_eq_u32_e32 vcc_lo, 2, v116
	s_delay_alu instid0(VALU_DEP_2) | instskip(SKIP_1) | instid1(VALU_DEP_2)
	v_cndmask_b32_e32 v61, v61, v36, vcc_lo
	v_cmp_eq_u32_e32 vcc_lo, 3, v116
	v_cndmask_b32_e32 v61, v61, v37, vcc_lo
	v_cmp_eq_u32_e32 vcc_lo, 4, v116
	s_delay_alu instid0(VALU_DEP_2) | instskip(SKIP_1) | instid1(VALU_DEP_2)
	v_cndmask_b32_e32 v61, v61, v38, vcc_lo
	v_cmp_eq_u32_e32 vcc_lo, 5, v116
	;; [unrolled: 5-line block ×11, first 2 shown]
	v_cndmask_b32_e32 v61, v61, v57, vcc_lo
	v_cmp_eq_u32_e32 vcc_lo, 24, v116
	v_add_nc_u64_e32 v[116:117], 1, v[116:117]
	s_delay_alu instid0(VALU_DEP_3) | instskip(SKIP_2) | instid1(VALU_DEP_2)
	v_cndmask_b32_e32 v61, v61, v58, vcc_lo
	v_cmp_eq_u32_e32 vcc_lo, 0, v59
	s_wait_dscnt 0x0
	v_fmac_f32_e32 v120, v61, v62
	s_or_b32 s2, vcc_lo, s2
	s_delay_alu instid0(SALU_CYCLE_1)
	s_and_not1_b32 exec_lo, exec_lo, s2
	s_cbranch_execnz .LBB24_317
; %bb.318:
	s_or_b32 exec_lo, exec_lo, s2
.LBB24_319:
	s_delay_alu instid0(SALU_CYCLE_1)
	s_or_b32 exec_lo, exec_lo, s0
.LBB24_320:
	s_delay_alu instid0(SALU_CYCLE_1)
	s_or_b32 exec_lo, exec_lo, s5
	v_mov_b32_e32 v37, 0
	ds_load_b32 v37, v37 offset:12
	s_wait_dscnt 0x0
	v_mul_f32_e32 v37, v120, v37
.LBB24_321:
	s_or_b32 exec_lo, exec_lo, s4
	v_cmp_lt_u32_e64 s0, 2, v0
	ds_store_b32 v119, v36
	s_wait_dscnt 0x0
	s_barrier_signal -1
	s_barrier_wait -1
	s_and_saveexec_b32 s4, s0
	s_cbranch_execz .LBB24_337
; %bb.322:
	s_and_not1_b32 vcc_lo, exec_lo, s25
	s_cbranch_vccnz .LBB24_324
; %bb.323:
	v_cmp_eq_u32_e32 vcc_lo, 1, v0
	ds_load_b32 v117, v119
	v_cndmask_b32_e32 v116, v34, v35, vcc_lo
	v_cmp_eq_u32_e32 vcc_lo, 2, v0
	s_delay_alu instid0(VALU_DEP_2) | instskip(SKIP_1) | instid1(VALU_DEP_2)
	v_cndmask_b32_e32 v116, v116, v36, vcc_lo
	v_cmp_eq_u32_e32 vcc_lo, 3, v0
	v_cndmask_b32_e32 v116, v116, v37, vcc_lo
	v_cmp_eq_u32_e32 vcc_lo, 4, v0
	s_delay_alu instid0(VALU_DEP_2) | instskip(SKIP_1) | instid1(VALU_DEP_2)
	v_cndmask_b32_e32 v116, v116, v38, vcc_lo
	v_cmp_eq_u32_e32 vcc_lo, 5, v0
	;; [unrolled: 5-line block ×11, first 2 shown]
	v_cndmask_b32_e32 v116, v116, v57, vcc_lo
	v_cmp_eq_u32_e32 vcc_lo, 24, v0
	s_delay_alu instid0(VALU_DEP_2) | instskip(SKIP_1) | instid1(VALU_DEP_1)
	v_cndmask_b32_e32 v116, v116, v58, vcc_lo
	s_wait_dscnt 0x0
	v_mul_f32_e32 v120, v116, v117
	s_cbranch_execz .LBB24_325
	s_branch .LBB24_326
.LBB24_324:
                                        ; implicit-def: $vgpr120
.LBB24_325:
	ds_load_b32 v120, v119
.LBB24_326:
	s_and_saveexec_b32 s5, s1
	s_cbranch_execz .LBB24_336
; %bb.327:
	v_dual_add_nc_u32 v116, -4, v0 :: v_dual_add_nc_u32 v117, -3, v0
	s_delay_alu instid0(VALU_DEP_1)
	v_cmp_lt_u32_e32 vcc_lo, 6, v116
	v_mov_b32_e32 v116, 3
	s_and_saveexec_b32 s1, vcc_lo
	s_cbranch_execz .LBB24_331
; %bb.328:
	v_and_b32_e32 v116, -8, v117
	s_mov_b32 s6, 0
	s_mov_b64 s[2:3], 10
	s_movk_i32 s7, 0x7c
	s_delay_alu instid0(VALU_DEP_1)
	v_sub_nc_u32_e32 v118, 0, v116
.LBB24_329:                             ; =>This Inner Loop Header: Depth=1
	s_add_co_i32 m0, s2, -7
	v_movrels_b32_e32 v121, v34
	v_mov_b32_e32 v116, s7
	s_add_co_i32 m0, s2, -6
	s_add_co_i32 s7, s7, 32
	v_movrels_b32_e32 v130, v34
	ds_load_2addr_b32 v[122:123], v116 offset1:1
	ds_load_2addr_b32 v[124:125], v116 offset0:2 offset1:3
	s_add_co_i32 m0, s2, -5
	s_wait_dscnt 0x1
	v_fmac_f32_e32 v120, v121, v122
	ds_load_2addr_b32 v[126:127], v116 offset0:4 offset1:5
	ds_load_2addr_b32 v[128:129], v116 offset0:6 offset1:7
	v_movrels_b32_e32 v116, v34
	s_add_co_i32 m0, s2, -4
	v_fmac_f32_e32 v120, v130, v123
	v_movrels_b32_e32 v121, v34
	s_add_co_i32 m0, s2, -3
	s_wait_dscnt 0x2
	s_delay_alu instid0(VALU_DEP_2) | instskip(SKIP_2) | instid1(VALU_DEP_2)
	v_fmac_f32_e32 v120, v116, v124
	v_movrels_b32_e32 v116, v34
	s_add_co_i32 m0, s2, -2
	v_fmac_f32_e32 v120, v121, v125
	v_movrels_b32_e32 v121, v34
	s_add_co_i32 m0, s2, -1
	s_wait_dscnt 0x1
	s_delay_alu instid0(VALU_DEP_2)
	v_fmac_f32_e32 v120, v116, v126
	v_movrels_b32_e32 v116, v34
	s_mov_b32 m0, s2
	s_add_nc_u64 s[2:3], s[2:3], 8
	v_movrels_b32_e32 v122, v34
	v_dual_fmac_f32 v120, v121, v127 :: v_dual_add_nc_u32 v121, s2, v118
	s_add_co_i32 s8, s2, -7
	s_wait_dscnt 0x0
	s_delay_alu instid0(VALU_DEP_1) | instskip(NEXT) | instid1(VALU_DEP_2)
	v_fmac_f32_e32 v120, v116, v128
	v_cmp_eq_u32_e32 vcc_lo, 10, v121
	s_delay_alu instid0(VALU_DEP_2) | instskip(SKIP_1) | instid1(SALU_CYCLE_1)
	v_dual_mov_b32 v116, s8 :: v_dual_fmac_f32 v120, v122, v129
	s_or_b32 s6, vcc_lo, s6
	s_and_not1_b32 exec_lo, exec_lo, s6
	s_cbranch_execnz .LBB24_329
; %bb.330:
	s_or_b32 exec_lo, exec_lo, s6
.LBB24_331:
	s_delay_alu instid0(SALU_CYCLE_1) | instskip(SKIP_3) | instid1(VALU_DEP_1)
	s_or_b32 exec_lo, exec_lo, s1
	v_and_b32_e32 v59, 7, v117
	s_mov_b32 s2, 0
	s_mov_b32 s1, exec_lo
	v_cmpx_ne_u32_e32 0, v59
	s_cbranch_execz .LBB24_335
; %bb.332:
	v_lshl_add_u32 v60, v116, 2, 0x70
	v_mov_b32_e32 v117, 0
.LBB24_333:                             ; =>This Inner Loop Header: Depth=1
	v_cmp_eq_u32_e32 vcc_lo, 1, v116
	ds_load_b32 v62, v60
	v_dual_add_nc_u32 v60, 4, v60 :: v_dual_add_nc_u32 v59, -1, v59
	v_cndmask_b32_e32 v61, v34, v35, vcc_lo
	v_cmp_eq_u32_e32 vcc_lo, 2, v116
	s_delay_alu instid0(VALU_DEP_2) | instskip(SKIP_1) | instid1(VALU_DEP_2)
	v_cndmask_b32_e32 v61, v61, v36, vcc_lo
	v_cmp_eq_u32_e32 vcc_lo, 3, v116
	v_cndmask_b32_e32 v61, v61, v37, vcc_lo
	v_cmp_eq_u32_e32 vcc_lo, 4, v116
	s_delay_alu instid0(VALU_DEP_2) | instskip(SKIP_1) | instid1(VALU_DEP_2)
	v_cndmask_b32_e32 v61, v61, v38, vcc_lo
	v_cmp_eq_u32_e32 vcc_lo, 5, v116
	v_cndmask_b32_e32 v61, v61, v39, vcc_lo
	v_cmp_eq_u32_e32 vcc_lo, 6, v116
	s_delay_alu instid0(VALU_DEP_2) | instskip(SKIP_1) | instid1(VALU_DEP_2)
	v_cndmask_b32_e32 v61, v61, v40, vcc_lo
	v_cmp_eq_u32_e32 vcc_lo, 7, v116
	v_cndmask_b32_e32 v61, v61, v41, vcc_lo
	v_cmp_eq_u32_e32 vcc_lo, 8, v116
	s_delay_alu instid0(VALU_DEP_2) | instskip(SKIP_1) | instid1(VALU_DEP_2)
	v_cndmask_b32_e32 v61, v61, v42, vcc_lo
	v_cmp_eq_u32_e32 vcc_lo, 9, v116
	v_cndmask_b32_e32 v61, v61, v43, vcc_lo
	v_cmp_eq_u32_e32 vcc_lo, 10, v116
	s_delay_alu instid0(VALU_DEP_2) | instskip(SKIP_1) | instid1(VALU_DEP_2)
	v_cndmask_b32_e32 v61, v61, v44, vcc_lo
	v_cmp_eq_u32_e32 vcc_lo, 11, v116
	v_cndmask_b32_e32 v61, v61, v45, vcc_lo
	v_cmp_eq_u32_e32 vcc_lo, 12, v116
	s_delay_alu instid0(VALU_DEP_2) | instskip(SKIP_1) | instid1(VALU_DEP_2)
	v_cndmask_b32_e32 v61, v61, v46, vcc_lo
	v_cmp_eq_u32_e32 vcc_lo, 13, v116
	v_cndmask_b32_e32 v61, v61, v47, vcc_lo
	v_cmp_eq_u32_e32 vcc_lo, 14, v116
	s_delay_alu instid0(VALU_DEP_2) | instskip(SKIP_1) | instid1(VALU_DEP_2)
	v_cndmask_b32_e32 v61, v61, v48, vcc_lo
	v_cmp_eq_u32_e32 vcc_lo, 15, v116
	v_cndmask_b32_e32 v61, v61, v49, vcc_lo
	v_cmp_eq_u32_e32 vcc_lo, 16, v116
	s_delay_alu instid0(VALU_DEP_2) | instskip(SKIP_1) | instid1(VALU_DEP_2)
	v_cndmask_b32_e32 v61, v61, v50, vcc_lo
	v_cmp_eq_u32_e32 vcc_lo, 17, v116
	v_cndmask_b32_e32 v61, v61, v51, vcc_lo
	v_cmp_eq_u32_e32 vcc_lo, 18, v116
	s_delay_alu instid0(VALU_DEP_2) | instskip(SKIP_1) | instid1(VALU_DEP_2)
	v_cndmask_b32_e32 v61, v61, v52, vcc_lo
	v_cmp_eq_u32_e32 vcc_lo, 19, v116
	v_cndmask_b32_e32 v61, v61, v53, vcc_lo
	v_cmp_eq_u32_e32 vcc_lo, 20, v116
	s_delay_alu instid0(VALU_DEP_2) | instskip(SKIP_1) | instid1(VALU_DEP_2)
	v_cndmask_b32_e32 v61, v61, v54, vcc_lo
	v_cmp_eq_u32_e32 vcc_lo, 21, v116
	v_cndmask_b32_e32 v61, v61, v55, vcc_lo
	v_cmp_eq_u32_e32 vcc_lo, 22, v116
	s_delay_alu instid0(VALU_DEP_2) | instskip(SKIP_1) | instid1(VALU_DEP_2)
	v_cndmask_b32_e32 v61, v61, v56, vcc_lo
	v_cmp_eq_u32_e32 vcc_lo, 23, v116
	v_cndmask_b32_e32 v61, v61, v57, vcc_lo
	v_cmp_eq_u32_e32 vcc_lo, 24, v116
	v_add_nc_u64_e32 v[116:117], 1, v[116:117]
	s_delay_alu instid0(VALU_DEP_3) | instskip(SKIP_2) | instid1(VALU_DEP_2)
	v_cndmask_b32_e32 v61, v61, v58, vcc_lo
	v_cmp_eq_u32_e32 vcc_lo, 0, v59
	s_wait_dscnt 0x0
	v_fmac_f32_e32 v120, v61, v62
	s_or_b32 s2, vcc_lo, s2
	s_delay_alu instid0(SALU_CYCLE_1)
	s_and_not1_b32 exec_lo, exec_lo, s2
	s_cbranch_execnz .LBB24_333
; %bb.334:
	s_or_b32 exec_lo, exec_lo, s2
.LBB24_335:
	s_delay_alu instid0(SALU_CYCLE_1)
	s_or_b32 exec_lo, exec_lo, s1
.LBB24_336:
	s_delay_alu instid0(SALU_CYCLE_1)
	s_or_b32 exec_lo, exec_lo, s5
	v_mov_b32_e32 v36, 0
	ds_load_b32 v36, v36 offset:8
	s_wait_dscnt 0x0
	v_mul_f32_e32 v36, v120, v36
.LBB24_337:
	s_or_b32 exec_lo, exec_lo, s4
	v_cmp_lt_u32_e64 s1, 1, v0
	ds_store_b32 v119, v35
	s_wait_dscnt 0x0
	s_barrier_signal -1
	s_barrier_wait -1
	s_and_saveexec_b32 s4, s1
	s_cbranch_execz .LBB24_353
; %bb.338:
	s_and_not1_b32 vcc_lo, exec_lo, s25
	s_cbranch_vccnz .LBB24_340
; %bb.339:
	v_cmp_eq_u32_e32 vcc_lo, 1, v0
	ds_load_b32 v117, v119
	v_cndmask_b32_e32 v116, v34, v35, vcc_lo
	v_cmp_eq_u32_e32 vcc_lo, 2, v0
	s_delay_alu instid0(VALU_DEP_2) | instskip(SKIP_1) | instid1(VALU_DEP_2)
	v_cndmask_b32_e32 v116, v116, v36, vcc_lo
	v_cmp_eq_u32_e32 vcc_lo, 3, v0
	v_cndmask_b32_e32 v116, v116, v37, vcc_lo
	v_cmp_eq_u32_e32 vcc_lo, 4, v0
	s_delay_alu instid0(VALU_DEP_2) | instskip(SKIP_1) | instid1(VALU_DEP_2)
	v_cndmask_b32_e32 v116, v116, v38, vcc_lo
	v_cmp_eq_u32_e32 vcc_lo, 5, v0
	;; [unrolled: 5-line block ×11, first 2 shown]
	v_cndmask_b32_e32 v116, v116, v57, vcc_lo
	v_cmp_eq_u32_e32 vcc_lo, 24, v0
	s_delay_alu instid0(VALU_DEP_2) | instskip(SKIP_1) | instid1(VALU_DEP_1)
	v_cndmask_b32_e32 v116, v116, v58, vcc_lo
	s_wait_dscnt 0x0
	v_mul_f32_e32 v120, v116, v117
	s_cbranch_execz .LBB24_341
	s_branch .LBB24_342
.LBB24_340:
                                        ; implicit-def: $vgpr120
.LBB24_341:
	ds_load_b32 v120, v119
.LBB24_342:
	s_and_saveexec_b32 s5, s0
	s_cbranch_execz .LBB24_352
; %bb.343:
	v_dual_add_nc_u32 v116, -3, v0 :: v_dual_add_nc_u32 v117, -2, v0
	s_delay_alu instid0(VALU_DEP_1)
	v_cmp_lt_u32_e32 vcc_lo, 6, v116
	v_mov_b32_e32 v116, 2
	s_and_saveexec_b32 s0, vcc_lo
	s_cbranch_execz .LBB24_347
; %bb.344:
	v_and_b32_e32 v116, -8, v117
	s_mov_b32 s6, 0
	s_mov_b64 s[2:3], 9
	s_movk_i32 s7, 0x78
	s_delay_alu instid0(VALU_DEP_1)
	v_sub_nc_u32_e32 v118, 0, v116
.LBB24_345:                             ; =>This Inner Loop Header: Depth=1
	s_add_co_i32 m0, s2, -7
	v_movrels_b32_e32 v121, v34
	v_mov_b32_e32 v116, s7
	s_add_co_i32 m0, s2, -6
	s_add_co_i32 s7, s7, 32
	v_movrels_b32_e32 v130, v34
	s_add_co_i32 m0, s2, -5
	ds_load_2addr_b64 v[122:125], v116 offset1:1
	ds_load_2addr_b64 v[126:129], v116 offset0:2 offset1:3
	v_movrels_b32_e32 v116, v34
	s_add_co_i32 m0, s2, -4
	s_wait_dscnt 0x1
	v_fmac_f32_e32 v120, v121, v122
	v_movrels_b32_e32 v121, v34
	s_add_co_i32 m0, s2, -3
	s_delay_alu instid0(VALU_DEP_2) | instskip(NEXT) | instid1(VALU_DEP_1)
	v_fmac_f32_e32 v120, v130, v123
	v_fmac_f32_e32 v120, v116, v124
	v_movrels_b32_e32 v116, v34
	s_add_co_i32 m0, s2, -2
	s_delay_alu instid0(VALU_DEP_2) | instskip(SKIP_3) | instid1(VALU_DEP_2)
	v_fmac_f32_e32 v120, v121, v125
	v_movrels_b32_e32 v121, v34
	s_add_co_i32 m0, s2, -1
	s_wait_dscnt 0x0
	v_fmac_f32_e32 v120, v116, v126
	v_movrels_b32_e32 v116, v34
	s_mov_b32 m0, s2
	s_add_nc_u64 s[2:3], s[2:3], 8
	v_movrels_b32_e32 v122, v34
	v_dual_fmac_f32 v120, v121, v127 :: v_dual_add_nc_u32 v121, s2, v118
	s_add_co_i32 s8, s2, -7
	s_delay_alu instid0(VALU_DEP_1) | instskip(NEXT) | instid1(VALU_DEP_2)
	v_fmac_f32_e32 v120, v116, v128
	v_cmp_eq_u32_e32 vcc_lo, 9, v121
	s_delay_alu instid0(VALU_DEP_2) | instskip(SKIP_1) | instid1(SALU_CYCLE_1)
	v_dual_mov_b32 v116, s8 :: v_dual_fmac_f32 v120, v122, v129
	s_or_b32 s6, vcc_lo, s6
	s_and_not1_b32 exec_lo, exec_lo, s6
	s_cbranch_execnz .LBB24_345
; %bb.346:
	s_or_b32 exec_lo, exec_lo, s6
.LBB24_347:
	s_delay_alu instid0(SALU_CYCLE_1) | instskip(SKIP_3) | instid1(VALU_DEP_1)
	s_or_b32 exec_lo, exec_lo, s0
	v_and_b32_e32 v59, 7, v117
	s_mov_b32 s2, 0
	s_mov_b32 s0, exec_lo
	v_cmpx_ne_u32_e32 0, v59
	s_cbranch_execz .LBB24_351
; %bb.348:
	v_lshl_add_u32 v60, v116, 2, 0x70
	v_mov_b32_e32 v117, 0
.LBB24_349:                             ; =>This Inner Loop Header: Depth=1
	v_cmp_eq_u32_e32 vcc_lo, 1, v116
	ds_load_b32 v62, v60
	v_dual_add_nc_u32 v60, 4, v60 :: v_dual_add_nc_u32 v59, -1, v59
	v_cndmask_b32_e32 v61, v34, v35, vcc_lo
	v_cmp_eq_u32_e32 vcc_lo, 2, v116
	s_delay_alu instid0(VALU_DEP_2) | instskip(SKIP_1) | instid1(VALU_DEP_2)
	v_cndmask_b32_e32 v61, v61, v36, vcc_lo
	v_cmp_eq_u32_e32 vcc_lo, 3, v116
	v_cndmask_b32_e32 v61, v61, v37, vcc_lo
	v_cmp_eq_u32_e32 vcc_lo, 4, v116
	s_delay_alu instid0(VALU_DEP_2) | instskip(SKIP_1) | instid1(VALU_DEP_2)
	v_cndmask_b32_e32 v61, v61, v38, vcc_lo
	v_cmp_eq_u32_e32 vcc_lo, 5, v116
	;; [unrolled: 5-line block ×11, first 2 shown]
	v_cndmask_b32_e32 v61, v61, v57, vcc_lo
	v_cmp_eq_u32_e32 vcc_lo, 24, v116
	v_add_nc_u64_e32 v[116:117], 1, v[116:117]
	s_delay_alu instid0(VALU_DEP_3) | instskip(SKIP_2) | instid1(VALU_DEP_2)
	v_cndmask_b32_e32 v61, v61, v58, vcc_lo
	v_cmp_eq_u32_e32 vcc_lo, 0, v59
	s_wait_dscnt 0x0
	v_fmac_f32_e32 v120, v61, v62
	s_or_b32 s2, vcc_lo, s2
	s_delay_alu instid0(SALU_CYCLE_1)
	s_and_not1_b32 exec_lo, exec_lo, s2
	s_cbranch_execnz .LBB24_349
; %bb.350:
	s_or_b32 exec_lo, exec_lo, s2
.LBB24_351:
	s_delay_alu instid0(SALU_CYCLE_1)
	s_or_b32 exec_lo, exec_lo, s0
.LBB24_352:
	s_delay_alu instid0(SALU_CYCLE_1)
	s_or_b32 exec_lo, exec_lo, s5
	v_mov_b32_e32 v35, 0
	ds_load_b32 v35, v35 offset:4
	s_wait_dscnt 0x0
	v_mul_f32_e32 v35, v120, v35
.LBB24_353:
	s_or_b32 exec_lo, exec_lo, s4
	s_mov_b32 s2, 0
	s_mov_b32 s3, exec_lo
	ds_store_b32 v119, v34
	s_wait_dscnt 0x0
	s_barrier_signal -1
	s_barrier_wait -1
	v_cmpx_ne_u32_e32 0, v0
	s_cbranch_execz .LBB24_369
; %bb.354:
	s_and_not1_b32 vcc_lo, exec_lo, s25
	s_cbranch_vccnz .LBB24_356
; %bb.355:
	v_cmp_eq_u32_e32 vcc_lo, 1, v0
	ds_load_b32 v117, v119
	v_cndmask_b32_e32 v116, v34, v35, vcc_lo
	v_cmp_eq_u32_e32 vcc_lo, 2, v0
	s_delay_alu instid0(VALU_DEP_2) | instskip(SKIP_1) | instid1(VALU_DEP_2)
	v_cndmask_b32_e32 v116, v116, v36, vcc_lo
	v_cmp_eq_u32_e32 vcc_lo, 3, v0
	v_cndmask_b32_e32 v116, v116, v37, vcc_lo
	v_cmp_eq_u32_e32 vcc_lo, 4, v0
	s_delay_alu instid0(VALU_DEP_2) | instskip(SKIP_1) | instid1(VALU_DEP_2)
	v_cndmask_b32_e32 v116, v116, v38, vcc_lo
	v_cmp_eq_u32_e32 vcc_lo, 5, v0
	;; [unrolled: 5-line block ×11, first 2 shown]
	v_cndmask_b32_e32 v116, v116, v57, vcc_lo
	v_cmp_eq_u32_e32 vcc_lo, 24, v0
	s_delay_alu instid0(VALU_DEP_2) | instskip(SKIP_1) | instid1(VALU_DEP_1)
	v_cndmask_b32_e32 v116, v116, v58, vcc_lo
	s_wait_dscnt 0x0
	v_mul_f32_e32 v120, v116, v117
	s_cbranch_execz .LBB24_357
	s_branch .LBB24_358
.LBB24_356:
                                        ; implicit-def: $vgpr120
.LBB24_357:
	ds_load_b32 v120, v119
.LBB24_358:
	s_and_saveexec_b32 s4, s1
	s_cbranch_execz .LBB24_368
; %bb.359:
	v_dual_add_nc_u32 v116, -2, v0 :: v_dual_add_nc_u32 v117, -1, v0
	s_delay_alu instid0(VALU_DEP_1)
	v_cmp_lt_u32_e32 vcc_lo, 6, v116
	v_mov_b32_e32 v116, 1
	s_and_saveexec_b32 s5, vcc_lo
	s_cbranch_execz .LBB24_363
; %bb.360:
	v_and_b32_e32 v116, -8, v117
	s_mov_b32 s6, 0
	s_mov_b64 s[0:1], 8
	s_movk_i32 s7, 0x74
	s_delay_alu instid0(VALU_DEP_1)
	v_sub_nc_u32_e32 v118, 0, v116
.LBB24_361:                             ; =>This Inner Loop Header: Depth=1
	s_add_co_i32 m0, s0, -7
	v_movrels_b32_e32 v121, v34
	v_mov_b32_e32 v116, s7
	s_add_co_i32 m0, s0, -6
	s_add_co_i32 s7, s7, 32
	v_movrels_b32_e32 v130, v34
	ds_load_2addr_b32 v[122:123], v116 offset1:1
	ds_load_2addr_b32 v[124:125], v116 offset0:2 offset1:3
	s_add_co_i32 m0, s0, -5
	s_wait_dscnt 0x1
	v_fmac_f32_e32 v120, v121, v122
	ds_load_2addr_b32 v[126:127], v116 offset0:4 offset1:5
	ds_load_2addr_b32 v[128:129], v116 offset0:6 offset1:7
	v_movrels_b32_e32 v116, v34
	s_add_co_i32 m0, s0, -4
	v_fmac_f32_e32 v120, v130, v123
	v_movrels_b32_e32 v121, v34
	s_add_co_i32 m0, s0, -3
	s_wait_dscnt 0x2
	s_delay_alu instid0(VALU_DEP_2) | instskip(SKIP_2) | instid1(VALU_DEP_2)
	v_fmac_f32_e32 v120, v116, v124
	v_movrels_b32_e32 v116, v34
	s_add_co_i32 m0, s0, -2
	v_fmac_f32_e32 v120, v121, v125
	v_movrels_b32_e32 v121, v34
	s_add_co_i32 m0, s0, -1
	s_wait_dscnt 0x1
	s_delay_alu instid0(VALU_DEP_2)
	v_fmac_f32_e32 v120, v116, v126
	v_movrels_b32_e32 v116, v34
	s_mov_b32 m0, s0
	s_add_nc_u64 s[0:1], s[0:1], 8
	v_movrels_b32_e32 v122, v34
	v_dual_fmac_f32 v120, v121, v127 :: v_dual_add_nc_u32 v121, s0, v118
	s_add_co_i32 s8, s0, -7
	s_wait_dscnt 0x0
	s_delay_alu instid0(VALU_DEP_1) | instskip(NEXT) | instid1(VALU_DEP_2)
	v_fmac_f32_e32 v120, v116, v128
	v_cmp_eq_u32_e32 vcc_lo, 8, v121
	s_delay_alu instid0(VALU_DEP_2) | instskip(SKIP_1) | instid1(SALU_CYCLE_1)
	v_dual_mov_b32 v116, s8 :: v_dual_fmac_f32 v120, v122, v129
	s_or_b32 s6, vcc_lo, s6
	s_and_not1_b32 exec_lo, exec_lo, s6
	s_cbranch_execnz .LBB24_361
; %bb.362:
	s_or_b32 exec_lo, exec_lo, s6
.LBB24_363:
	s_delay_alu instid0(SALU_CYCLE_1) | instskip(SKIP_3) | instid1(VALU_DEP_1)
	s_or_b32 exec_lo, exec_lo, s5
	v_and_b32_e32 v59, 7, v117
	s_mov_b32 s1, 0
	s_mov_b32 s0, exec_lo
	v_cmpx_ne_u32_e32 0, v59
	s_cbranch_execz .LBB24_367
; %bb.364:
	v_lshl_add_u32 v60, v116, 2, 0x70
	v_mov_b32_e32 v117, 0
.LBB24_365:                             ; =>This Inner Loop Header: Depth=1
	v_cmp_eq_u32_e32 vcc_lo, 1, v116
	ds_load_b32 v62, v60
	v_dual_add_nc_u32 v60, 4, v60 :: v_dual_add_nc_u32 v59, -1, v59
	v_cndmask_b32_e32 v61, v34, v35, vcc_lo
	v_cmp_eq_u32_e32 vcc_lo, 2, v116
	s_delay_alu instid0(VALU_DEP_2) | instskip(SKIP_1) | instid1(VALU_DEP_2)
	v_cndmask_b32_e32 v61, v61, v36, vcc_lo
	v_cmp_eq_u32_e32 vcc_lo, 3, v116
	v_cndmask_b32_e32 v61, v61, v37, vcc_lo
	v_cmp_eq_u32_e32 vcc_lo, 4, v116
	s_delay_alu instid0(VALU_DEP_2) | instskip(SKIP_1) | instid1(VALU_DEP_2)
	v_cndmask_b32_e32 v61, v61, v38, vcc_lo
	v_cmp_eq_u32_e32 vcc_lo, 5, v116
	;; [unrolled: 5-line block ×11, first 2 shown]
	v_cndmask_b32_e32 v61, v61, v57, vcc_lo
	v_cmp_eq_u32_e32 vcc_lo, 24, v116
	v_add_nc_u64_e32 v[116:117], 1, v[116:117]
	s_delay_alu instid0(VALU_DEP_3) | instskip(SKIP_2) | instid1(VALU_DEP_2)
	v_cndmask_b32_e32 v61, v61, v58, vcc_lo
	v_cmp_eq_u32_e32 vcc_lo, 0, v59
	s_wait_dscnt 0x0
	v_fmac_f32_e32 v120, v61, v62
	s_or_b32 s1, vcc_lo, s1
	s_delay_alu instid0(SALU_CYCLE_1)
	s_and_not1_b32 exec_lo, exec_lo, s1
	s_cbranch_execnz .LBB24_365
; %bb.366:
	s_or_b32 exec_lo, exec_lo, s1
.LBB24_367:
	s_delay_alu instid0(SALU_CYCLE_1)
	s_or_b32 exec_lo, exec_lo, s0
.LBB24_368:
	s_delay_alu instid0(SALU_CYCLE_1)
	s_or_b32 exec_lo, exec_lo, s4
	v_mov_b32_e32 v34, 0
	ds_load_b32 v34, v34
	s_wait_dscnt 0x0
	v_mul_f32_e32 v34, v120, v34
.LBB24_369:
	s_or_b32 exec_lo, exec_lo, s3
	s_delay_alu instid0(SALU_CYCLE_1)
	s_and_b32 vcc_lo, exec_lo, s2
	s_cbranch_vccz .LBB24_613
.LBB24_370:
	v_cmp_eq_u32_e64 s0, 0, v0
	s_wait_loadcnt 0x17
	ds_store_b32 v119, v3
	s_wait_loadcnt_dscnt 0x0
	s_barrier_signal -1
	s_barrier_wait -1
	s_and_saveexec_b32 s1, s0
	s_cbranch_execz .LBB24_376
; %bb.371:
	s_and_b32 vcc_lo, exec_lo, s25
	s_cbranch_vccz .LBB24_373
; %bb.372:
	v_cmp_eq_u32_e32 vcc_lo, 1, v0
	ds_load_b32 v27, v119
	v_cndmask_b32_e32 v3, v2, v3, vcc_lo
	v_cmp_eq_u32_e32 vcc_lo, 2, v0
	s_delay_alu instid0(VALU_DEP_2) | instskip(SKIP_1) | instid1(VALU_DEP_2)
	v_cndmask_b32_e32 v3, v3, v4, vcc_lo
	v_cmp_eq_u32_e32 vcc_lo, 3, v0
	v_cndmask_b32_e32 v3, v3, v5, vcc_lo
	v_cmp_eq_u32_e32 vcc_lo, 4, v0
	s_delay_alu instid0(VALU_DEP_2) | instskip(SKIP_1) | instid1(VALU_DEP_2)
	v_cndmask_b32_e32 v3, v3, v6, vcc_lo
	v_cmp_eq_u32_e32 vcc_lo, 5, v0
	;; [unrolled: 5-line block ×11, first 2 shown]
	v_cndmask_b32_e32 v3, v3, v25, vcc_lo
	v_cmp_eq_u32_e32 vcc_lo, 24, v0
	s_delay_alu instid0(VALU_DEP_2) | instskip(SKIP_1) | instid1(VALU_DEP_1)
	v_cndmask_b32_e32 v3, v3, v26, vcc_lo
	s_wait_dscnt 0x0
	v_mul_f32_e32 v3, v3, v27
	s_cbranch_execz .LBB24_374
	s_branch .LBB24_375
.LBB24_373:
                                        ; implicit-def: $vgpr3
.LBB24_374:
	ds_load_b32 v3, v119
.LBB24_375:
	v_mov_b32_e32 v27, 0
	ds_load_b32 v27, v27 offset:4
	s_wait_dscnt 0x0
	v_mul_f32_e32 v3, v3, v27
.LBB24_376:
	s_or_b32 exec_lo, exec_lo, s1
	v_cndmask_b32_e64 v34, 0, 1, s25
	s_mov_b32 s1, exec_lo
	ds_store_b32 v119, v4
	s_wait_dscnt 0x0
	s_barrier_signal -1
	s_barrier_wait -1
	v_cmpx_gt_u32_e32 2, v0
	s_cbranch_execz .LBB24_382
; %bb.377:
	s_and_not1_b32 vcc_lo, exec_lo, s25
	s_cbranch_vccnz .LBB24_379
; %bb.378:
	v_cmp_eq_u32_e32 vcc_lo, 1, v0
	v_cndmask_b32_e32 v27, v2, v3, vcc_lo
	v_cmp_eq_u32_e32 vcc_lo, 2, v0
	s_delay_alu instid0(VALU_DEP_2) | instskip(SKIP_4) | instid1(VALU_DEP_2)
	v_cndmask_b32_e32 v4, v27, v4, vcc_lo
	v_cmp_eq_u32_e32 vcc_lo, 3, v0
	ds_load_b32 v27, v119
	v_cndmask_b32_e32 v4, v4, v5, vcc_lo
	v_cmp_eq_u32_e32 vcc_lo, 4, v0
	v_cndmask_b32_e32 v4, v4, v6, vcc_lo
	v_cmp_eq_u32_e32 vcc_lo, 5, v0
	s_delay_alu instid0(VALU_DEP_2) | instskip(SKIP_1) | instid1(VALU_DEP_2)
	v_cndmask_b32_e32 v4, v4, v7, vcc_lo
	v_cmp_eq_u32_e32 vcc_lo, 6, v0
	v_cndmask_b32_e32 v4, v4, v8, vcc_lo
	v_cmp_eq_u32_e32 vcc_lo, 7, v0
	s_delay_alu instid0(VALU_DEP_2) | instskip(SKIP_1) | instid1(VALU_DEP_2)
	;; [unrolled: 5-line block ×10, first 2 shown]
	v_cndmask_b32_e32 v4, v4, v25, vcc_lo
	v_cmp_eq_u32_e32 vcc_lo, 24, v0
	v_cndmask_b32_e32 v4, v4, v26, vcc_lo
	s_wait_dscnt 0x0
	s_delay_alu instid0(VALU_DEP_1)
	v_mul_f32_e32 v4, v4, v27
	s_cbranch_execz .LBB24_380
	s_branch .LBB24_381
.LBB24_379:
                                        ; implicit-def: $vgpr4
.LBB24_380:
	ds_load_b32 v4, v119
.LBB24_381:
	v_mov_b32_e32 v27, 0
	ds_load_2addr_b32 v[28:29], v27 offset0:2 offset1:29
	s_wait_dscnt 0x0
	v_fma_f32 v27, v3, v29, v4
	s_delay_alu instid0(VALU_DEP_1) | instskip(NEXT) | instid1(VALU_DEP_1)
	v_cndmask_b32_e64 v4, v4, v27, s0
	v_mul_f32_e32 v4, v4, v28
.LBB24_382:
	s_or_b32 exec_lo, exec_lo, s1
	v_add_nc_u32_e32 v35, 1, v0
	v_cmp_gt_u32_e64 s1, 3, v0
	ds_store_b32 v119, v5
	s_wait_dscnt 0x0
	s_barrier_signal -1
	s_barrier_wait -1
	s_and_saveexec_b32 s2, s1
	s_cbranch_execz .LBB24_390
; %bb.383:
	v_cmp_ne_u32_e32 vcc_lo, 1, v34
	s_cbranch_vccnz .LBB24_385
; %bb.384:
	v_cmp_eq_u32_e32 vcc_lo, 1, v0
	ds_load_b32 v28, v119
	v_cndmask_b32_e32 v27, v2, v3, vcc_lo
	v_cmp_eq_u32_e32 vcc_lo, 2, v0
	s_delay_alu instid0(VALU_DEP_2) | instskip(SKIP_1) | instid1(VALU_DEP_2)
	v_cndmask_b32_e32 v27, v27, v4, vcc_lo
	v_cmp_eq_u32_e32 vcc_lo, 3, v0
	v_cndmask_b32_e32 v27, v27, v5, vcc_lo
	v_cmp_eq_u32_e32 vcc_lo, 4, v0
	s_delay_alu instid0(VALU_DEP_2) | instskip(SKIP_1) | instid1(VALU_DEP_2)
	v_cndmask_b32_e32 v27, v27, v6, vcc_lo
	v_cmp_eq_u32_e32 vcc_lo, 5, v0
	;; [unrolled: 5-line block ×11, first 2 shown]
	v_cndmask_b32_e32 v27, v27, v25, vcc_lo
	v_cmp_eq_u32_e32 vcc_lo, 24, v0
	s_delay_alu instid0(VALU_DEP_2) | instskip(SKIP_1) | instid1(VALU_DEP_1)
	v_cndmask_b32_e32 v27, v27, v26, vcc_lo
	s_wait_dscnt 0x0
	v_mul_f32_e32 v27, v27, v28
	s_cbranch_execz .LBB24_386
	s_branch .LBB24_387
.LBB24_385:
                                        ; implicit-def: $vgpr27
.LBB24_386:
	ds_load_b32 v27, v119
.LBB24_387:
	s_mov_b32 s3, exec_lo
	v_cmpx_ne_u32_e32 2, v0
	s_cbranch_execz .LBB24_389
; %bb.388:
	v_cmp_eq_u32_e32 vcc_lo, 1, v35
	v_dual_mov_b32 v29, 0 :: v_dual_cndmask_b32 v28, v2, v3
	v_cmp_eq_u32_e32 vcc_lo, 2, v35
	ds_load_b32 v29, v29 offset:120
	v_cndmask_b32_e32 v28, v28, v4, vcc_lo
	v_cmp_eq_u32_e32 vcc_lo, 3, v35
	s_delay_alu instid0(VALU_DEP_2) | instskip(SKIP_4) | instid1(VALU_DEP_2)
	v_cndmask_b32_e32 v5, v28, v5, vcc_lo
	v_cmp_eq_u32_e32 vcc_lo, 4, v35
	ds_load_b32 v28, v119 offset:4
	v_cndmask_b32_e32 v5, v5, v6, vcc_lo
	v_cmp_eq_u32_e32 vcc_lo, 5, v35
	v_cndmask_b32_e32 v5, v5, v7, vcc_lo
	v_cmp_eq_u32_e32 vcc_lo, 6, v35
	s_delay_alu instid0(VALU_DEP_2) | instskip(SKIP_1) | instid1(VALU_DEP_2)
	v_cndmask_b32_e32 v5, v5, v8, vcc_lo
	v_cmp_eq_u32_e32 vcc_lo, 7, v35
	v_cndmask_b32_e32 v5, v5, v9, vcc_lo
	v_cmp_eq_u32_e32 vcc_lo, 8, v35
	s_delay_alu instid0(VALU_DEP_2) | instskip(SKIP_1) | instid1(VALU_DEP_2)
	;; [unrolled: 5-line block ×9, first 2 shown]
	v_cndmask_b32_e32 v5, v5, v24, vcc_lo
	v_cmp_eq_u32_e32 vcc_lo, 23, v35
	v_cndmask_b32_e32 v5, v5, v25, vcc_lo
	v_cmp_eq_u32_e32 vcc_lo, 24, v35
	s_delay_alu instid0(VALU_DEP_2) | instskip(SKIP_1) | instid1(VALU_DEP_1)
	v_cndmask_b32_e32 v5, v5, v26, vcc_lo
	s_wait_dscnt 0x0
	v_fmac_f32_e32 v27, v5, v28
	s_delay_alu instid0(VALU_DEP_1) | instskip(NEXT) | instid1(VALU_DEP_1)
	v_fma_f32 v5, v4, v29, v27
	v_cndmask_b32_e64 v27, v27, v5, s0
.LBB24_389:
	s_or_b32 exec_lo, exec_lo, s3
	v_mov_b32_e32 v5, 0
	ds_load_b32 v5, v5 offset:12
	s_wait_dscnt 0x0
	v_mul_f32_e32 v5, v27, v5
.LBB24_390:
	s_or_b32 exec_lo, exec_lo, s2
	s_delay_alu instid0(SALU_CYCLE_1)
	s_mov_b32 s2, exec_lo
	ds_store_b32 v119, v6
	s_wait_dscnt 0x0
	s_barrier_signal -1
	s_barrier_wait -1
	v_cmpx_gt_u32_e32 4, v0
	s_cbranch_execz .LBB24_400
; %bb.391:
	v_cmp_ne_u32_e32 vcc_lo, 1, v34
	s_cbranch_vccnz .LBB24_393
; %bb.392:
	v_cmp_eq_u32_e32 vcc_lo, 1, v0
	ds_load_b32 v28, v119
	v_cndmask_b32_e32 v27, v2, v3, vcc_lo
	v_cmp_eq_u32_e32 vcc_lo, 2, v0
	s_delay_alu instid0(VALU_DEP_2) | instskip(SKIP_1) | instid1(VALU_DEP_2)
	v_cndmask_b32_e32 v27, v27, v4, vcc_lo
	v_cmp_eq_u32_e32 vcc_lo, 3, v0
	v_cndmask_b32_e32 v27, v27, v5, vcc_lo
	v_cmp_eq_u32_e32 vcc_lo, 4, v0
	s_delay_alu instid0(VALU_DEP_2) | instskip(SKIP_1) | instid1(VALU_DEP_2)
	v_cndmask_b32_e32 v27, v27, v6, vcc_lo
	v_cmp_eq_u32_e32 vcc_lo, 5, v0
	;; [unrolled: 5-line block ×11, first 2 shown]
	v_cndmask_b32_e32 v27, v27, v25, vcc_lo
	v_cmp_eq_u32_e32 vcc_lo, 24, v0
	s_delay_alu instid0(VALU_DEP_2) | instskip(SKIP_1) | instid1(VALU_DEP_1)
	v_cndmask_b32_e32 v27, v27, v26, vcc_lo
	s_wait_dscnt 0x0
	v_mul_f32_e32 v27, v27, v28
	s_cbranch_execz .LBB24_394
	s_branch .LBB24_395
.LBB24_393:
                                        ; implicit-def: $vgpr27
.LBB24_394:
	ds_load_b32 v27, v119
.LBB24_395:
	s_mov_b32 s3, exec_lo
	v_cmpx_ne_u32_e32 3, v0
	s_cbranch_execz .LBB24_399
; %bb.396:
	v_mov_b64_e32 v[28:29], v[0:1]
	v_lshl_add_u32 v30, v0, 2, 0x74
	s_mov_b32 s4, 0
.LBB24_397:                             ; =>This Inner Loop Header: Depth=1
	s_delay_alu instid0(VALU_DEP_2)
	v_add_nc_u64_e32 v[28:29], 1, v[28:29]
	ds_load_b32 v32, v30
	v_add_nc_u32_e32 v30, 4, v30
	v_cmp_eq_u32_e32 vcc_lo, 1, v28
	v_cndmask_b32_e32 v31, v2, v3, vcc_lo
	v_cmp_eq_u32_e32 vcc_lo, 2, v28
	s_delay_alu instid0(VALU_DEP_2) | instskip(SKIP_1) | instid1(VALU_DEP_2)
	v_cndmask_b32_e32 v31, v31, v4, vcc_lo
	v_cmp_eq_u32_e32 vcc_lo, 3, v28
	v_cndmask_b32_e32 v31, v31, v5, vcc_lo
	v_cmp_eq_u32_e32 vcc_lo, 4, v28
	s_delay_alu instid0(VALU_DEP_2) | instskip(SKIP_1) | instid1(VALU_DEP_2)
	v_cndmask_b32_e32 v31, v31, v6, vcc_lo
	;; [unrolled: 5-line block ×11, first 2 shown]
	v_cmp_eq_u32_e32 vcc_lo, 23, v28
	v_cndmask_b32_e32 v31, v31, v25, vcc_lo
	v_cmp_eq_u32_e32 vcc_lo, 24, v28
	s_delay_alu instid0(VALU_DEP_2) | instskip(SKIP_2) | instid1(VALU_DEP_2)
	v_cndmask_b32_e32 v31, v31, v26, vcc_lo
	v_cmp_lt_u32_e32 vcc_lo, 2, v28
	s_wait_dscnt 0x0
	v_fmac_f32_e32 v27, v31, v32
	s_or_b32 s4, vcc_lo, s4
	s_delay_alu instid0(SALU_CYCLE_1)
	s_and_not1_b32 exec_lo, exec_lo, s4
	s_cbranch_execnz .LBB24_397
; %bb.398:
	s_or_b32 exec_lo, exec_lo, s4
.LBB24_399:
	s_delay_alu instid0(SALU_CYCLE_1)
	s_or_b32 exec_lo, exec_lo, s3
	v_mov_b32_e32 v6, 0
	ds_load_b32 v6, v6 offset:16
	s_wait_dscnt 0x0
	v_mul_f32_e32 v6, v27, v6
.LBB24_400:
	s_or_b32 exec_lo, exec_lo, s2
	v_cmp_gt_u32_e64 s2, 5, v0
	ds_store_b32 v119, v7
	s_wait_dscnt 0x0
	s_barrier_signal -1
	s_barrier_wait -1
	s_and_saveexec_b32 s3, s2
	s_cbranch_execz .LBB24_410
; %bb.401:
	v_cmp_ne_u32_e32 vcc_lo, 1, v34
	s_cbranch_vccnz .LBB24_403
; %bb.402:
	v_cmp_eq_u32_e32 vcc_lo, 1, v0
	ds_load_b32 v28, v119
	v_cndmask_b32_e32 v27, v2, v3, vcc_lo
	v_cmp_eq_u32_e32 vcc_lo, 2, v0
	s_delay_alu instid0(VALU_DEP_2) | instskip(SKIP_1) | instid1(VALU_DEP_2)
	v_cndmask_b32_e32 v27, v27, v4, vcc_lo
	v_cmp_eq_u32_e32 vcc_lo, 3, v0
	v_cndmask_b32_e32 v27, v27, v5, vcc_lo
	v_cmp_eq_u32_e32 vcc_lo, 4, v0
	s_delay_alu instid0(VALU_DEP_2) | instskip(SKIP_1) | instid1(VALU_DEP_2)
	v_cndmask_b32_e32 v27, v27, v6, vcc_lo
	v_cmp_eq_u32_e32 vcc_lo, 5, v0
	;; [unrolled: 5-line block ×11, first 2 shown]
	v_cndmask_b32_e32 v27, v27, v25, vcc_lo
	v_cmp_eq_u32_e32 vcc_lo, 24, v0
	s_delay_alu instid0(VALU_DEP_2) | instskip(SKIP_1) | instid1(VALU_DEP_1)
	v_cndmask_b32_e32 v27, v27, v26, vcc_lo
	s_wait_dscnt 0x0
	v_mul_f32_e32 v27, v27, v28
	s_cbranch_execz .LBB24_404
	s_branch .LBB24_405
.LBB24_403:
                                        ; implicit-def: $vgpr27
.LBB24_404:
	ds_load_b32 v27, v119
.LBB24_405:
	s_mov_b32 s4, exec_lo
	v_cmpx_ne_u32_e32 4, v0
	s_cbranch_execz .LBB24_409
; %bb.406:
	v_mov_b64_e32 v[28:29], v[0:1]
	v_lshl_add_u32 v30, v0, 2, 0x74
	s_mov_b32 s5, 0
.LBB24_407:                             ; =>This Inner Loop Header: Depth=1
	s_delay_alu instid0(VALU_DEP_2)
	v_add_nc_u64_e32 v[28:29], 1, v[28:29]
	ds_load_b32 v32, v30
	v_add_nc_u32_e32 v30, 4, v30
	v_cmp_eq_u32_e32 vcc_lo, 1, v28
	v_cndmask_b32_e32 v31, v2, v3, vcc_lo
	v_cmp_eq_u32_e32 vcc_lo, 2, v28
	s_delay_alu instid0(VALU_DEP_2) | instskip(SKIP_1) | instid1(VALU_DEP_2)
	v_cndmask_b32_e32 v31, v31, v4, vcc_lo
	v_cmp_eq_u32_e32 vcc_lo, 3, v28
	v_cndmask_b32_e32 v31, v31, v5, vcc_lo
	v_cmp_eq_u32_e32 vcc_lo, 4, v28
	s_delay_alu instid0(VALU_DEP_2) | instskip(SKIP_1) | instid1(VALU_DEP_2)
	v_cndmask_b32_e32 v31, v31, v6, vcc_lo
	;; [unrolled: 5-line block ×11, first 2 shown]
	v_cmp_eq_u32_e32 vcc_lo, 23, v28
	v_cndmask_b32_e32 v31, v31, v25, vcc_lo
	v_cmp_eq_u32_e32 vcc_lo, 24, v28
	s_delay_alu instid0(VALU_DEP_2) | instskip(SKIP_2) | instid1(VALU_DEP_2)
	v_cndmask_b32_e32 v31, v31, v26, vcc_lo
	v_cmp_lt_u32_e32 vcc_lo, 3, v28
	s_wait_dscnt 0x0
	v_fmac_f32_e32 v27, v31, v32
	s_or_b32 s5, vcc_lo, s5
	s_delay_alu instid0(SALU_CYCLE_1)
	s_and_not1_b32 exec_lo, exec_lo, s5
	s_cbranch_execnz .LBB24_407
; %bb.408:
	s_or_b32 exec_lo, exec_lo, s5
.LBB24_409:
	s_delay_alu instid0(SALU_CYCLE_1)
	s_or_b32 exec_lo, exec_lo, s4
	v_mov_b32_e32 v7, 0
	ds_load_b32 v7, v7 offset:20
	s_wait_dscnt 0x0
	v_mul_f32_e32 v7, v27, v7
.LBB24_410:
	s_or_b32 exec_lo, exec_lo, s3
	s_delay_alu instid0(SALU_CYCLE_1)
	s_mov_b32 s3, exec_lo
	ds_store_b32 v119, v8
	s_wait_dscnt 0x0
	s_barrier_signal -1
	s_barrier_wait -1
	v_cmpx_gt_u32_e32 6, v0
	s_cbranch_execz .LBB24_420
; %bb.411:
	v_cmp_ne_u32_e32 vcc_lo, 1, v34
	s_cbranch_vccnz .LBB24_413
; %bb.412:
	v_cmp_eq_u32_e32 vcc_lo, 1, v0
	ds_load_b32 v28, v119
	v_cndmask_b32_e32 v27, v2, v3, vcc_lo
	v_cmp_eq_u32_e32 vcc_lo, 2, v0
	s_delay_alu instid0(VALU_DEP_2) | instskip(SKIP_1) | instid1(VALU_DEP_2)
	v_cndmask_b32_e32 v27, v27, v4, vcc_lo
	v_cmp_eq_u32_e32 vcc_lo, 3, v0
	v_cndmask_b32_e32 v27, v27, v5, vcc_lo
	v_cmp_eq_u32_e32 vcc_lo, 4, v0
	s_delay_alu instid0(VALU_DEP_2) | instskip(SKIP_1) | instid1(VALU_DEP_2)
	v_cndmask_b32_e32 v27, v27, v6, vcc_lo
	v_cmp_eq_u32_e32 vcc_lo, 5, v0
	;; [unrolled: 5-line block ×11, first 2 shown]
	v_cndmask_b32_e32 v27, v27, v25, vcc_lo
	v_cmp_eq_u32_e32 vcc_lo, 24, v0
	s_delay_alu instid0(VALU_DEP_2) | instskip(SKIP_1) | instid1(VALU_DEP_1)
	v_cndmask_b32_e32 v27, v27, v26, vcc_lo
	s_wait_dscnt 0x0
	v_mul_f32_e32 v27, v27, v28
	s_cbranch_execz .LBB24_414
	s_branch .LBB24_415
.LBB24_413:
                                        ; implicit-def: $vgpr27
.LBB24_414:
	ds_load_b32 v27, v119
.LBB24_415:
	s_mov_b32 s4, exec_lo
	v_cmpx_ne_u32_e32 5, v0
	s_cbranch_execz .LBB24_419
; %bb.416:
	v_mov_b64_e32 v[28:29], v[0:1]
	v_lshl_add_u32 v30, v0, 2, 0x74
	s_mov_b32 s5, 0
.LBB24_417:                             ; =>This Inner Loop Header: Depth=1
	s_delay_alu instid0(VALU_DEP_2)
	v_add_nc_u64_e32 v[28:29], 1, v[28:29]
	ds_load_b32 v32, v30
	v_add_nc_u32_e32 v30, 4, v30
	v_cmp_eq_u32_e32 vcc_lo, 1, v28
	v_cndmask_b32_e32 v31, v2, v3, vcc_lo
	v_cmp_eq_u32_e32 vcc_lo, 2, v28
	s_delay_alu instid0(VALU_DEP_2) | instskip(SKIP_1) | instid1(VALU_DEP_2)
	v_cndmask_b32_e32 v31, v31, v4, vcc_lo
	v_cmp_eq_u32_e32 vcc_lo, 3, v28
	v_cndmask_b32_e32 v31, v31, v5, vcc_lo
	v_cmp_eq_u32_e32 vcc_lo, 4, v28
	s_delay_alu instid0(VALU_DEP_2) | instskip(SKIP_1) | instid1(VALU_DEP_2)
	v_cndmask_b32_e32 v31, v31, v6, vcc_lo
	;; [unrolled: 5-line block ×11, first 2 shown]
	v_cmp_eq_u32_e32 vcc_lo, 23, v28
	v_cndmask_b32_e32 v31, v31, v25, vcc_lo
	v_cmp_eq_u32_e32 vcc_lo, 24, v28
	s_delay_alu instid0(VALU_DEP_2) | instskip(SKIP_2) | instid1(VALU_DEP_2)
	v_cndmask_b32_e32 v31, v31, v26, vcc_lo
	v_cmp_lt_u32_e32 vcc_lo, 4, v28
	s_wait_dscnt 0x0
	v_fmac_f32_e32 v27, v31, v32
	s_or_b32 s5, vcc_lo, s5
	s_delay_alu instid0(SALU_CYCLE_1)
	s_and_not1_b32 exec_lo, exec_lo, s5
	s_cbranch_execnz .LBB24_417
; %bb.418:
	s_or_b32 exec_lo, exec_lo, s5
.LBB24_419:
	s_delay_alu instid0(SALU_CYCLE_1)
	s_or_b32 exec_lo, exec_lo, s4
	v_mov_b32_e32 v8, 0
	ds_load_b32 v8, v8 offset:24
	s_wait_dscnt 0x0
	v_mul_f32_e32 v8, v27, v8
.LBB24_420:
	s_or_b32 exec_lo, exec_lo, s3
	v_cmp_gt_u32_e64 s3, 7, v0
	ds_store_b32 v119, v9
	s_wait_dscnt 0x0
	s_barrier_signal -1
	s_barrier_wait -1
	s_and_saveexec_b32 s4, s3
	s_cbranch_execz .LBB24_430
; %bb.421:
	v_cmp_ne_u32_e32 vcc_lo, 1, v34
	s_cbranch_vccnz .LBB24_423
; %bb.422:
	v_cmp_eq_u32_e32 vcc_lo, 1, v0
	ds_load_b32 v28, v119
	v_cndmask_b32_e32 v27, v2, v3, vcc_lo
	v_cmp_eq_u32_e32 vcc_lo, 2, v0
	s_delay_alu instid0(VALU_DEP_2) | instskip(SKIP_1) | instid1(VALU_DEP_2)
	v_cndmask_b32_e32 v27, v27, v4, vcc_lo
	v_cmp_eq_u32_e32 vcc_lo, 3, v0
	v_cndmask_b32_e32 v27, v27, v5, vcc_lo
	v_cmp_eq_u32_e32 vcc_lo, 4, v0
	s_delay_alu instid0(VALU_DEP_2) | instskip(SKIP_1) | instid1(VALU_DEP_2)
	v_cndmask_b32_e32 v27, v27, v6, vcc_lo
	v_cmp_eq_u32_e32 vcc_lo, 5, v0
	;; [unrolled: 5-line block ×11, first 2 shown]
	v_cndmask_b32_e32 v27, v27, v25, vcc_lo
	v_cmp_eq_u32_e32 vcc_lo, 24, v0
	s_delay_alu instid0(VALU_DEP_2) | instskip(SKIP_1) | instid1(VALU_DEP_1)
	v_cndmask_b32_e32 v27, v27, v26, vcc_lo
	s_wait_dscnt 0x0
	v_mul_f32_e32 v27, v27, v28
	s_cbranch_execz .LBB24_424
	s_branch .LBB24_425
.LBB24_423:
                                        ; implicit-def: $vgpr27
.LBB24_424:
	ds_load_b32 v27, v119
.LBB24_425:
	s_mov_b32 s5, exec_lo
	v_cmpx_ne_u32_e32 6, v0
	s_cbranch_execz .LBB24_429
; %bb.426:
	v_mov_b64_e32 v[28:29], v[0:1]
	v_lshl_add_u32 v30, v0, 2, 0x74
	s_mov_b32 s6, 0
.LBB24_427:                             ; =>This Inner Loop Header: Depth=1
	s_delay_alu instid0(VALU_DEP_2)
	v_add_nc_u64_e32 v[28:29], 1, v[28:29]
	ds_load_b32 v32, v30
	v_add_nc_u32_e32 v30, 4, v30
	v_cmp_eq_u32_e32 vcc_lo, 1, v28
	v_cndmask_b32_e32 v31, v2, v3, vcc_lo
	v_cmp_eq_u32_e32 vcc_lo, 2, v28
	s_delay_alu instid0(VALU_DEP_2) | instskip(SKIP_1) | instid1(VALU_DEP_2)
	v_cndmask_b32_e32 v31, v31, v4, vcc_lo
	v_cmp_eq_u32_e32 vcc_lo, 3, v28
	v_cndmask_b32_e32 v31, v31, v5, vcc_lo
	v_cmp_eq_u32_e32 vcc_lo, 4, v28
	s_delay_alu instid0(VALU_DEP_2) | instskip(SKIP_1) | instid1(VALU_DEP_2)
	v_cndmask_b32_e32 v31, v31, v6, vcc_lo
	;; [unrolled: 5-line block ×11, first 2 shown]
	v_cmp_eq_u32_e32 vcc_lo, 23, v28
	v_cndmask_b32_e32 v31, v31, v25, vcc_lo
	v_cmp_eq_u32_e32 vcc_lo, 24, v28
	s_delay_alu instid0(VALU_DEP_2) | instskip(SKIP_2) | instid1(VALU_DEP_2)
	v_cndmask_b32_e32 v31, v31, v26, vcc_lo
	v_cmp_lt_u32_e32 vcc_lo, 5, v28
	s_wait_dscnt 0x0
	v_fmac_f32_e32 v27, v31, v32
	s_or_b32 s6, vcc_lo, s6
	s_delay_alu instid0(SALU_CYCLE_1)
	s_and_not1_b32 exec_lo, exec_lo, s6
	s_cbranch_execnz .LBB24_427
; %bb.428:
	s_or_b32 exec_lo, exec_lo, s6
.LBB24_429:
	s_delay_alu instid0(SALU_CYCLE_1)
	s_or_b32 exec_lo, exec_lo, s5
	v_mov_b32_e32 v9, 0
	ds_load_b32 v9, v9 offset:28
	s_wait_dscnt 0x0
	v_mul_f32_e32 v9, v27, v9
.LBB24_430:
	s_or_b32 exec_lo, exec_lo, s4
	s_delay_alu instid0(SALU_CYCLE_1)
	s_mov_b32 s4, exec_lo
	ds_store_b32 v119, v10
	s_wait_dscnt 0x0
	s_barrier_signal -1
	s_barrier_wait -1
	v_cmpx_gt_u32_e32 8, v0
	s_cbranch_execz .LBB24_440
; %bb.431:
	v_cmp_ne_u32_e32 vcc_lo, 1, v34
	s_cbranch_vccnz .LBB24_433
; %bb.432:
	v_cmp_eq_u32_e32 vcc_lo, 1, v0
	ds_load_b32 v28, v119
	v_cndmask_b32_e32 v27, v2, v3, vcc_lo
	v_cmp_eq_u32_e32 vcc_lo, 2, v0
	s_delay_alu instid0(VALU_DEP_2) | instskip(SKIP_1) | instid1(VALU_DEP_2)
	v_cndmask_b32_e32 v27, v27, v4, vcc_lo
	v_cmp_eq_u32_e32 vcc_lo, 3, v0
	v_cndmask_b32_e32 v27, v27, v5, vcc_lo
	v_cmp_eq_u32_e32 vcc_lo, 4, v0
	s_delay_alu instid0(VALU_DEP_2) | instskip(SKIP_1) | instid1(VALU_DEP_2)
	v_cndmask_b32_e32 v27, v27, v6, vcc_lo
	v_cmp_eq_u32_e32 vcc_lo, 5, v0
	;; [unrolled: 5-line block ×11, first 2 shown]
	v_cndmask_b32_e32 v27, v27, v25, vcc_lo
	v_cmp_eq_u32_e32 vcc_lo, 24, v0
	s_delay_alu instid0(VALU_DEP_2) | instskip(SKIP_1) | instid1(VALU_DEP_1)
	v_cndmask_b32_e32 v27, v27, v26, vcc_lo
	s_wait_dscnt 0x0
	v_mul_f32_e32 v27, v27, v28
	s_cbranch_execz .LBB24_434
	s_branch .LBB24_435
.LBB24_433:
                                        ; implicit-def: $vgpr27
.LBB24_434:
	ds_load_b32 v27, v119
.LBB24_435:
	s_mov_b32 s5, exec_lo
	v_cmpx_ne_u32_e32 7, v0
	s_cbranch_execz .LBB24_439
; %bb.436:
	v_mov_b64_e32 v[28:29], v[0:1]
	v_lshl_add_u32 v30, v0, 2, 0x74
	s_mov_b32 s6, 0
.LBB24_437:                             ; =>This Inner Loop Header: Depth=1
	s_delay_alu instid0(VALU_DEP_2)
	v_add_nc_u64_e32 v[28:29], 1, v[28:29]
	ds_load_b32 v32, v30
	v_add_nc_u32_e32 v30, 4, v30
	v_cmp_eq_u32_e32 vcc_lo, 1, v28
	v_cndmask_b32_e32 v31, v2, v3, vcc_lo
	v_cmp_eq_u32_e32 vcc_lo, 2, v28
	s_delay_alu instid0(VALU_DEP_2) | instskip(SKIP_1) | instid1(VALU_DEP_2)
	v_cndmask_b32_e32 v31, v31, v4, vcc_lo
	v_cmp_eq_u32_e32 vcc_lo, 3, v28
	v_cndmask_b32_e32 v31, v31, v5, vcc_lo
	v_cmp_eq_u32_e32 vcc_lo, 4, v28
	s_delay_alu instid0(VALU_DEP_2) | instskip(SKIP_1) | instid1(VALU_DEP_2)
	v_cndmask_b32_e32 v31, v31, v6, vcc_lo
	;; [unrolled: 5-line block ×11, first 2 shown]
	v_cmp_eq_u32_e32 vcc_lo, 23, v28
	v_cndmask_b32_e32 v31, v31, v25, vcc_lo
	v_cmp_eq_u32_e32 vcc_lo, 24, v28
	s_delay_alu instid0(VALU_DEP_2) | instskip(SKIP_2) | instid1(VALU_DEP_2)
	v_cndmask_b32_e32 v31, v31, v26, vcc_lo
	v_cmp_lt_u32_e32 vcc_lo, 6, v28
	s_wait_dscnt 0x0
	v_fmac_f32_e32 v27, v31, v32
	s_or_b32 s6, vcc_lo, s6
	s_delay_alu instid0(SALU_CYCLE_1)
	s_and_not1_b32 exec_lo, exec_lo, s6
	s_cbranch_execnz .LBB24_437
; %bb.438:
	s_or_b32 exec_lo, exec_lo, s6
.LBB24_439:
	s_delay_alu instid0(SALU_CYCLE_1)
	s_or_b32 exec_lo, exec_lo, s5
	v_mov_b32_e32 v10, 0
	ds_load_b32 v10, v10 offset:32
	s_wait_dscnt 0x0
	v_mul_f32_e32 v10, v27, v10
.LBB24_440:
	s_or_b32 exec_lo, exec_lo, s4
	s_delay_alu instid0(SALU_CYCLE_1)
	s_mov_b32 s4, exec_lo
	ds_store_b32 v119, v11
	s_wait_dscnt 0x0
	s_barrier_signal -1
	s_barrier_wait -1
	v_cmpx_gt_u32_e32 9, v0
	s_cbranch_execz .LBB24_462
; %bb.441:
	v_cmp_ne_u32_e32 vcc_lo, 1, v34
	s_cbranch_vccnz .LBB24_443
; %bb.442:
	v_cmp_eq_u32_e32 vcc_lo, 1, v0
	ds_load_b32 v28, v119
	v_cndmask_b32_e32 v27, v2, v3, vcc_lo
	v_cmp_eq_u32_e32 vcc_lo, 2, v0
	s_delay_alu instid0(VALU_DEP_2) | instskip(SKIP_1) | instid1(VALU_DEP_2)
	v_cndmask_b32_e32 v27, v27, v4, vcc_lo
	v_cmp_eq_u32_e32 vcc_lo, 3, v0
	v_cndmask_b32_e32 v27, v27, v5, vcc_lo
	v_cmp_eq_u32_e32 vcc_lo, 4, v0
	s_delay_alu instid0(VALU_DEP_2) | instskip(SKIP_1) | instid1(VALU_DEP_2)
	v_cndmask_b32_e32 v27, v27, v6, vcc_lo
	v_cmp_eq_u32_e32 vcc_lo, 5, v0
	;; [unrolled: 5-line block ×11, first 2 shown]
	v_cndmask_b32_e32 v27, v27, v25, vcc_lo
	v_cmp_eq_u32_e32 vcc_lo, 24, v0
	s_delay_alu instid0(VALU_DEP_2) | instskip(SKIP_1) | instid1(VALU_DEP_1)
	v_cndmask_b32_e32 v27, v27, v26, vcc_lo
	s_wait_dscnt 0x0
	v_mul_f32_e32 v27, v27, v28
	s_cbranch_execz .LBB24_444
	s_branch .LBB24_445
.LBB24_443:
                                        ; implicit-def: $vgpr27
.LBB24_444:
	ds_load_b32 v27, v119
.LBB24_445:
	s_mov_b32 s5, exec_lo
	v_cmpx_ne_u32_e32 8, v0
	s_cbranch_execz .LBB24_461
; %bb.446:
	v_cmp_eq_u32_e32 vcc_lo, 1, v35
	ds_load_b32 v29, v119 offset:4
	v_cndmask_b32_e32 v28, v2, v3, vcc_lo
	v_cmp_eq_u32_e32 vcc_lo, 2, v35
	s_delay_alu instid0(VALU_DEP_2) | instskip(SKIP_1) | instid1(VALU_DEP_2)
	v_cndmask_b32_e32 v28, v28, v4, vcc_lo
	v_cmp_eq_u32_e32 vcc_lo, 3, v35
	v_cndmask_b32_e32 v28, v28, v5, vcc_lo
	v_cmp_eq_u32_e32 vcc_lo, 4, v35
	s_delay_alu instid0(VALU_DEP_2) | instskip(SKIP_1) | instid1(VALU_DEP_2)
	v_cndmask_b32_e32 v28, v28, v6, vcc_lo
	v_cmp_eq_u32_e32 vcc_lo, 5, v35
	v_cndmask_b32_e32 v28, v28, v7, vcc_lo
	v_cmp_eq_u32_e32 vcc_lo, 6, v35
	s_delay_alu instid0(VALU_DEP_2) | instskip(SKIP_1) | instid1(VALU_DEP_2)
	v_cndmask_b32_e32 v28, v28, v8, vcc_lo
	v_cmp_eq_u32_e32 vcc_lo, 7, v35
	v_cndmask_b32_e32 v28, v28, v9, vcc_lo
	v_cmp_eq_u32_e32 vcc_lo, 8, v35
	s_delay_alu instid0(VALU_DEP_2) | instskip(SKIP_1) | instid1(VALU_DEP_2)
	v_cndmask_b32_e32 v28, v28, v10, vcc_lo
	v_cmp_eq_u32_e32 vcc_lo, 9, v35
	v_cndmask_b32_e32 v28, v28, v11, vcc_lo
	v_cmp_eq_u32_e32 vcc_lo, 10, v35
	s_delay_alu instid0(VALU_DEP_2) | instskip(SKIP_1) | instid1(VALU_DEP_2)
	v_cndmask_b32_e32 v28, v28, v12, vcc_lo
	v_cmp_eq_u32_e32 vcc_lo, 11, v35
	v_cndmask_b32_e32 v28, v28, v13, vcc_lo
	v_cmp_eq_u32_e32 vcc_lo, 12, v35
	s_delay_alu instid0(VALU_DEP_2) | instskip(SKIP_1) | instid1(VALU_DEP_2)
	v_cndmask_b32_e32 v28, v28, v14, vcc_lo
	v_cmp_eq_u32_e32 vcc_lo, 13, v35
	v_cndmask_b32_e32 v28, v28, v15, vcc_lo
	v_cmp_eq_u32_e32 vcc_lo, 14, v35
	s_delay_alu instid0(VALU_DEP_2) | instskip(SKIP_1) | instid1(VALU_DEP_2)
	v_cndmask_b32_e32 v28, v28, v16, vcc_lo
	v_cmp_eq_u32_e32 vcc_lo, 15, v35
	v_cndmask_b32_e32 v28, v28, v17, vcc_lo
	v_cmp_eq_u32_e32 vcc_lo, 16, v35
	s_delay_alu instid0(VALU_DEP_2) | instskip(SKIP_1) | instid1(VALU_DEP_2)
	v_cndmask_b32_e32 v28, v28, v18, vcc_lo
	v_cmp_eq_u32_e32 vcc_lo, 17, v35
	v_cndmask_b32_e32 v28, v28, v19, vcc_lo
	v_cmp_eq_u32_e32 vcc_lo, 18, v35
	s_delay_alu instid0(VALU_DEP_2) | instskip(SKIP_1) | instid1(VALU_DEP_2)
	v_cndmask_b32_e32 v28, v28, v20, vcc_lo
	v_cmp_eq_u32_e32 vcc_lo, 19, v35
	v_cndmask_b32_e32 v28, v28, v21, vcc_lo
	v_cmp_eq_u32_e32 vcc_lo, 20, v35
	s_delay_alu instid0(VALU_DEP_2) | instskip(SKIP_1) | instid1(VALU_DEP_2)
	v_cndmask_b32_e32 v28, v28, v22, vcc_lo
	v_cmp_eq_u32_e32 vcc_lo, 21, v35
	v_cndmask_b32_e32 v28, v28, v23, vcc_lo
	v_cmp_eq_u32_e32 vcc_lo, 22, v35
	s_delay_alu instid0(VALU_DEP_2) | instskip(SKIP_1) | instid1(VALU_DEP_2)
	v_cndmask_b32_e32 v28, v28, v24, vcc_lo
	v_cmp_eq_u32_e32 vcc_lo, 23, v35
	v_cndmask_b32_e32 v28, v28, v25, vcc_lo
	v_cmp_eq_u32_e32 vcc_lo, 24, v35
	s_delay_alu instid0(VALU_DEP_2) | instskip(SKIP_1) | instid1(VALU_DEP_1)
	v_cndmask_b32_e32 v28, v28, v26, vcc_lo
	s_wait_dscnt 0x0
	v_fmac_f32_e32 v27, v28, v29
	s_and_saveexec_b32 s6, s3
	s_cbranch_execz .LBB24_460
; %bb.447:
	v_add_nc_u32_e32 v28, 2, v0
	ds_load_b32 v30, v119 offset:8
	s_mov_b32 s3, exec_lo
	v_cmp_eq_u32_e32 vcc_lo, 1, v28
	v_cndmask_b32_e32 v29, v2, v3, vcc_lo
	v_cmp_eq_u32_e32 vcc_lo, 2, v28
	s_delay_alu instid0(VALU_DEP_2) | instskip(SKIP_1) | instid1(VALU_DEP_2)
	v_cndmask_b32_e32 v29, v29, v4, vcc_lo
	v_cmp_eq_u32_e32 vcc_lo, 3, v28
	v_cndmask_b32_e32 v29, v29, v5, vcc_lo
	v_cmp_eq_u32_e32 vcc_lo, 4, v28
	s_delay_alu instid0(VALU_DEP_2) | instskip(SKIP_1) | instid1(VALU_DEP_2)
	v_cndmask_b32_e32 v29, v29, v6, vcc_lo
	;; [unrolled: 5-line block ×11, first 2 shown]
	v_cmp_eq_u32_e32 vcc_lo, 23, v28
	v_cndmask_b32_e32 v29, v29, v25, vcc_lo
	v_cmp_eq_u32_e32 vcc_lo, 24, v28
	s_delay_alu instid0(VALU_DEP_2) | instskip(SKIP_1) | instid1(VALU_DEP_1)
	v_cndmask_b32_e32 v28, v29, v26, vcc_lo
	s_wait_dscnt 0x0
	v_fmac_f32_e32 v27, v28, v30
	v_cmpx_ne_u32_e32 6, v0
	s_cbranch_execz .LBB24_459
; %bb.448:
	v_add_nc_u32_e32 v28, 3, v0
	ds_load_b32 v30, v119 offset:12
	v_cmp_eq_u32_e32 vcc_lo, 1, v28
	v_cndmask_b32_e32 v29, v2, v3, vcc_lo
	v_cmp_eq_u32_e32 vcc_lo, 2, v28
	s_delay_alu instid0(VALU_DEP_2) | instskip(SKIP_1) | instid1(VALU_DEP_2)
	v_cndmask_b32_e32 v29, v29, v4, vcc_lo
	v_cmp_eq_u32_e32 vcc_lo, 3, v28
	v_cndmask_b32_e32 v29, v29, v5, vcc_lo
	v_cmp_eq_u32_e32 vcc_lo, 4, v28
	s_delay_alu instid0(VALU_DEP_2) | instskip(SKIP_1) | instid1(VALU_DEP_2)
	v_cndmask_b32_e32 v29, v29, v6, vcc_lo
	;; [unrolled: 5-line block ×11, first 2 shown]
	v_cmp_eq_u32_e32 vcc_lo, 23, v28
	v_cndmask_b32_e32 v29, v29, v25, vcc_lo
	v_cmp_eq_u32_e32 vcc_lo, 24, v28
	s_delay_alu instid0(VALU_DEP_2) | instskip(SKIP_1) | instid1(VALU_DEP_1)
	v_cndmask_b32_e32 v28, v29, v26, vcc_lo
	s_wait_dscnt 0x0
	v_fmac_f32_e32 v27, v28, v30
	s_and_saveexec_b32 s7, s2
	s_cbranch_execz .LBB24_458
; %bb.449:
	v_add_nc_u32_e32 v28, 4, v0
	ds_load_b32 v30, v119 offset:16
	s_mov_b32 s2, exec_lo
	v_cmp_eq_u32_e32 vcc_lo, 1, v28
	v_cndmask_b32_e32 v29, v2, v3, vcc_lo
	v_cmp_eq_u32_e32 vcc_lo, 2, v28
	s_delay_alu instid0(VALU_DEP_2) | instskip(SKIP_1) | instid1(VALU_DEP_2)
	v_cndmask_b32_e32 v29, v29, v4, vcc_lo
	v_cmp_eq_u32_e32 vcc_lo, 3, v28
	v_cndmask_b32_e32 v29, v29, v5, vcc_lo
	v_cmp_eq_u32_e32 vcc_lo, 4, v28
	s_delay_alu instid0(VALU_DEP_2) | instskip(SKIP_1) | instid1(VALU_DEP_2)
	v_cndmask_b32_e32 v29, v29, v6, vcc_lo
	;; [unrolled: 5-line block ×11, first 2 shown]
	v_cmp_eq_u32_e32 vcc_lo, 23, v28
	v_cndmask_b32_e32 v29, v29, v25, vcc_lo
	v_cmp_eq_u32_e32 vcc_lo, 24, v28
	s_delay_alu instid0(VALU_DEP_2) | instskip(SKIP_1) | instid1(VALU_DEP_1)
	v_cndmask_b32_e32 v28, v29, v26, vcc_lo
	s_wait_dscnt 0x0
	v_fmac_f32_e32 v27, v28, v30
	v_cmpx_ne_u32_e32 4, v0
	s_cbranch_execz .LBB24_457
; %bb.450:
	v_add_nc_u32_e32 v28, 5, v0
	ds_load_b32 v30, v119 offset:20
	v_cmp_eq_u32_e32 vcc_lo, 1, v28
	v_cndmask_b32_e32 v29, v2, v3, vcc_lo
	v_cmp_eq_u32_e32 vcc_lo, 2, v28
	s_delay_alu instid0(VALU_DEP_2) | instskip(SKIP_1) | instid1(VALU_DEP_2)
	v_cndmask_b32_e32 v29, v29, v4, vcc_lo
	v_cmp_eq_u32_e32 vcc_lo, 3, v28
	v_cndmask_b32_e32 v29, v29, v5, vcc_lo
	v_cmp_eq_u32_e32 vcc_lo, 4, v28
	s_delay_alu instid0(VALU_DEP_2) | instskip(SKIP_1) | instid1(VALU_DEP_2)
	v_cndmask_b32_e32 v29, v29, v6, vcc_lo
	;; [unrolled: 5-line block ×11, first 2 shown]
	v_cmp_eq_u32_e32 vcc_lo, 23, v28
	v_cndmask_b32_e32 v29, v29, v25, vcc_lo
	v_cmp_eq_u32_e32 vcc_lo, 24, v28
	s_delay_alu instid0(VALU_DEP_2) | instskip(SKIP_1) | instid1(VALU_DEP_1)
	v_cndmask_b32_e32 v28, v29, v26, vcc_lo
	s_wait_dscnt 0x0
	v_fmac_f32_e32 v27, v28, v30
	s_and_saveexec_b32 s8, s1
	s_cbranch_execz .LBB24_456
; %bb.451:
	v_add_nc_u32_e32 v28, 6, v0
	ds_load_b32 v30, v119 offset:24
	s_mov_b32 s1, exec_lo
	v_cmp_eq_u32_e32 vcc_lo, 1, v28
	v_cndmask_b32_e32 v29, v2, v3, vcc_lo
	v_cmp_eq_u32_e32 vcc_lo, 2, v28
	s_delay_alu instid0(VALU_DEP_2) | instskip(SKIP_1) | instid1(VALU_DEP_2)
	v_cndmask_b32_e32 v29, v29, v4, vcc_lo
	v_cmp_eq_u32_e32 vcc_lo, 3, v28
	v_cndmask_b32_e32 v29, v29, v5, vcc_lo
	v_cmp_eq_u32_e32 vcc_lo, 4, v28
	s_delay_alu instid0(VALU_DEP_2) | instskip(SKIP_1) | instid1(VALU_DEP_2)
	v_cndmask_b32_e32 v29, v29, v6, vcc_lo
	;; [unrolled: 5-line block ×11, first 2 shown]
	v_cmp_eq_u32_e32 vcc_lo, 23, v28
	v_cndmask_b32_e32 v29, v29, v25, vcc_lo
	v_cmp_eq_u32_e32 vcc_lo, 24, v28
	s_delay_alu instid0(VALU_DEP_2) | instskip(SKIP_1) | instid1(VALU_DEP_1)
	v_cndmask_b32_e32 v28, v29, v26, vcc_lo
	s_wait_dscnt 0x0
	v_fmac_f32_e32 v27, v28, v30
	v_cmpx_ne_u32_e32 2, v0
	s_cbranch_execz .LBB24_455
; %bb.452:
	v_add_nc_u32_e32 v28, 7, v0
	s_delay_alu instid0(VALU_DEP_1) | instskip(SKIP_2) | instid1(VALU_DEP_2)
	v_cmp_eq_u32_e32 vcc_lo, 1, v28
	v_cndmask_b32_e32 v29, v2, v3, vcc_lo
	v_cmp_eq_u32_e32 vcc_lo, 2, v28
	v_cndmask_b32_e32 v29, v29, v4, vcc_lo
	v_cmp_eq_u32_e32 vcc_lo, 3, v28
	s_delay_alu instid0(VALU_DEP_2) | instskip(SKIP_1) | instid1(VALU_DEP_2)
	v_cndmask_b32_e32 v29, v29, v5, vcc_lo
	v_cmp_eq_u32_e32 vcc_lo, 4, v28
	v_cndmask_b32_e32 v29, v29, v6, vcc_lo
	v_cmp_eq_u32_e32 vcc_lo, 5, v28
	s_delay_alu instid0(VALU_DEP_2) | instskip(SKIP_1) | instid1(VALU_DEP_2)
	;; [unrolled: 5-line block ×3, first 2 shown]
	v_cndmask_b32_e32 v29, v29, v9, vcc_lo
	v_cmp_eq_u32_e32 vcc_lo, 8, v28
	v_cndmask_b32_e32 v29, v29, v10, vcc_lo
	v_cmp_eq_u32_e32 vcc_lo, 9, v28
	s_delay_alu instid0(VALU_DEP_2) | instskip(SKIP_4) | instid1(VALU_DEP_2)
	v_cndmask_b32_e32 v11, v29, v11, vcc_lo
	v_cmp_eq_u32_e32 vcc_lo, 10, v28
	ds_load_b32 v29, v119 offset:28
	v_cndmask_b32_e32 v11, v11, v12, vcc_lo
	v_cmp_eq_u32_e32 vcc_lo, 11, v28
	v_cndmask_b32_e32 v11, v11, v13, vcc_lo
	v_cmp_eq_u32_e32 vcc_lo, 12, v28
	s_delay_alu instid0(VALU_DEP_2) | instskip(SKIP_1) | instid1(VALU_DEP_2)
	v_cndmask_b32_e32 v11, v11, v14, vcc_lo
	v_cmp_eq_u32_e32 vcc_lo, 13, v28
	v_cndmask_b32_e32 v11, v11, v15, vcc_lo
	v_cmp_eq_u32_e32 vcc_lo, 14, v28
	s_delay_alu instid0(VALU_DEP_2) | instskip(SKIP_1) | instid1(VALU_DEP_2)
	;; [unrolled: 5-line block ×6, first 2 shown]
	v_cndmask_b32_e32 v11, v11, v24, vcc_lo
	v_cmp_eq_u32_e32 vcc_lo, 23, v28
	v_cndmask_b32_e32 v11, v11, v25, vcc_lo
	v_cmp_eq_u32_e32 vcc_lo, 24, v28
	s_delay_alu instid0(VALU_DEP_2) | instskip(SKIP_1) | instid1(VALU_DEP_1)
	v_cndmask_b32_e32 v11, v11, v26, vcc_lo
	s_wait_dscnt 0x0
	v_fmac_f32_e32 v27, v11, v29
	s_and_saveexec_b32 s9, s0
	s_cbranch_execz .LBB24_454
; %bb.453:
	ds_load_b32 v11, v119 offset:32
	s_wait_dscnt 0x0
	v_fmac_f32_e32 v27, v10, v11
.LBB24_454:
	s_or_b32 exec_lo, exec_lo, s9
.LBB24_455:
	s_delay_alu instid0(SALU_CYCLE_1)
	s_or_b32 exec_lo, exec_lo, s1
.LBB24_456:
	s_delay_alu instid0(SALU_CYCLE_1)
	s_or_b32 exec_lo, exec_lo, s8
.LBB24_457:
	s_delay_alu instid0(SALU_CYCLE_1)
	s_or_b32 exec_lo, exec_lo, s2
.LBB24_458:
	s_delay_alu instid0(SALU_CYCLE_1)
	s_or_b32 exec_lo, exec_lo, s7
.LBB24_459:
	s_delay_alu instid0(SALU_CYCLE_1)
	s_or_b32 exec_lo, exec_lo, s3
.LBB24_460:
	s_delay_alu instid0(SALU_CYCLE_1)
	s_or_b32 exec_lo, exec_lo, s6
.LBB24_461:
	s_delay_alu instid0(SALU_CYCLE_1)
	s_or_b32 exec_lo, exec_lo, s5
	v_mov_b32_e32 v11, 0
	ds_load_b32 v11, v11 offset:36
	s_wait_dscnt 0x0
	v_mul_f32_e32 v11, v27, v11
.LBB24_462:
	s_or_b32 exec_lo, exec_lo, s4
	s_delay_alu instid0(SALU_CYCLE_1)
	s_mov_b32 s0, exec_lo
	ds_store_b32 v119, v12
	s_wait_dscnt 0x0
	s_barrier_signal -1
	s_barrier_wait -1
	v_cmpx_gt_u32_e32 10, v0
	s_cbranch_execz .LBB24_472
; %bb.463:
	v_cmp_ne_u32_e32 vcc_lo, 1, v34
	s_cbranch_vccnz .LBB24_465
; %bb.464:
	v_cmp_eq_u32_e32 vcc_lo, 1, v0
	ds_load_b32 v28, v119
	v_cndmask_b32_e32 v27, v2, v3, vcc_lo
	v_cmp_eq_u32_e32 vcc_lo, 2, v0
	s_delay_alu instid0(VALU_DEP_2) | instskip(SKIP_1) | instid1(VALU_DEP_2)
	v_cndmask_b32_e32 v27, v27, v4, vcc_lo
	v_cmp_eq_u32_e32 vcc_lo, 3, v0
	v_cndmask_b32_e32 v27, v27, v5, vcc_lo
	v_cmp_eq_u32_e32 vcc_lo, 4, v0
	s_delay_alu instid0(VALU_DEP_2) | instskip(SKIP_1) | instid1(VALU_DEP_2)
	v_cndmask_b32_e32 v27, v27, v6, vcc_lo
	v_cmp_eq_u32_e32 vcc_lo, 5, v0
	;; [unrolled: 5-line block ×11, first 2 shown]
	v_cndmask_b32_e32 v27, v27, v25, vcc_lo
	v_cmp_eq_u32_e32 vcc_lo, 24, v0
	s_delay_alu instid0(VALU_DEP_2) | instskip(SKIP_1) | instid1(VALU_DEP_1)
	v_cndmask_b32_e32 v27, v27, v26, vcc_lo
	s_wait_dscnt 0x0
	v_mul_f32_e32 v27, v27, v28
	s_cbranch_execz .LBB24_466
	s_branch .LBB24_467
.LBB24_465:
                                        ; implicit-def: $vgpr27
.LBB24_466:
	ds_load_b32 v27, v119
.LBB24_467:
	s_mov_b32 s1, exec_lo
	v_cmpx_ne_u32_e32 9, v0
	s_cbranch_execz .LBB24_471
; %bb.468:
	v_mov_b64_e32 v[28:29], v[0:1]
	v_lshl_add_u32 v30, v0, 2, 0x74
	s_mov_b32 s2, 0
.LBB24_469:                             ; =>This Inner Loop Header: Depth=1
	s_delay_alu instid0(VALU_DEP_2)
	v_add_nc_u64_e32 v[28:29], 1, v[28:29]
	ds_load_b32 v32, v30
	v_add_nc_u32_e32 v30, 4, v30
	v_cmp_eq_u32_e32 vcc_lo, 1, v28
	v_cndmask_b32_e32 v31, v2, v3, vcc_lo
	v_cmp_eq_u32_e32 vcc_lo, 2, v28
	s_delay_alu instid0(VALU_DEP_2) | instskip(SKIP_1) | instid1(VALU_DEP_2)
	v_cndmask_b32_e32 v31, v31, v4, vcc_lo
	v_cmp_eq_u32_e32 vcc_lo, 3, v28
	v_cndmask_b32_e32 v31, v31, v5, vcc_lo
	v_cmp_eq_u32_e32 vcc_lo, 4, v28
	s_delay_alu instid0(VALU_DEP_2) | instskip(SKIP_1) | instid1(VALU_DEP_2)
	v_cndmask_b32_e32 v31, v31, v6, vcc_lo
	;; [unrolled: 5-line block ×11, first 2 shown]
	v_cmp_eq_u32_e32 vcc_lo, 23, v28
	v_cndmask_b32_e32 v31, v31, v25, vcc_lo
	v_cmp_eq_u32_e32 vcc_lo, 24, v28
	s_delay_alu instid0(VALU_DEP_2) | instskip(SKIP_2) | instid1(VALU_DEP_2)
	v_cndmask_b32_e32 v31, v31, v26, vcc_lo
	v_cmp_lt_u32_e32 vcc_lo, 8, v28
	s_wait_dscnt 0x0
	v_fmac_f32_e32 v27, v31, v32
	s_or_b32 s2, vcc_lo, s2
	s_delay_alu instid0(SALU_CYCLE_1)
	s_and_not1_b32 exec_lo, exec_lo, s2
	s_cbranch_execnz .LBB24_469
; %bb.470:
	s_or_b32 exec_lo, exec_lo, s2
.LBB24_471:
	s_delay_alu instid0(SALU_CYCLE_1)
	s_or_b32 exec_lo, exec_lo, s1
	v_mov_b32_e32 v12, 0
	ds_load_b32 v12, v12 offset:40
	s_wait_dscnt 0x0
	v_mul_f32_e32 v12, v27, v12
.LBB24_472:
	s_or_b32 exec_lo, exec_lo, s0
	s_delay_alu instid0(SALU_CYCLE_1)
	s_mov_b32 s0, exec_lo
	ds_store_b32 v119, v13
	s_wait_dscnt 0x0
	s_barrier_signal -1
	s_barrier_wait -1
	v_cmpx_gt_u32_e32 11, v0
	s_cbranch_execz .LBB24_482
; %bb.473:
	v_cmp_ne_u32_e32 vcc_lo, 1, v34
	s_cbranch_vccnz .LBB24_475
; %bb.474:
	v_cmp_eq_u32_e32 vcc_lo, 1, v0
	ds_load_b32 v28, v119
	v_cndmask_b32_e32 v27, v2, v3, vcc_lo
	v_cmp_eq_u32_e32 vcc_lo, 2, v0
	s_delay_alu instid0(VALU_DEP_2) | instskip(SKIP_1) | instid1(VALU_DEP_2)
	v_cndmask_b32_e32 v27, v27, v4, vcc_lo
	v_cmp_eq_u32_e32 vcc_lo, 3, v0
	v_cndmask_b32_e32 v27, v27, v5, vcc_lo
	v_cmp_eq_u32_e32 vcc_lo, 4, v0
	s_delay_alu instid0(VALU_DEP_2) | instskip(SKIP_1) | instid1(VALU_DEP_2)
	v_cndmask_b32_e32 v27, v27, v6, vcc_lo
	v_cmp_eq_u32_e32 vcc_lo, 5, v0
	;; [unrolled: 5-line block ×11, first 2 shown]
	v_cndmask_b32_e32 v27, v27, v25, vcc_lo
	v_cmp_eq_u32_e32 vcc_lo, 24, v0
	s_delay_alu instid0(VALU_DEP_2) | instskip(SKIP_1) | instid1(VALU_DEP_1)
	v_cndmask_b32_e32 v27, v27, v26, vcc_lo
	s_wait_dscnt 0x0
	v_mul_f32_e32 v27, v27, v28
	s_cbranch_execz .LBB24_476
	s_branch .LBB24_477
.LBB24_475:
                                        ; implicit-def: $vgpr27
.LBB24_476:
	ds_load_b32 v27, v119
.LBB24_477:
	s_mov_b32 s1, exec_lo
	v_cmpx_ne_u32_e32 10, v0
	s_cbranch_execz .LBB24_481
; %bb.478:
	v_mov_b64_e32 v[28:29], v[0:1]
	v_lshl_add_u32 v30, v0, 2, 0x74
	s_mov_b32 s2, 0
.LBB24_479:                             ; =>This Inner Loop Header: Depth=1
	s_delay_alu instid0(VALU_DEP_2)
	v_add_nc_u64_e32 v[28:29], 1, v[28:29]
	ds_load_b32 v32, v30
	v_add_nc_u32_e32 v30, 4, v30
	v_cmp_eq_u32_e32 vcc_lo, 1, v28
	v_cndmask_b32_e32 v31, v2, v3, vcc_lo
	v_cmp_eq_u32_e32 vcc_lo, 2, v28
	s_delay_alu instid0(VALU_DEP_2) | instskip(SKIP_1) | instid1(VALU_DEP_2)
	v_cndmask_b32_e32 v31, v31, v4, vcc_lo
	v_cmp_eq_u32_e32 vcc_lo, 3, v28
	v_cndmask_b32_e32 v31, v31, v5, vcc_lo
	v_cmp_eq_u32_e32 vcc_lo, 4, v28
	s_delay_alu instid0(VALU_DEP_2) | instskip(SKIP_1) | instid1(VALU_DEP_2)
	v_cndmask_b32_e32 v31, v31, v6, vcc_lo
	;; [unrolled: 5-line block ×11, first 2 shown]
	v_cmp_eq_u32_e32 vcc_lo, 23, v28
	v_cndmask_b32_e32 v31, v31, v25, vcc_lo
	v_cmp_eq_u32_e32 vcc_lo, 24, v28
	s_delay_alu instid0(VALU_DEP_2) | instskip(SKIP_2) | instid1(VALU_DEP_2)
	v_cndmask_b32_e32 v31, v31, v26, vcc_lo
	v_cmp_lt_u32_e32 vcc_lo, 9, v28
	s_wait_dscnt 0x0
	v_fmac_f32_e32 v27, v31, v32
	s_or_b32 s2, vcc_lo, s2
	s_delay_alu instid0(SALU_CYCLE_1)
	s_and_not1_b32 exec_lo, exec_lo, s2
	s_cbranch_execnz .LBB24_479
; %bb.480:
	s_or_b32 exec_lo, exec_lo, s2
.LBB24_481:
	s_delay_alu instid0(SALU_CYCLE_1)
	s_or_b32 exec_lo, exec_lo, s1
	v_mov_b32_e32 v13, 0
	ds_load_b32 v13, v13 offset:44
	s_wait_dscnt 0x0
	v_mul_f32_e32 v13, v27, v13
.LBB24_482:
	s_or_b32 exec_lo, exec_lo, s0
	s_delay_alu instid0(SALU_CYCLE_1)
	s_mov_b32 s0, exec_lo
	ds_store_b32 v119, v14
	s_wait_dscnt 0x0
	s_barrier_signal -1
	s_barrier_wait -1
	v_cmpx_gt_u32_e32 12, v0
	s_cbranch_execz .LBB24_492
; %bb.483:
	v_cmp_ne_u32_e32 vcc_lo, 1, v34
	s_cbranch_vccnz .LBB24_485
; %bb.484:
	v_cmp_eq_u32_e32 vcc_lo, 1, v0
	ds_load_b32 v28, v119
	v_cndmask_b32_e32 v27, v2, v3, vcc_lo
	v_cmp_eq_u32_e32 vcc_lo, 2, v0
	s_delay_alu instid0(VALU_DEP_2) | instskip(SKIP_1) | instid1(VALU_DEP_2)
	v_cndmask_b32_e32 v27, v27, v4, vcc_lo
	v_cmp_eq_u32_e32 vcc_lo, 3, v0
	v_cndmask_b32_e32 v27, v27, v5, vcc_lo
	v_cmp_eq_u32_e32 vcc_lo, 4, v0
	s_delay_alu instid0(VALU_DEP_2) | instskip(SKIP_1) | instid1(VALU_DEP_2)
	v_cndmask_b32_e32 v27, v27, v6, vcc_lo
	v_cmp_eq_u32_e32 vcc_lo, 5, v0
	v_cndmask_b32_e32 v27, v27, v7, vcc_lo
	v_cmp_eq_u32_e32 vcc_lo, 6, v0
	s_delay_alu instid0(VALU_DEP_2) | instskip(SKIP_1) | instid1(VALU_DEP_2)
	v_cndmask_b32_e32 v27, v27, v8, vcc_lo
	v_cmp_eq_u32_e32 vcc_lo, 7, v0
	v_cndmask_b32_e32 v27, v27, v9, vcc_lo
	v_cmp_eq_u32_e32 vcc_lo, 8, v0
	s_delay_alu instid0(VALU_DEP_2) | instskip(SKIP_1) | instid1(VALU_DEP_2)
	v_cndmask_b32_e32 v27, v27, v10, vcc_lo
	v_cmp_eq_u32_e32 vcc_lo, 9, v0
	v_cndmask_b32_e32 v27, v27, v11, vcc_lo
	v_cmp_eq_u32_e32 vcc_lo, 10, v0
	s_delay_alu instid0(VALU_DEP_2) | instskip(SKIP_1) | instid1(VALU_DEP_2)
	v_cndmask_b32_e32 v27, v27, v12, vcc_lo
	v_cmp_eq_u32_e32 vcc_lo, 11, v0
	v_cndmask_b32_e32 v27, v27, v13, vcc_lo
	v_cmp_eq_u32_e32 vcc_lo, 12, v0
	s_delay_alu instid0(VALU_DEP_2) | instskip(SKIP_1) | instid1(VALU_DEP_2)
	v_cndmask_b32_e32 v27, v27, v14, vcc_lo
	v_cmp_eq_u32_e32 vcc_lo, 13, v0
	v_cndmask_b32_e32 v27, v27, v15, vcc_lo
	v_cmp_eq_u32_e32 vcc_lo, 14, v0
	s_delay_alu instid0(VALU_DEP_2) | instskip(SKIP_1) | instid1(VALU_DEP_2)
	v_cndmask_b32_e32 v27, v27, v16, vcc_lo
	v_cmp_eq_u32_e32 vcc_lo, 15, v0
	v_cndmask_b32_e32 v27, v27, v17, vcc_lo
	v_cmp_eq_u32_e32 vcc_lo, 16, v0
	s_delay_alu instid0(VALU_DEP_2) | instskip(SKIP_1) | instid1(VALU_DEP_2)
	v_cndmask_b32_e32 v27, v27, v18, vcc_lo
	v_cmp_eq_u32_e32 vcc_lo, 17, v0
	v_cndmask_b32_e32 v27, v27, v19, vcc_lo
	v_cmp_eq_u32_e32 vcc_lo, 18, v0
	s_delay_alu instid0(VALU_DEP_2) | instskip(SKIP_1) | instid1(VALU_DEP_2)
	v_cndmask_b32_e32 v27, v27, v20, vcc_lo
	v_cmp_eq_u32_e32 vcc_lo, 19, v0
	v_cndmask_b32_e32 v27, v27, v21, vcc_lo
	v_cmp_eq_u32_e32 vcc_lo, 20, v0
	s_delay_alu instid0(VALU_DEP_2) | instskip(SKIP_1) | instid1(VALU_DEP_2)
	v_cndmask_b32_e32 v27, v27, v22, vcc_lo
	v_cmp_eq_u32_e32 vcc_lo, 21, v0
	v_cndmask_b32_e32 v27, v27, v23, vcc_lo
	v_cmp_eq_u32_e32 vcc_lo, 22, v0
	s_delay_alu instid0(VALU_DEP_2) | instskip(SKIP_1) | instid1(VALU_DEP_2)
	v_cndmask_b32_e32 v27, v27, v24, vcc_lo
	v_cmp_eq_u32_e32 vcc_lo, 23, v0
	v_cndmask_b32_e32 v27, v27, v25, vcc_lo
	v_cmp_eq_u32_e32 vcc_lo, 24, v0
	s_delay_alu instid0(VALU_DEP_2) | instskip(SKIP_1) | instid1(VALU_DEP_1)
	v_cndmask_b32_e32 v27, v27, v26, vcc_lo
	s_wait_dscnt 0x0
	v_mul_f32_e32 v27, v27, v28
	s_cbranch_execz .LBB24_486
	s_branch .LBB24_487
.LBB24_485:
                                        ; implicit-def: $vgpr27
.LBB24_486:
	ds_load_b32 v27, v119
.LBB24_487:
	s_mov_b32 s1, exec_lo
	v_cmpx_ne_u32_e32 11, v0
	s_cbranch_execz .LBB24_491
; %bb.488:
	v_mov_b64_e32 v[28:29], v[0:1]
	v_lshl_add_u32 v30, v0, 2, 0x74
	s_mov_b32 s2, 0
.LBB24_489:                             ; =>This Inner Loop Header: Depth=1
	s_delay_alu instid0(VALU_DEP_2)
	v_add_nc_u64_e32 v[28:29], 1, v[28:29]
	ds_load_b32 v32, v30
	v_add_nc_u32_e32 v30, 4, v30
	v_cmp_eq_u32_e32 vcc_lo, 1, v28
	v_cndmask_b32_e32 v31, v2, v3, vcc_lo
	v_cmp_eq_u32_e32 vcc_lo, 2, v28
	s_delay_alu instid0(VALU_DEP_2) | instskip(SKIP_1) | instid1(VALU_DEP_2)
	v_cndmask_b32_e32 v31, v31, v4, vcc_lo
	v_cmp_eq_u32_e32 vcc_lo, 3, v28
	v_cndmask_b32_e32 v31, v31, v5, vcc_lo
	v_cmp_eq_u32_e32 vcc_lo, 4, v28
	s_delay_alu instid0(VALU_DEP_2) | instskip(SKIP_1) | instid1(VALU_DEP_2)
	v_cndmask_b32_e32 v31, v31, v6, vcc_lo
	;; [unrolled: 5-line block ×11, first 2 shown]
	v_cmp_eq_u32_e32 vcc_lo, 23, v28
	v_cndmask_b32_e32 v31, v31, v25, vcc_lo
	v_cmp_eq_u32_e32 vcc_lo, 24, v28
	s_delay_alu instid0(VALU_DEP_2) | instskip(SKIP_2) | instid1(VALU_DEP_2)
	v_cndmask_b32_e32 v31, v31, v26, vcc_lo
	v_cmp_lt_u32_e32 vcc_lo, 10, v28
	s_wait_dscnt 0x0
	v_fmac_f32_e32 v27, v31, v32
	s_or_b32 s2, vcc_lo, s2
	s_delay_alu instid0(SALU_CYCLE_1)
	s_and_not1_b32 exec_lo, exec_lo, s2
	s_cbranch_execnz .LBB24_489
; %bb.490:
	s_or_b32 exec_lo, exec_lo, s2
.LBB24_491:
	s_delay_alu instid0(SALU_CYCLE_1)
	s_or_b32 exec_lo, exec_lo, s1
	v_mov_b32_e32 v14, 0
	ds_load_b32 v14, v14 offset:48
	s_wait_dscnt 0x0
	v_mul_f32_e32 v14, v27, v14
.LBB24_492:
	s_or_b32 exec_lo, exec_lo, s0
	s_delay_alu instid0(SALU_CYCLE_1)
	s_mov_b32 s0, exec_lo
	ds_store_b32 v119, v15
	s_wait_dscnt 0x0
	s_barrier_signal -1
	s_barrier_wait -1
	v_cmpx_gt_u32_e32 13, v0
	s_cbranch_execz .LBB24_502
; %bb.493:
	v_cmp_ne_u32_e32 vcc_lo, 1, v34
	s_cbranch_vccnz .LBB24_495
; %bb.494:
	v_cmp_eq_u32_e32 vcc_lo, 1, v0
	ds_load_b32 v28, v119
	v_cndmask_b32_e32 v27, v2, v3, vcc_lo
	v_cmp_eq_u32_e32 vcc_lo, 2, v0
	s_delay_alu instid0(VALU_DEP_2) | instskip(SKIP_1) | instid1(VALU_DEP_2)
	v_cndmask_b32_e32 v27, v27, v4, vcc_lo
	v_cmp_eq_u32_e32 vcc_lo, 3, v0
	v_cndmask_b32_e32 v27, v27, v5, vcc_lo
	v_cmp_eq_u32_e32 vcc_lo, 4, v0
	s_delay_alu instid0(VALU_DEP_2) | instskip(SKIP_1) | instid1(VALU_DEP_2)
	v_cndmask_b32_e32 v27, v27, v6, vcc_lo
	v_cmp_eq_u32_e32 vcc_lo, 5, v0
	;; [unrolled: 5-line block ×11, first 2 shown]
	v_cndmask_b32_e32 v27, v27, v25, vcc_lo
	v_cmp_eq_u32_e32 vcc_lo, 24, v0
	s_delay_alu instid0(VALU_DEP_2) | instskip(SKIP_1) | instid1(VALU_DEP_1)
	v_cndmask_b32_e32 v27, v27, v26, vcc_lo
	s_wait_dscnt 0x0
	v_mul_f32_e32 v27, v27, v28
	s_cbranch_execz .LBB24_496
	s_branch .LBB24_497
.LBB24_495:
                                        ; implicit-def: $vgpr27
.LBB24_496:
	ds_load_b32 v27, v119
.LBB24_497:
	s_mov_b32 s1, exec_lo
	v_cmpx_ne_u32_e32 12, v0
	s_cbranch_execz .LBB24_501
; %bb.498:
	v_mov_b64_e32 v[28:29], v[0:1]
	v_lshl_add_u32 v30, v0, 2, 0x74
	s_mov_b32 s2, 0
.LBB24_499:                             ; =>This Inner Loop Header: Depth=1
	s_delay_alu instid0(VALU_DEP_2)
	v_add_nc_u64_e32 v[28:29], 1, v[28:29]
	ds_load_b32 v32, v30
	v_add_nc_u32_e32 v30, 4, v30
	v_cmp_eq_u32_e32 vcc_lo, 1, v28
	v_cndmask_b32_e32 v31, v2, v3, vcc_lo
	v_cmp_eq_u32_e32 vcc_lo, 2, v28
	s_delay_alu instid0(VALU_DEP_2) | instskip(SKIP_1) | instid1(VALU_DEP_2)
	v_cndmask_b32_e32 v31, v31, v4, vcc_lo
	v_cmp_eq_u32_e32 vcc_lo, 3, v28
	v_cndmask_b32_e32 v31, v31, v5, vcc_lo
	v_cmp_eq_u32_e32 vcc_lo, 4, v28
	s_delay_alu instid0(VALU_DEP_2) | instskip(SKIP_1) | instid1(VALU_DEP_2)
	v_cndmask_b32_e32 v31, v31, v6, vcc_lo
	;; [unrolled: 5-line block ×11, first 2 shown]
	v_cmp_eq_u32_e32 vcc_lo, 23, v28
	v_cndmask_b32_e32 v31, v31, v25, vcc_lo
	v_cmp_eq_u32_e32 vcc_lo, 24, v28
	s_delay_alu instid0(VALU_DEP_2) | instskip(SKIP_2) | instid1(VALU_DEP_2)
	v_cndmask_b32_e32 v31, v31, v26, vcc_lo
	v_cmp_lt_u32_e32 vcc_lo, 11, v28
	s_wait_dscnt 0x0
	v_fmac_f32_e32 v27, v31, v32
	s_or_b32 s2, vcc_lo, s2
	s_delay_alu instid0(SALU_CYCLE_1)
	s_and_not1_b32 exec_lo, exec_lo, s2
	s_cbranch_execnz .LBB24_499
; %bb.500:
	s_or_b32 exec_lo, exec_lo, s2
.LBB24_501:
	s_delay_alu instid0(SALU_CYCLE_1)
	s_or_b32 exec_lo, exec_lo, s1
	v_mov_b32_e32 v15, 0
	ds_load_b32 v15, v15 offset:52
	s_wait_dscnt 0x0
	v_mul_f32_e32 v15, v27, v15
.LBB24_502:
	s_or_b32 exec_lo, exec_lo, s0
	s_delay_alu instid0(SALU_CYCLE_1)
	s_mov_b32 s0, exec_lo
	ds_store_b32 v119, v16
	s_wait_dscnt 0x0
	s_barrier_signal -1
	s_barrier_wait -1
	v_cmpx_gt_u32_e32 14, v0
	s_cbranch_execz .LBB24_512
; %bb.503:
	v_cmp_ne_u32_e32 vcc_lo, 1, v34
	s_cbranch_vccnz .LBB24_505
; %bb.504:
	v_cmp_eq_u32_e32 vcc_lo, 1, v0
	ds_load_b32 v28, v119
	v_cndmask_b32_e32 v27, v2, v3, vcc_lo
	v_cmp_eq_u32_e32 vcc_lo, 2, v0
	s_delay_alu instid0(VALU_DEP_2) | instskip(SKIP_1) | instid1(VALU_DEP_2)
	v_cndmask_b32_e32 v27, v27, v4, vcc_lo
	v_cmp_eq_u32_e32 vcc_lo, 3, v0
	v_cndmask_b32_e32 v27, v27, v5, vcc_lo
	v_cmp_eq_u32_e32 vcc_lo, 4, v0
	s_delay_alu instid0(VALU_DEP_2) | instskip(SKIP_1) | instid1(VALU_DEP_2)
	v_cndmask_b32_e32 v27, v27, v6, vcc_lo
	v_cmp_eq_u32_e32 vcc_lo, 5, v0
	;; [unrolled: 5-line block ×11, first 2 shown]
	v_cndmask_b32_e32 v27, v27, v25, vcc_lo
	v_cmp_eq_u32_e32 vcc_lo, 24, v0
	s_delay_alu instid0(VALU_DEP_2) | instskip(SKIP_1) | instid1(VALU_DEP_1)
	v_cndmask_b32_e32 v27, v27, v26, vcc_lo
	s_wait_dscnt 0x0
	v_mul_f32_e32 v27, v27, v28
	s_cbranch_execz .LBB24_506
	s_branch .LBB24_507
.LBB24_505:
                                        ; implicit-def: $vgpr27
.LBB24_506:
	ds_load_b32 v27, v119
.LBB24_507:
	s_mov_b32 s1, exec_lo
	v_cmpx_ne_u32_e32 13, v0
	s_cbranch_execz .LBB24_511
; %bb.508:
	v_mov_b64_e32 v[28:29], v[0:1]
	v_lshl_add_u32 v30, v0, 2, 0x74
	s_mov_b32 s2, 0
.LBB24_509:                             ; =>This Inner Loop Header: Depth=1
	s_delay_alu instid0(VALU_DEP_2)
	v_add_nc_u64_e32 v[28:29], 1, v[28:29]
	ds_load_b32 v32, v30
	v_add_nc_u32_e32 v30, 4, v30
	v_cmp_eq_u32_e32 vcc_lo, 1, v28
	v_cndmask_b32_e32 v31, v2, v3, vcc_lo
	v_cmp_eq_u32_e32 vcc_lo, 2, v28
	s_delay_alu instid0(VALU_DEP_2) | instskip(SKIP_1) | instid1(VALU_DEP_2)
	v_cndmask_b32_e32 v31, v31, v4, vcc_lo
	v_cmp_eq_u32_e32 vcc_lo, 3, v28
	v_cndmask_b32_e32 v31, v31, v5, vcc_lo
	v_cmp_eq_u32_e32 vcc_lo, 4, v28
	s_delay_alu instid0(VALU_DEP_2) | instskip(SKIP_1) | instid1(VALU_DEP_2)
	v_cndmask_b32_e32 v31, v31, v6, vcc_lo
	;; [unrolled: 5-line block ×11, first 2 shown]
	v_cmp_eq_u32_e32 vcc_lo, 23, v28
	v_cndmask_b32_e32 v31, v31, v25, vcc_lo
	v_cmp_eq_u32_e32 vcc_lo, 24, v28
	s_delay_alu instid0(VALU_DEP_2) | instskip(SKIP_2) | instid1(VALU_DEP_2)
	v_cndmask_b32_e32 v31, v31, v26, vcc_lo
	v_cmp_lt_u32_e32 vcc_lo, 12, v28
	s_wait_dscnt 0x0
	v_fmac_f32_e32 v27, v31, v32
	s_or_b32 s2, vcc_lo, s2
	s_delay_alu instid0(SALU_CYCLE_1)
	s_and_not1_b32 exec_lo, exec_lo, s2
	s_cbranch_execnz .LBB24_509
; %bb.510:
	s_or_b32 exec_lo, exec_lo, s2
.LBB24_511:
	s_delay_alu instid0(SALU_CYCLE_1)
	s_or_b32 exec_lo, exec_lo, s1
	v_mov_b32_e32 v16, 0
	ds_load_b32 v16, v16 offset:56
	s_wait_dscnt 0x0
	v_mul_f32_e32 v16, v27, v16
.LBB24_512:
	s_or_b32 exec_lo, exec_lo, s0
	s_delay_alu instid0(SALU_CYCLE_1)
	s_mov_b32 s0, exec_lo
	ds_store_b32 v119, v17
	s_wait_dscnt 0x0
	s_barrier_signal -1
	s_barrier_wait -1
	v_cmpx_gt_u32_e32 15, v0
	s_cbranch_execz .LBB24_522
; %bb.513:
	v_cmp_ne_u32_e32 vcc_lo, 1, v34
	s_cbranch_vccnz .LBB24_515
; %bb.514:
	v_cmp_eq_u32_e32 vcc_lo, 1, v0
	ds_load_b32 v28, v119
	v_cndmask_b32_e32 v27, v2, v3, vcc_lo
	v_cmp_eq_u32_e32 vcc_lo, 2, v0
	s_delay_alu instid0(VALU_DEP_2) | instskip(SKIP_1) | instid1(VALU_DEP_2)
	v_cndmask_b32_e32 v27, v27, v4, vcc_lo
	v_cmp_eq_u32_e32 vcc_lo, 3, v0
	v_cndmask_b32_e32 v27, v27, v5, vcc_lo
	v_cmp_eq_u32_e32 vcc_lo, 4, v0
	s_delay_alu instid0(VALU_DEP_2) | instskip(SKIP_1) | instid1(VALU_DEP_2)
	v_cndmask_b32_e32 v27, v27, v6, vcc_lo
	v_cmp_eq_u32_e32 vcc_lo, 5, v0
	;; [unrolled: 5-line block ×11, first 2 shown]
	v_cndmask_b32_e32 v27, v27, v25, vcc_lo
	v_cmp_eq_u32_e32 vcc_lo, 24, v0
	s_delay_alu instid0(VALU_DEP_2) | instskip(SKIP_1) | instid1(VALU_DEP_1)
	v_cndmask_b32_e32 v27, v27, v26, vcc_lo
	s_wait_dscnt 0x0
	v_mul_f32_e32 v27, v27, v28
	s_cbranch_execz .LBB24_516
	s_branch .LBB24_517
.LBB24_515:
                                        ; implicit-def: $vgpr27
.LBB24_516:
	ds_load_b32 v27, v119
.LBB24_517:
	s_mov_b32 s1, exec_lo
	v_cmpx_ne_u32_e32 14, v0
	s_cbranch_execz .LBB24_521
; %bb.518:
	v_mov_b64_e32 v[28:29], v[0:1]
	v_lshl_add_u32 v30, v0, 2, 0x74
	s_mov_b32 s2, 0
.LBB24_519:                             ; =>This Inner Loop Header: Depth=1
	s_delay_alu instid0(VALU_DEP_2)
	v_add_nc_u64_e32 v[28:29], 1, v[28:29]
	ds_load_b32 v32, v30
	v_add_nc_u32_e32 v30, 4, v30
	v_cmp_eq_u32_e32 vcc_lo, 1, v28
	v_cndmask_b32_e32 v31, v2, v3, vcc_lo
	v_cmp_eq_u32_e32 vcc_lo, 2, v28
	s_delay_alu instid0(VALU_DEP_2) | instskip(SKIP_1) | instid1(VALU_DEP_2)
	v_cndmask_b32_e32 v31, v31, v4, vcc_lo
	v_cmp_eq_u32_e32 vcc_lo, 3, v28
	v_cndmask_b32_e32 v31, v31, v5, vcc_lo
	v_cmp_eq_u32_e32 vcc_lo, 4, v28
	s_delay_alu instid0(VALU_DEP_2) | instskip(SKIP_1) | instid1(VALU_DEP_2)
	v_cndmask_b32_e32 v31, v31, v6, vcc_lo
	;; [unrolled: 5-line block ×11, first 2 shown]
	v_cmp_eq_u32_e32 vcc_lo, 23, v28
	v_cndmask_b32_e32 v31, v31, v25, vcc_lo
	v_cmp_eq_u32_e32 vcc_lo, 24, v28
	s_delay_alu instid0(VALU_DEP_2) | instskip(SKIP_2) | instid1(VALU_DEP_2)
	v_cndmask_b32_e32 v31, v31, v26, vcc_lo
	v_cmp_lt_u32_e32 vcc_lo, 13, v28
	s_wait_dscnt 0x0
	v_fmac_f32_e32 v27, v31, v32
	s_or_b32 s2, vcc_lo, s2
	s_delay_alu instid0(SALU_CYCLE_1)
	s_and_not1_b32 exec_lo, exec_lo, s2
	s_cbranch_execnz .LBB24_519
; %bb.520:
	s_or_b32 exec_lo, exec_lo, s2
.LBB24_521:
	s_delay_alu instid0(SALU_CYCLE_1)
	s_or_b32 exec_lo, exec_lo, s1
	v_mov_b32_e32 v17, 0
	ds_load_b32 v17, v17 offset:60
	s_wait_dscnt 0x0
	v_mul_f32_e32 v17, v27, v17
.LBB24_522:
	s_or_b32 exec_lo, exec_lo, s0
	s_delay_alu instid0(SALU_CYCLE_1)
	s_mov_b32 s0, exec_lo
	ds_store_b32 v119, v18
	s_wait_dscnt 0x0
	s_barrier_signal -1
	s_barrier_wait -1
	v_cmpx_gt_u32_e32 16, v0
	s_cbranch_execz .LBB24_532
; %bb.523:
	v_cmp_ne_u32_e32 vcc_lo, 1, v34
	s_cbranch_vccnz .LBB24_525
; %bb.524:
	v_cmp_eq_u32_e32 vcc_lo, 1, v0
	ds_load_b32 v28, v119
	v_cndmask_b32_e32 v27, v2, v3, vcc_lo
	v_cmp_eq_u32_e32 vcc_lo, 2, v0
	s_delay_alu instid0(VALU_DEP_2) | instskip(SKIP_1) | instid1(VALU_DEP_2)
	v_cndmask_b32_e32 v27, v27, v4, vcc_lo
	v_cmp_eq_u32_e32 vcc_lo, 3, v0
	v_cndmask_b32_e32 v27, v27, v5, vcc_lo
	v_cmp_eq_u32_e32 vcc_lo, 4, v0
	s_delay_alu instid0(VALU_DEP_2) | instskip(SKIP_1) | instid1(VALU_DEP_2)
	v_cndmask_b32_e32 v27, v27, v6, vcc_lo
	v_cmp_eq_u32_e32 vcc_lo, 5, v0
	;; [unrolled: 5-line block ×11, first 2 shown]
	v_cndmask_b32_e32 v27, v27, v25, vcc_lo
	v_cmp_eq_u32_e32 vcc_lo, 24, v0
	s_delay_alu instid0(VALU_DEP_2) | instskip(SKIP_1) | instid1(VALU_DEP_1)
	v_cndmask_b32_e32 v27, v27, v26, vcc_lo
	s_wait_dscnt 0x0
	v_mul_f32_e32 v27, v27, v28
	s_cbranch_execz .LBB24_526
	s_branch .LBB24_527
.LBB24_525:
                                        ; implicit-def: $vgpr27
.LBB24_526:
	ds_load_b32 v27, v119
.LBB24_527:
	s_mov_b32 s1, exec_lo
	v_cmpx_ne_u32_e32 15, v0
	s_cbranch_execz .LBB24_531
; %bb.528:
	v_mov_b64_e32 v[28:29], v[0:1]
	v_lshl_add_u32 v30, v0, 2, 0x74
	s_mov_b32 s2, 0
.LBB24_529:                             ; =>This Inner Loop Header: Depth=1
	s_delay_alu instid0(VALU_DEP_2)
	v_add_nc_u64_e32 v[28:29], 1, v[28:29]
	ds_load_b32 v32, v30
	v_add_nc_u32_e32 v30, 4, v30
	v_cmp_eq_u32_e32 vcc_lo, 1, v28
	v_cndmask_b32_e32 v31, v2, v3, vcc_lo
	v_cmp_eq_u32_e32 vcc_lo, 2, v28
	s_delay_alu instid0(VALU_DEP_2) | instskip(SKIP_1) | instid1(VALU_DEP_2)
	v_cndmask_b32_e32 v31, v31, v4, vcc_lo
	v_cmp_eq_u32_e32 vcc_lo, 3, v28
	v_cndmask_b32_e32 v31, v31, v5, vcc_lo
	v_cmp_eq_u32_e32 vcc_lo, 4, v28
	s_delay_alu instid0(VALU_DEP_2) | instskip(SKIP_1) | instid1(VALU_DEP_2)
	v_cndmask_b32_e32 v31, v31, v6, vcc_lo
	;; [unrolled: 5-line block ×11, first 2 shown]
	v_cmp_eq_u32_e32 vcc_lo, 23, v28
	v_cndmask_b32_e32 v31, v31, v25, vcc_lo
	v_cmp_eq_u32_e32 vcc_lo, 24, v28
	s_delay_alu instid0(VALU_DEP_2) | instskip(SKIP_2) | instid1(VALU_DEP_2)
	v_cndmask_b32_e32 v31, v31, v26, vcc_lo
	v_cmp_lt_u32_e32 vcc_lo, 14, v28
	s_wait_dscnt 0x0
	v_fmac_f32_e32 v27, v31, v32
	s_or_b32 s2, vcc_lo, s2
	s_delay_alu instid0(SALU_CYCLE_1)
	s_and_not1_b32 exec_lo, exec_lo, s2
	s_cbranch_execnz .LBB24_529
; %bb.530:
	s_or_b32 exec_lo, exec_lo, s2
.LBB24_531:
	s_delay_alu instid0(SALU_CYCLE_1)
	s_or_b32 exec_lo, exec_lo, s1
	v_mov_b32_e32 v18, 0
	ds_load_b32 v18, v18 offset:64
	s_wait_dscnt 0x0
	v_mul_f32_e32 v18, v27, v18
.LBB24_532:
	s_or_b32 exec_lo, exec_lo, s0
	s_delay_alu instid0(SALU_CYCLE_1)
	s_mov_b32 s0, exec_lo
	ds_store_b32 v119, v19
	s_wait_dscnt 0x0
	s_barrier_signal -1
	s_barrier_wait -1
	v_cmpx_gt_u32_e32 17, v0
	s_cbranch_execz .LBB24_542
; %bb.533:
	v_cmp_ne_u32_e32 vcc_lo, 1, v34
	s_cbranch_vccnz .LBB24_535
; %bb.534:
	v_cmp_eq_u32_e32 vcc_lo, 1, v0
	ds_load_b32 v28, v119
	v_cndmask_b32_e32 v27, v2, v3, vcc_lo
	v_cmp_eq_u32_e32 vcc_lo, 2, v0
	s_delay_alu instid0(VALU_DEP_2) | instskip(SKIP_1) | instid1(VALU_DEP_2)
	v_cndmask_b32_e32 v27, v27, v4, vcc_lo
	v_cmp_eq_u32_e32 vcc_lo, 3, v0
	v_cndmask_b32_e32 v27, v27, v5, vcc_lo
	v_cmp_eq_u32_e32 vcc_lo, 4, v0
	s_delay_alu instid0(VALU_DEP_2) | instskip(SKIP_1) | instid1(VALU_DEP_2)
	v_cndmask_b32_e32 v27, v27, v6, vcc_lo
	v_cmp_eq_u32_e32 vcc_lo, 5, v0
	;; [unrolled: 5-line block ×11, first 2 shown]
	v_cndmask_b32_e32 v27, v27, v25, vcc_lo
	v_cmp_eq_u32_e32 vcc_lo, 24, v0
	s_delay_alu instid0(VALU_DEP_2) | instskip(SKIP_1) | instid1(VALU_DEP_1)
	v_cndmask_b32_e32 v27, v27, v26, vcc_lo
	s_wait_dscnt 0x0
	v_mul_f32_e32 v27, v27, v28
	s_cbranch_execz .LBB24_536
	s_branch .LBB24_537
.LBB24_535:
                                        ; implicit-def: $vgpr27
.LBB24_536:
	ds_load_b32 v27, v119
.LBB24_537:
	s_mov_b32 s1, exec_lo
	v_cmpx_ne_u32_e32 16, v0
	s_cbranch_execz .LBB24_541
; %bb.538:
	v_mov_b64_e32 v[28:29], v[0:1]
	v_lshl_add_u32 v30, v0, 2, 0x74
	s_mov_b32 s2, 0
.LBB24_539:                             ; =>This Inner Loop Header: Depth=1
	s_delay_alu instid0(VALU_DEP_2)
	v_add_nc_u64_e32 v[28:29], 1, v[28:29]
	ds_load_b32 v32, v30
	v_add_nc_u32_e32 v30, 4, v30
	v_cmp_eq_u32_e32 vcc_lo, 1, v28
	v_cndmask_b32_e32 v31, v2, v3, vcc_lo
	v_cmp_eq_u32_e32 vcc_lo, 2, v28
	s_delay_alu instid0(VALU_DEP_2) | instskip(SKIP_1) | instid1(VALU_DEP_2)
	v_cndmask_b32_e32 v31, v31, v4, vcc_lo
	v_cmp_eq_u32_e32 vcc_lo, 3, v28
	v_cndmask_b32_e32 v31, v31, v5, vcc_lo
	v_cmp_eq_u32_e32 vcc_lo, 4, v28
	s_delay_alu instid0(VALU_DEP_2) | instskip(SKIP_1) | instid1(VALU_DEP_2)
	v_cndmask_b32_e32 v31, v31, v6, vcc_lo
	v_cmp_eq_u32_e32 vcc_lo, 5, v28
	v_cndmask_b32_e32 v31, v31, v7, vcc_lo
	v_cmp_eq_u32_e32 vcc_lo, 6, v28
	s_delay_alu instid0(VALU_DEP_2) | instskip(SKIP_1) | instid1(VALU_DEP_2)
	v_cndmask_b32_e32 v31, v31, v8, vcc_lo
	v_cmp_eq_u32_e32 vcc_lo, 7, v28
	v_cndmask_b32_e32 v31, v31, v9, vcc_lo
	v_cmp_eq_u32_e32 vcc_lo, 8, v28
	s_delay_alu instid0(VALU_DEP_2) | instskip(SKIP_1) | instid1(VALU_DEP_2)
	v_cndmask_b32_e32 v31, v31, v10, vcc_lo
	v_cmp_eq_u32_e32 vcc_lo, 9, v28
	v_cndmask_b32_e32 v31, v31, v11, vcc_lo
	v_cmp_eq_u32_e32 vcc_lo, 10, v28
	s_delay_alu instid0(VALU_DEP_2) | instskip(SKIP_1) | instid1(VALU_DEP_2)
	v_cndmask_b32_e32 v31, v31, v12, vcc_lo
	v_cmp_eq_u32_e32 vcc_lo, 11, v28
	v_cndmask_b32_e32 v31, v31, v13, vcc_lo
	v_cmp_eq_u32_e32 vcc_lo, 12, v28
	s_delay_alu instid0(VALU_DEP_2) | instskip(SKIP_1) | instid1(VALU_DEP_2)
	v_cndmask_b32_e32 v31, v31, v14, vcc_lo
	v_cmp_eq_u32_e32 vcc_lo, 13, v28
	v_cndmask_b32_e32 v31, v31, v15, vcc_lo
	v_cmp_eq_u32_e32 vcc_lo, 14, v28
	s_delay_alu instid0(VALU_DEP_2) | instskip(SKIP_1) | instid1(VALU_DEP_2)
	v_cndmask_b32_e32 v31, v31, v16, vcc_lo
	v_cmp_eq_u32_e32 vcc_lo, 15, v28
	v_cndmask_b32_e32 v31, v31, v17, vcc_lo
	v_cmp_eq_u32_e32 vcc_lo, 16, v28
	s_delay_alu instid0(VALU_DEP_2) | instskip(SKIP_1) | instid1(VALU_DEP_2)
	v_cndmask_b32_e32 v31, v31, v18, vcc_lo
	v_cmp_eq_u32_e32 vcc_lo, 17, v28
	v_cndmask_b32_e32 v31, v31, v19, vcc_lo
	v_cmp_eq_u32_e32 vcc_lo, 18, v28
	s_delay_alu instid0(VALU_DEP_2) | instskip(SKIP_1) | instid1(VALU_DEP_2)
	v_cndmask_b32_e32 v31, v31, v20, vcc_lo
	v_cmp_eq_u32_e32 vcc_lo, 19, v28
	v_cndmask_b32_e32 v31, v31, v21, vcc_lo
	v_cmp_eq_u32_e32 vcc_lo, 20, v28
	s_delay_alu instid0(VALU_DEP_2) | instskip(SKIP_1) | instid1(VALU_DEP_2)
	v_cndmask_b32_e32 v31, v31, v22, vcc_lo
	v_cmp_eq_u32_e32 vcc_lo, 21, v28
	v_cndmask_b32_e32 v31, v31, v23, vcc_lo
	v_cmp_eq_u32_e32 vcc_lo, 22, v28
	s_delay_alu instid0(VALU_DEP_2) | instskip(SKIP_1) | instid1(VALU_DEP_2)
	v_cndmask_b32_e32 v31, v31, v24, vcc_lo
	v_cmp_eq_u32_e32 vcc_lo, 23, v28
	v_cndmask_b32_e32 v31, v31, v25, vcc_lo
	v_cmp_eq_u32_e32 vcc_lo, 24, v28
	s_delay_alu instid0(VALU_DEP_2) | instskip(SKIP_2) | instid1(VALU_DEP_2)
	v_cndmask_b32_e32 v31, v31, v26, vcc_lo
	v_cmp_lt_u32_e32 vcc_lo, 15, v28
	s_wait_dscnt 0x0
	v_fmac_f32_e32 v27, v31, v32
	s_or_b32 s2, vcc_lo, s2
	s_delay_alu instid0(SALU_CYCLE_1)
	s_and_not1_b32 exec_lo, exec_lo, s2
	s_cbranch_execnz .LBB24_539
; %bb.540:
	s_or_b32 exec_lo, exec_lo, s2
.LBB24_541:
	s_delay_alu instid0(SALU_CYCLE_1)
	s_or_b32 exec_lo, exec_lo, s1
	v_mov_b32_e32 v19, 0
	ds_load_b32 v19, v19 offset:68
	s_wait_dscnt 0x0
	v_mul_f32_e32 v19, v27, v19
.LBB24_542:
	s_or_b32 exec_lo, exec_lo, s0
	s_delay_alu instid0(SALU_CYCLE_1)
	s_mov_b32 s0, exec_lo
	ds_store_b32 v119, v20
	s_wait_dscnt 0x0
	s_barrier_signal -1
	s_barrier_wait -1
	v_cmpx_gt_u32_e32 18, v0
	s_cbranch_execz .LBB24_552
; %bb.543:
	v_cmp_ne_u32_e32 vcc_lo, 1, v34
	s_cbranch_vccnz .LBB24_545
; %bb.544:
	v_cmp_eq_u32_e32 vcc_lo, 1, v0
	ds_load_b32 v28, v119
	v_cndmask_b32_e32 v27, v2, v3, vcc_lo
	v_cmp_eq_u32_e32 vcc_lo, 2, v0
	s_delay_alu instid0(VALU_DEP_2) | instskip(SKIP_1) | instid1(VALU_DEP_2)
	v_cndmask_b32_e32 v27, v27, v4, vcc_lo
	v_cmp_eq_u32_e32 vcc_lo, 3, v0
	v_cndmask_b32_e32 v27, v27, v5, vcc_lo
	v_cmp_eq_u32_e32 vcc_lo, 4, v0
	s_delay_alu instid0(VALU_DEP_2) | instskip(SKIP_1) | instid1(VALU_DEP_2)
	v_cndmask_b32_e32 v27, v27, v6, vcc_lo
	v_cmp_eq_u32_e32 vcc_lo, 5, v0
	;; [unrolled: 5-line block ×11, first 2 shown]
	v_cndmask_b32_e32 v27, v27, v25, vcc_lo
	v_cmp_eq_u32_e32 vcc_lo, 24, v0
	s_delay_alu instid0(VALU_DEP_2) | instskip(SKIP_1) | instid1(VALU_DEP_1)
	v_cndmask_b32_e32 v27, v27, v26, vcc_lo
	s_wait_dscnt 0x0
	v_mul_f32_e32 v27, v27, v28
	s_cbranch_execz .LBB24_546
	s_branch .LBB24_547
.LBB24_545:
                                        ; implicit-def: $vgpr27
.LBB24_546:
	ds_load_b32 v27, v119
.LBB24_547:
	s_mov_b32 s1, exec_lo
	v_cmpx_ne_u32_e32 17, v0
	s_cbranch_execz .LBB24_551
; %bb.548:
	v_mov_b64_e32 v[28:29], v[0:1]
	v_lshl_add_u32 v30, v0, 2, 0x74
	s_mov_b32 s2, 0
.LBB24_549:                             ; =>This Inner Loop Header: Depth=1
	s_delay_alu instid0(VALU_DEP_2)
	v_add_nc_u64_e32 v[28:29], 1, v[28:29]
	ds_load_b32 v32, v30
	v_add_nc_u32_e32 v30, 4, v30
	v_cmp_eq_u32_e32 vcc_lo, 1, v28
	v_cndmask_b32_e32 v31, v2, v3, vcc_lo
	v_cmp_eq_u32_e32 vcc_lo, 2, v28
	s_delay_alu instid0(VALU_DEP_2) | instskip(SKIP_1) | instid1(VALU_DEP_2)
	v_cndmask_b32_e32 v31, v31, v4, vcc_lo
	v_cmp_eq_u32_e32 vcc_lo, 3, v28
	v_cndmask_b32_e32 v31, v31, v5, vcc_lo
	v_cmp_eq_u32_e32 vcc_lo, 4, v28
	s_delay_alu instid0(VALU_DEP_2) | instskip(SKIP_1) | instid1(VALU_DEP_2)
	v_cndmask_b32_e32 v31, v31, v6, vcc_lo
	;; [unrolled: 5-line block ×11, first 2 shown]
	v_cmp_eq_u32_e32 vcc_lo, 23, v28
	v_cndmask_b32_e32 v31, v31, v25, vcc_lo
	v_cmp_eq_u32_e32 vcc_lo, 24, v28
	s_delay_alu instid0(VALU_DEP_2) | instskip(SKIP_2) | instid1(VALU_DEP_2)
	v_cndmask_b32_e32 v31, v31, v26, vcc_lo
	v_cmp_lt_u32_e32 vcc_lo, 16, v28
	s_wait_dscnt 0x0
	v_fmac_f32_e32 v27, v31, v32
	s_or_b32 s2, vcc_lo, s2
	s_delay_alu instid0(SALU_CYCLE_1)
	s_and_not1_b32 exec_lo, exec_lo, s2
	s_cbranch_execnz .LBB24_549
; %bb.550:
	s_or_b32 exec_lo, exec_lo, s2
.LBB24_551:
	s_delay_alu instid0(SALU_CYCLE_1)
	s_or_b32 exec_lo, exec_lo, s1
	v_mov_b32_e32 v20, 0
	ds_load_b32 v20, v20 offset:72
	s_wait_dscnt 0x0
	v_mul_f32_e32 v20, v27, v20
.LBB24_552:
	s_or_b32 exec_lo, exec_lo, s0
	s_delay_alu instid0(SALU_CYCLE_1)
	s_mov_b32 s0, exec_lo
	ds_store_b32 v119, v21
	s_wait_dscnt 0x0
	s_barrier_signal -1
	s_barrier_wait -1
	v_cmpx_gt_u32_e32 19, v0
	s_cbranch_execz .LBB24_562
; %bb.553:
	v_cmp_ne_u32_e32 vcc_lo, 1, v34
	s_cbranch_vccnz .LBB24_555
; %bb.554:
	v_cmp_eq_u32_e32 vcc_lo, 1, v0
	ds_load_b32 v28, v119
	v_cndmask_b32_e32 v27, v2, v3, vcc_lo
	v_cmp_eq_u32_e32 vcc_lo, 2, v0
	s_delay_alu instid0(VALU_DEP_2) | instskip(SKIP_1) | instid1(VALU_DEP_2)
	v_cndmask_b32_e32 v27, v27, v4, vcc_lo
	v_cmp_eq_u32_e32 vcc_lo, 3, v0
	v_cndmask_b32_e32 v27, v27, v5, vcc_lo
	v_cmp_eq_u32_e32 vcc_lo, 4, v0
	s_delay_alu instid0(VALU_DEP_2) | instskip(SKIP_1) | instid1(VALU_DEP_2)
	v_cndmask_b32_e32 v27, v27, v6, vcc_lo
	v_cmp_eq_u32_e32 vcc_lo, 5, v0
	;; [unrolled: 5-line block ×11, first 2 shown]
	v_cndmask_b32_e32 v27, v27, v25, vcc_lo
	v_cmp_eq_u32_e32 vcc_lo, 24, v0
	s_delay_alu instid0(VALU_DEP_2) | instskip(SKIP_1) | instid1(VALU_DEP_1)
	v_cndmask_b32_e32 v27, v27, v26, vcc_lo
	s_wait_dscnt 0x0
	v_mul_f32_e32 v27, v27, v28
	s_cbranch_execz .LBB24_556
	s_branch .LBB24_557
.LBB24_555:
                                        ; implicit-def: $vgpr27
.LBB24_556:
	ds_load_b32 v27, v119
.LBB24_557:
	s_mov_b32 s1, exec_lo
	v_cmpx_ne_u32_e32 18, v0
	s_cbranch_execz .LBB24_561
; %bb.558:
	v_mov_b64_e32 v[28:29], v[0:1]
	v_lshl_add_u32 v30, v0, 2, 0x74
	s_mov_b32 s2, 0
.LBB24_559:                             ; =>This Inner Loop Header: Depth=1
	s_delay_alu instid0(VALU_DEP_2)
	v_add_nc_u64_e32 v[28:29], 1, v[28:29]
	ds_load_b32 v32, v30
	v_add_nc_u32_e32 v30, 4, v30
	v_cmp_eq_u32_e32 vcc_lo, 1, v28
	v_cndmask_b32_e32 v31, v2, v3, vcc_lo
	v_cmp_eq_u32_e32 vcc_lo, 2, v28
	s_delay_alu instid0(VALU_DEP_2) | instskip(SKIP_1) | instid1(VALU_DEP_2)
	v_cndmask_b32_e32 v31, v31, v4, vcc_lo
	v_cmp_eq_u32_e32 vcc_lo, 3, v28
	v_cndmask_b32_e32 v31, v31, v5, vcc_lo
	v_cmp_eq_u32_e32 vcc_lo, 4, v28
	s_delay_alu instid0(VALU_DEP_2) | instskip(SKIP_1) | instid1(VALU_DEP_2)
	v_cndmask_b32_e32 v31, v31, v6, vcc_lo
	;; [unrolled: 5-line block ×11, first 2 shown]
	v_cmp_eq_u32_e32 vcc_lo, 23, v28
	v_cndmask_b32_e32 v31, v31, v25, vcc_lo
	v_cmp_eq_u32_e32 vcc_lo, 24, v28
	s_delay_alu instid0(VALU_DEP_2) | instskip(SKIP_2) | instid1(VALU_DEP_2)
	v_cndmask_b32_e32 v31, v31, v26, vcc_lo
	v_cmp_lt_u32_e32 vcc_lo, 17, v28
	s_wait_dscnt 0x0
	v_fmac_f32_e32 v27, v31, v32
	s_or_b32 s2, vcc_lo, s2
	s_delay_alu instid0(SALU_CYCLE_1)
	s_and_not1_b32 exec_lo, exec_lo, s2
	s_cbranch_execnz .LBB24_559
; %bb.560:
	s_or_b32 exec_lo, exec_lo, s2
.LBB24_561:
	s_delay_alu instid0(SALU_CYCLE_1)
	s_or_b32 exec_lo, exec_lo, s1
	v_mov_b32_e32 v21, 0
	ds_load_b32 v21, v21 offset:76
	s_wait_dscnt 0x0
	v_mul_f32_e32 v21, v27, v21
.LBB24_562:
	s_or_b32 exec_lo, exec_lo, s0
	s_delay_alu instid0(SALU_CYCLE_1)
	s_mov_b32 s0, exec_lo
	ds_store_b32 v119, v22
	s_wait_dscnt 0x0
	s_barrier_signal -1
	s_barrier_wait -1
	v_cmpx_gt_u32_e32 20, v0
	s_cbranch_execz .LBB24_572
; %bb.563:
	v_cmp_ne_u32_e32 vcc_lo, 1, v34
	s_cbranch_vccnz .LBB24_565
; %bb.564:
	v_cmp_eq_u32_e32 vcc_lo, 1, v0
	ds_load_b32 v28, v119
	v_cndmask_b32_e32 v27, v2, v3, vcc_lo
	v_cmp_eq_u32_e32 vcc_lo, 2, v0
	s_delay_alu instid0(VALU_DEP_2) | instskip(SKIP_1) | instid1(VALU_DEP_2)
	v_cndmask_b32_e32 v27, v27, v4, vcc_lo
	v_cmp_eq_u32_e32 vcc_lo, 3, v0
	v_cndmask_b32_e32 v27, v27, v5, vcc_lo
	v_cmp_eq_u32_e32 vcc_lo, 4, v0
	s_delay_alu instid0(VALU_DEP_2) | instskip(SKIP_1) | instid1(VALU_DEP_2)
	v_cndmask_b32_e32 v27, v27, v6, vcc_lo
	v_cmp_eq_u32_e32 vcc_lo, 5, v0
	;; [unrolled: 5-line block ×11, first 2 shown]
	v_cndmask_b32_e32 v27, v27, v25, vcc_lo
	v_cmp_eq_u32_e32 vcc_lo, 24, v0
	s_delay_alu instid0(VALU_DEP_2) | instskip(SKIP_1) | instid1(VALU_DEP_1)
	v_cndmask_b32_e32 v27, v27, v26, vcc_lo
	s_wait_dscnt 0x0
	v_mul_f32_e32 v27, v27, v28
	s_cbranch_execz .LBB24_566
	s_branch .LBB24_567
.LBB24_565:
                                        ; implicit-def: $vgpr27
.LBB24_566:
	ds_load_b32 v27, v119
.LBB24_567:
	s_mov_b32 s1, exec_lo
	v_cmpx_ne_u32_e32 19, v0
	s_cbranch_execz .LBB24_571
; %bb.568:
	v_mov_b64_e32 v[28:29], v[0:1]
	v_lshl_add_u32 v30, v0, 2, 0x74
	s_mov_b32 s2, 0
.LBB24_569:                             ; =>This Inner Loop Header: Depth=1
	s_delay_alu instid0(VALU_DEP_2)
	v_add_nc_u64_e32 v[28:29], 1, v[28:29]
	ds_load_b32 v32, v30
	v_add_nc_u32_e32 v30, 4, v30
	v_cmp_eq_u32_e32 vcc_lo, 1, v28
	v_cndmask_b32_e32 v31, v2, v3, vcc_lo
	v_cmp_eq_u32_e32 vcc_lo, 2, v28
	s_delay_alu instid0(VALU_DEP_2) | instskip(SKIP_1) | instid1(VALU_DEP_2)
	v_cndmask_b32_e32 v31, v31, v4, vcc_lo
	v_cmp_eq_u32_e32 vcc_lo, 3, v28
	v_cndmask_b32_e32 v31, v31, v5, vcc_lo
	v_cmp_eq_u32_e32 vcc_lo, 4, v28
	s_delay_alu instid0(VALU_DEP_2) | instskip(SKIP_1) | instid1(VALU_DEP_2)
	v_cndmask_b32_e32 v31, v31, v6, vcc_lo
	;; [unrolled: 5-line block ×11, first 2 shown]
	v_cmp_eq_u32_e32 vcc_lo, 23, v28
	v_cndmask_b32_e32 v31, v31, v25, vcc_lo
	v_cmp_eq_u32_e32 vcc_lo, 24, v28
	s_delay_alu instid0(VALU_DEP_2) | instskip(SKIP_2) | instid1(VALU_DEP_2)
	v_cndmask_b32_e32 v31, v31, v26, vcc_lo
	v_cmp_lt_u32_e32 vcc_lo, 18, v28
	s_wait_dscnt 0x0
	v_fmac_f32_e32 v27, v31, v32
	s_or_b32 s2, vcc_lo, s2
	s_delay_alu instid0(SALU_CYCLE_1)
	s_and_not1_b32 exec_lo, exec_lo, s2
	s_cbranch_execnz .LBB24_569
; %bb.570:
	s_or_b32 exec_lo, exec_lo, s2
.LBB24_571:
	s_delay_alu instid0(SALU_CYCLE_1)
	s_or_b32 exec_lo, exec_lo, s1
	v_mov_b32_e32 v22, 0
	ds_load_b32 v22, v22 offset:80
	s_wait_dscnt 0x0
	v_mul_f32_e32 v22, v27, v22
.LBB24_572:
	s_or_b32 exec_lo, exec_lo, s0
	s_delay_alu instid0(SALU_CYCLE_1)
	s_mov_b32 s0, exec_lo
	ds_store_b32 v119, v23
	s_wait_dscnt 0x0
	s_barrier_signal -1
	s_barrier_wait -1
	v_cmpx_gt_u32_e32 21, v0
	s_cbranch_execz .LBB24_582
; %bb.573:
	v_cmp_ne_u32_e32 vcc_lo, 1, v34
	s_cbranch_vccnz .LBB24_575
; %bb.574:
	v_cmp_eq_u32_e32 vcc_lo, 1, v0
	ds_load_b32 v28, v119
	v_cndmask_b32_e32 v27, v2, v3, vcc_lo
	v_cmp_eq_u32_e32 vcc_lo, 2, v0
	s_delay_alu instid0(VALU_DEP_2) | instskip(SKIP_1) | instid1(VALU_DEP_2)
	v_cndmask_b32_e32 v27, v27, v4, vcc_lo
	v_cmp_eq_u32_e32 vcc_lo, 3, v0
	v_cndmask_b32_e32 v27, v27, v5, vcc_lo
	v_cmp_eq_u32_e32 vcc_lo, 4, v0
	s_delay_alu instid0(VALU_DEP_2) | instskip(SKIP_1) | instid1(VALU_DEP_2)
	v_cndmask_b32_e32 v27, v27, v6, vcc_lo
	v_cmp_eq_u32_e32 vcc_lo, 5, v0
	;; [unrolled: 5-line block ×11, first 2 shown]
	v_cndmask_b32_e32 v27, v27, v25, vcc_lo
	v_cmp_eq_u32_e32 vcc_lo, 24, v0
	s_delay_alu instid0(VALU_DEP_2) | instskip(SKIP_1) | instid1(VALU_DEP_1)
	v_cndmask_b32_e32 v27, v27, v26, vcc_lo
	s_wait_dscnt 0x0
	v_mul_f32_e32 v27, v27, v28
	s_cbranch_execz .LBB24_576
	s_branch .LBB24_577
.LBB24_575:
                                        ; implicit-def: $vgpr27
.LBB24_576:
	ds_load_b32 v27, v119
.LBB24_577:
	s_mov_b32 s1, exec_lo
	v_cmpx_ne_u32_e32 20, v0
	s_cbranch_execz .LBB24_581
; %bb.578:
	v_mov_b64_e32 v[28:29], v[0:1]
	v_lshl_add_u32 v30, v0, 2, 0x74
	s_mov_b32 s2, 0
.LBB24_579:                             ; =>This Inner Loop Header: Depth=1
	s_delay_alu instid0(VALU_DEP_2)
	v_add_nc_u64_e32 v[28:29], 1, v[28:29]
	ds_load_b32 v32, v30
	v_add_nc_u32_e32 v30, 4, v30
	v_cmp_eq_u32_e32 vcc_lo, 1, v28
	v_cndmask_b32_e32 v31, v2, v3, vcc_lo
	v_cmp_eq_u32_e32 vcc_lo, 2, v28
	s_delay_alu instid0(VALU_DEP_2) | instskip(SKIP_1) | instid1(VALU_DEP_2)
	v_cndmask_b32_e32 v31, v31, v4, vcc_lo
	v_cmp_eq_u32_e32 vcc_lo, 3, v28
	v_cndmask_b32_e32 v31, v31, v5, vcc_lo
	v_cmp_eq_u32_e32 vcc_lo, 4, v28
	s_delay_alu instid0(VALU_DEP_2) | instskip(SKIP_1) | instid1(VALU_DEP_2)
	v_cndmask_b32_e32 v31, v31, v6, vcc_lo
	;; [unrolled: 5-line block ×11, first 2 shown]
	v_cmp_eq_u32_e32 vcc_lo, 23, v28
	v_cndmask_b32_e32 v31, v31, v25, vcc_lo
	v_cmp_eq_u32_e32 vcc_lo, 24, v28
	s_delay_alu instid0(VALU_DEP_2) | instskip(SKIP_2) | instid1(VALU_DEP_2)
	v_cndmask_b32_e32 v31, v31, v26, vcc_lo
	v_cmp_lt_u32_e32 vcc_lo, 19, v28
	s_wait_dscnt 0x0
	v_fmac_f32_e32 v27, v31, v32
	s_or_b32 s2, vcc_lo, s2
	s_delay_alu instid0(SALU_CYCLE_1)
	s_and_not1_b32 exec_lo, exec_lo, s2
	s_cbranch_execnz .LBB24_579
; %bb.580:
	s_or_b32 exec_lo, exec_lo, s2
.LBB24_581:
	s_delay_alu instid0(SALU_CYCLE_1)
	s_or_b32 exec_lo, exec_lo, s1
	v_mov_b32_e32 v23, 0
	ds_load_b32 v23, v23 offset:84
	s_wait_dscnt 0x0
	v_mul_f32_e32 v23, v27, v23
.LBB24_582:
	s_or_b32 exec_lo, exec_lo, s0
	s_delay_alu instid0(SALU_CYCLE_1)
	s_mov_b32 s0, exec_lo
	ds_store_b32 v119, v24
	s_wait_dscnt 0x0
	s_barrier_signal -1
	s_barrier_wait -1
	v_cmpx_gt_u32_e32 22, v0
	s_cbranch_execz .LBB24_592
; %bb.583:
	v_cmp_ne_u32_e32 vcc_lo, 1, v34
	s_cbranch_vccnz .LBB24_585
; %bb.584:
	v_cmp_eq_u32_e32 vcc_lo, 1, v0
	ds_load_b32 v28, v119
	v_cndmask_b32_e32 v27, v2, v3, vcc_lo
	v_cmp_eq_u32_e32 vcc_lo, 2, v0
	s_delay_alu instid0(VALU_DEP_2) | instskip(SKIP_1) | instid1(VALU_DEP_2)
	v_cndmask_b32_e32 v27, v27, v4, vcc_lo
	v_cmp_eq_u32_e32 vcc_lo, 3, v0
	v_cndmask_b32_e32 v27, v27, v5, vcc_lo
	v_cmp_eq_u32_e32 vcc_lo, 4, v0
	s_delay_alu instid0(VALU_DEP_2) | instskip(SKIP_1) | instid1(VALU_DEP_2)
	v_cndmask_b32_e32 v27, v27, v6, vcc_lo
	v_cmp_eq_u32_e32 vcc_lo, 5, v0
	v_cndmask_b32_e32 v27, v27, v7, vcc_lo
	v_cmp_eq_u32_e32 vcc_lo, 6, v0
	s_delay_alu instid0(VALU_DEP_2) | instskip(SKIP_1) | instid1(VALU_DEP_2)
	v_cndmask_b32_e32 v27, v27, v8, vcc_lo
	v_cmp_eq_u32_e32 vcc_lo, 7, v0
	v_cndmask_b32_e32 v27, v27, v9, vcc_lo
	v_cmp_eq_u32_e32 vcc_lo, 8, v0
	s_delay_alu instid0(VALU_DEP_2) | instskip(SKIP_1) | instid1(VALU_DEP_2)
	v_cndmask_b32_e32 v27, v27, v10, vcc_lo
	v_cmp_eq_u32_e32 vcc_lo, 9, v0
	v_cndmask_b32_e32 v27, v27, v11, vcc_lo
	v_cmp_eq_u32_e32 vcc_lo, 10, v0
	s_delay_alu instid0(VALU_DEP_2) | instskip(SKIP_1) | instid1(VALU_DEP_2)
	v_cndmask_b32_e32 v27, v27, v12, vcc_lo
	v_cmp_eq_u32_e32 vcc_lo, 11, v0
	v_cndmask_b32_e32 v27, v27, v13, vcc_lo
	v_cmp_eq_u32_e32 vcc_lo, 12, v0
	s_delay_alu instid0(VALU_DEP_2) | instskip(SKIP_1) | instid1(VALU_DEP_2)
	v_cndmask_b32_e32 v27, v27, v14, vcc_lo
	v_cmp_eq_u32_e32 vcc_lo, 13, v0
	v_cndmask_b32_e32 v27, v27, v15, vcc_lo
	v_cmp_eq_u32_e32 vcc_lo, 14, v0
	s_delay_alu instid0(VALU_DEP_2) | instskip(SKIP_1) | instid1(VALU_DEP_2)
	v_cndmask_b32_e32 v27, v27, v16, vcc_lo
	v_cmp_eq_u32_e32 vcc_lo, 15, v0
	v_cndmask_b32_e32 v27, v27, v17, vcc_lo
	v_cmp_eq_u32_e32 vcc_lo, 16, v0
	s_delay_alu instid0(VALU_DEP_2) | instskip(SKIP_1) | instid1(VALU_DEP_2)
	v_cndmask_b32_e32 v27, v27, v18, vcc_lo
	v_cmp_eq_u32_e32 vcc_lo, 17, v0
	v_cndmask_b32_e32 v27, v27, v19, vcc_lo
	v_cmp_eq_u32_e32 vcc_lo, 18, v0
	s_delay_alu instid0(VALU_DEP_2) | instskip(SKIP_1) | instid1(VALU_DEP_2)
	v_cndmask_b32_e32 v27, v27, v20, vcc_lo
	v_cmp_eq_u32_e32 vcc_lo, 19, v0
	v_cndmask_b32_e32 v27, v27, v21, vcc_lo
	v_cmp_eq_u32_e32 vcc_lo, 20, v0
	s_delay_alu instid0(VALU_DEP_2) | instskip(SKIP_1) | instid1(VALU_DEP_2)
	v_cndmask_b32_e32 v27, v27, v22, vcc_lo
	v_cmp_eq_u32_e32 vcc_lo, 21, v0
	v_cndmask_b32_e32 v27, v27, v23, vcc_lo
	v_cmp_eq_u32_e32 vcc_lo, 22, v0
	s_delay_alu instid0(VALU_DEP_2) | instskip(SKIP_1) | instid1(VALU_DEP_2)
	v_cndmask_b32_e32 v27, v27, v24, vcc_lo
	v_cmp_eq_u32_e32 vcc_lo, 23, v0
	v_cndmask_b32_e32 v27, v27, v25, vcc_lo
	v_cmp_eq_u32_e32 vcc_lo, 24, v0
	s_delay_alu instid0(VALU_DEP_2) | instskip(SKIP_1) | instid1(VALU_DEP_1)
	v_cndmask_b32_e32 v27, v27, v26, vcc_lo
	s_wait_dscnt 0x0
	v_mul_f32_e32 v27, v27, v28
	s_cbranch_execz .LBB24_586
	s_branch .LBB24_587
.LBB24_585:
                                        ; implicit-def: $vgpr27
.LBB24_586:
	ds_load_b32 v27, v119
.LBB24_587:
	s_mov_b32 s1, exec_lo
	v_cmpx_ne_u32_e32 21, v0
	s_cbranch_execz .LBB24_591
; %bb.588:
	v_mov_b64_e32 v[28:29], v[0:1]
	v_lshl_add_u32 v30, v0, 2, 0x74
	s_mov_b32 s2, 0
.LBB24_589:                             ; =>This Inner Loop Header: Depth=1
	s_delay_alu instid0(VALU_DEP_2)
	v_add_nc_u64_e32 v[28:29], 1, v[28:29]
	ds_load_b32 v32, v30
	v_add_nc_u32_e32 v30, 4, v30
	v_cmp_eq_u32_e32 vcc_lo, 1, v28
	v_cndmask_b32_e32 v31, v2, v3, vcc_lo
	v_cmp_eq_u32_e32 vcc_lo, 2, v28
	s_delay_alu instid0(VALU_DEP_2) | instskip(SKIP_1) | instid1(VALU_DEP_2)
	v_cndmask_b32_e32 v31, v31, v4, vcc_lo
	v_cmp_eq_u32_e32 vcc_lo, 3, v28
	v_cndmask_b32_e32 v31, v31, v5, vcc_lo
	v_cmp_eq_u32_e32 vcc_lo, 4, v28
	s_delay_alu instid0(VALU_DEP_2) | instskip(SKIP_1) | instid1(VALU_DEP_2)
	v_cndmask_b32_e32 v31, v31, v6, vcc_lo
	;; [unrolled: 5-line block ×11, first 2 shown]
	v_cmp_eq_u32_e32 vcc_lo, 23, v28
	v_cndmask_b32_e32 v31, v31, v25, vcc_lo
	v_cmp_eq_u32_e32 vcc_lo, 24, v28
	s_delay_alu instid0(VALU_DEP_2) | instskip(SKIP_2) | instid1(VALU_DEP_2)
	v_cndmask_b32_e32 v31, v31, v26, vcc_lo
	v_cmp_lt_u32_e32 vcc_lo, 20, v28
	s_wait_dscnt 0x0
	v_fmac_f32_e32 v27, v31, v32
	s_or_b32 s2, vcc_lo, s2
	s_delay_alu instid0(SALU_CYCLE_1)
	s_and_not1_b32 exec_lo, exec_lo, s2
	s_cbranch_execnz .LBB24_589
; %bb.590:
	s_or_b32 exec_lo, exec_lo, s2
.LBB24_591:
	s_delay_alu instid0(SALU_CYCLE_1)
	s_or_b32 exec_lo, exec_lo, s1
	v_mov_b32_e32 v24, 0
	ds_load_b32 v24, v24 offset:88
	s_wait_dscnt 0x0
	v_mul_f32_e32 v24, v27, v24
.LBB24_592:
	s_or_b32 exec_lo, exec_lo, s0
	v_cmp_gt_u32_e64 s0, 23, v0
	ds_store_b32 v119, v25
	s_wait_dscnt 0x0
	s_barrier_signal -1
	s_barrier_wait -1
	s_and_saveexec_b32 s1, s0
	s_cbranch_execz .LBB24_602
; %bb.593:
	v_cmp_ne_u32_e32 vcc_lo, 1, v34
	s_cbranch_vccnz .LBB24_595
; %bb.594:
	v_cmp_eq_u32_e32 vcc_lo, 1, v0
	ds_load_b32 v28, v119
	v_cndmask_b32_e32 v27, v2, v3, vcc_lo
	v_cmp_eq_u32_e32 vcc_lo, 2, v0
	s_delay_alu instid0(VALU_DEP_2) | instskip(SKIP_1) | instid1(VALU_DEP_2)
	v_cndmask_b32_e32 v27, v27, v4, vcc_lo
	v_cmp_eq_u32_e32 vcc_lo, 3, v0
	v_cndmask_b32_e32 v27, v27, v5, vcc_lo
	v_cmp_eq_u32_e32 vcc_lo, 4, v0
	s_delay_alu instid0(VALU_DEP_2) | instskip(SKIP_1) | instid1(VALU_DEP_2)
	v_cndmask_b32_e32 v27, v27, v6, vcc_lo
	v_cmp_eq_u32_e32 vcc_lo, 5, v0
	;; [unrolled: 5-line block ×11, first 2 shown]
	v_cndmask_b32_e32 v27, v27, v25, vcc_lo
	v_cmp_eq_u32_e32 vcc_lo, 24, v0
	s_delay_alu instid0(VALU_DEP_2) | instskip(SKIP_1) | instid1(VALU_DEP_1)
	v_cndmask_b32_e32 v27, v27, v26, vcc_lo
	s_wait_dscnt 0x0
	v_mul_f32_e32 v27, v27, v28
	s_cbranch_execz .LBB24_596
	s_branch .LBB24_597
.LBB24_595:
                                        ; implicit-def: $vgpr27
.LBB24_596:
	ds_load_b32 v27, v119
.LBB24_597:
	s_mov_b32 s2, exec_lo
	v_cmpx_ne_u32_e32 22, v0
	s_cbranch_execz .LBB24_601
; %bb.598:
	v_mov_b64_e32 v[28:29], v[0:1]
	v_lshl_add_u32 v30, v0, 2, 0x74
	s_mov_b32 s3, 0
.LBB24_599:                             ; =>This Inner Loop Header: Depth=1
	s_delay_alu instid0(VALU_DEP_2)
	v_add_nc_u64_e32 v[28:29], 1, v[28:29]
	ds_load_b32 v32, v30
	v_add_nc_u32_e32 v30, 4, v30
	v_cmp_eq_u32_e32 vcc_lo, 1, v28
	v_cndmask_b32_e32 v31, v2, v3, vcc_lo
	v_cmp_eq_u32_e32 vcc_lo, 2, v28
	s_delay_alu instid0(VALU_DEP_2) | instskip(SKIP_1) | instid1(VALU_DEP_2)
	v_cndmask_b32_e32 v31, v31, v4, vcc_lo
	v_cmp_eq_u32_e32 vcc_lo, 3, v28
	v_cndmask_b32_e32 v31, v31, v5, vcc_lo
	v_cmp_eq_u32_e32 vcc_lo, 4, v28
	s_delay_alu instid0(VALU_DEP_2) | instskip(SKIP_1) | instid1(VALU_DEP_2)
	v_cndmask_b32_e32 v31, v31, v6, vcc_lo
	;; [unrolled: 5-line block ×11, first 2 shown]
	v_cmp_eq_u32_e32 vcc_lo, 23, v28
	v_cndmask_b32_e32 v31, v31, v25, vcc_lo
	v_cmp_eq_u32_e32 vcc_lo, 24, v28
	s_delay_alu instid0(VALU_DEP_2) | instskip(SKIP_2) | instid1(VALU_DEP_2)
	v_cndmask_b32_e32 v31, v31, v26, vcc_lo
	v_cmp_lt_u32_e32 vcc_lo, 21, v28
	s_wait_dscnt 0x0
	v_fmac_f32_e32 v27, v31, v32
	s_or_b32 s3, vcc_lo, s3
	s_delay_alu instid0(SALU_CYCLE_1)
	s_and_not1_b32 exec_lo, exec_lo, s3
	s_cbranch_execnz .LBB24_599
; %bb.600:
	s_or_b32 exec_lo, exec_lo, s3
.LBB24_601:
	s_delay_alu instid0(SALU_CYCLE_1)
	s_or_b32 exec_lo, exec_lo, s2
	v_mov_b32_e32 v25, 0
	ds_load_b32 v25, v25 offset:92
	s_wait_dscnt 0x0
	v_mul_f32_e32 v25, v27, v25
.LBB24_602:
	s_or_b32 exec_lo, exec_lo, s1
	s_delay_alu instid0(SALU_CYCLE_1)
	s_mov_b32 s1, exec_lo
	ds_store_b32 v119, v26
	s_wait_dscnt 0x0
	s_barrier_signal -1
	s_barrier_wait -1
	v_cmpx_ne_u32_e32 24, v0
	s_cbranch_execz .LBB24_612
; %bb.603:
	v_cmp_ne_u32_e32 vcc_lo, 1, v34
	s_cbranch_vccnz .LBB24_605
; %bb.604:
	v_cmp_eq_u32_e32 vcc_lo, 1, v0
	ds_load_b32 v28, v119
	v_cndmask_b32_e32 v27, v2, v3, vcc_lo
	v_cmp_eq_u32_e32 vcc_lo, 2, v0
	s_delay_alu instid0(VALU_DEP_2) | instskip(SKIP_1) | instid1(VALU_DEP_2)
	v_cndmask_b32_e32 v27, v27, v4, vcc_lo
	v_cmp_eq_u32_e32 vcc_lo, 3, v0
	v_cndmask_b32_e32 v27, v27, v5, vcc_lo
	v_cmp_eq_u32_e32 vcc_lo, 4, v0
	s_delay_alu instid0(VALU_DEP_2) | instskip(SKIP_1) | instid1(VALU_DEP_2)
	v_cndmask_b32_e32 v27, v27, v6, vcc_lo
	v_cmp_eq_u32_e32 vcc_lo, 5, v0
	;; [unrolled: 5-line block ×11, first 2 shown]
	v_cndmask_b32_e32 v27, v27, v25, vcc_lo
	v_cmp_eq_u32_e32 vcc_lo, 24, v0
	s_delay_alu instid0(VALU_DEP_2) | instskip(SKIP_1) | instid1(VALU_DEP_1)
	v_cndmask_b32_e32 v27, v27, v26, vcc_lo
	s_wait_dscnt 0x0
	v_mul_f32_e32 v27, v27, v28
	s_cbranch_execz .LBB24_606
	s_branch .LBB24_607
.LBB24_605:
                                        ; implicit-def: $vgpr27
.LBB24_606:
	ds_load_b32 v27, v119
.LBB24_607:
	s_and_saveexec_b32 s2, s0
	s_cbranch_execz .LBB24_611
; %bb.608:
	v_lshl_add_u32 v28, v0, 2, 0x74
	s_mov_b32 s0, 0
.LBB24_609:                             ; =>This Inner Loop Header: Depth=1
	v_add_nc_u64_e32 v[0:1], 1, v[0:1]
	ds_load_b32 v30, v28
	v_add_nc_u32_e32 v28, 4, v28
	v_cmp_eq_u32_e32 vcc_lo, 1, v0
	v_cndmask_b32_e32 v29, v2, v3, vcc_lo
	v_cmp_eq_u32_e32 vcc_lo, 2, v0
	s_delay_alu instid0(VALU_DEP_2) | instskip(SKIP_1) | instid1(VALU_DEP_2)
	v_cndmask_b32_e32 v29, v29, v4, vcc_lo
	v_cmp_eq_u32_e32 vcc_lo, 3, v0
	v_cndmask_b32_e32 v29, v29, v5, vcc_lo
	v_cmp_eq_u32_e32 vcc_lo, 4, v0
	s_delay_alu instid0(VALU_DEP_2) | instskip(SKIP_1) | instid1(VALU_DEP_2)
	v_cndmask_b32_e32 v29, v29, v6, vcc_lo
	v_cmp_eq_u32_e32 vcc_lo, 5, v0
	v_cndmask_b32_e32 v29, v29, v7, vcc_lo
	v_cmp_eq_u32_e32 vcc_lo, 6, v0
	s_delay_alu instid0(VALU_DEP_2) | instskip(SKIP_1) | instid1(VALU_DEP_2)
	v_cndmask_b32_e32 v29, v29, v8, vcc_lo
	v_cmp_eq_u32_e32 vcc_lo, 7, v0
	v_cndmask_b32_e32 v29, v29, v9, vcc_lo
	v_cmp_eq_u32_e32 vcc_lo, 8, v0
	s_delay_alu instid0(VALU_DEP_2) | instskip(SKIP_1) | instid1(VALU_DEP_2)
	v_cndmask_b32_e32 v29, v29, v10, vcc_lo
	v_cmp_eq_u32_e32 vcc_lo, 9, v0
	v_cndmask_b32_e32 v29, v29, v11, vcc_lo
	v_cmp_eq_u32_e32 vcc_lo, 10, v0
	s_delay_alu instid0(VALU_DEP_2) | instskip(SKIP_1) | instid1(VALU_DEP_2)
	v_cndmask_b32_e32 v29, v29, v12, vcc_lo
	v_cmp_eq_u32_e32 vcc_lo, 11, v0
	v_cndmask_b32_e32 v29, v29, v13, vcc_lo
	v_cmp_eq_u32_e32 vcc_lo, 12, v0
	s_delay_alu instid0(VALU_DEP_2) | instskip(SKIP_1) | instid1(VALU_DEP_2)
	v_cndmask_b32_e32 v29, v29, v14, vcc_lo
	v_cmp_eq_u32_e32 vcc_lo, 13, v0
	v_cndmask_b32_e32 v29, v29, v15, vcc_lo
	v_cmp_eq_u32_e32 vcc_lo, 14, v0
	s_delay_alu instid0(VALU_DEP_2) | instskip(SKIP_1) | instid1(VALU_DEP_2)
	v_cndmask_b32_e32 v29, v29, v16, vcc_lo
	v_cmp_eq_u32_e32 vcc_lo, 15, v0
	v_cndmask_b32_e32 v29, v29, v17, vcc_lo
	v_cmp_eq_u32_e32 vcc_lo, 16, v0
	s_delay_alu instid0(VALU_DEP_2) | instskip(SKIP_1) | instid1(VALU_DEP_2)
	v_cndmask_b32_e32 v29, v29, v18, vcc_lo
	v_cmp_eq_u32_e32 vcc_lo, 17, v0
	v_cndmask_b32_e32 v29, v29, v19, vcc_lo
	v_cmp_eq_u32_e32 vcc_lo, 18, v0
	s_delay_alu instid0(VALU_DEP_2) | instskip(SKIP_1) | instid1(VALU_DEP_2)
	v_cndmask_b32_e32 v29, v29, v20, vcc_lo
	v_cmp_eq_u32_e32 vcc_lo, 19, v0
	v_cndmask_b32_e32 v29, v29, v21, vcc_lo
	v_cmp_eq_u32_e32 vcc_lo, 20, v0
	s_delay_alu instid0(VALU_DEP_2) | instskip(SKIP_1) | instid1(VALU_DEP_2)
	v_cndmask_b32_e32 v29, v29, v22, vcc_lo
	v_cmp_eq_u32_e32 vcc_lo, 21, v0
	v_cndmask_b32_e32 v29, v29, v23, vcc_lo
	v_cmp_eq_u32_e32 vcc_lo, 22, v0
	s_delay_alu instid0(VALU_DEP_2) | instskip(SKIP_1) | instid1(VALU_DEP_2)
	v_cndmask_b32_e32 v29, v29, v24, vcc_lo
	v_cmp_eq_u32_e32 vcc_lo, 23, v0
	v_cndmask_b32_e32 v29, v29, v25, vcc_lo
	v_cmp_eq_u32_e32 vcc_lo, 24, v0
	s_delay_alu instid0(VALU_DEP_2) | instskip(SKIP_2) | instid1(VALU_DEP_2)
	v_cndmask_b32_e32 v29, v29, v26, vcc_lo
	v_cmp_lt_u32_e32 vcc_lo, 22, v0
	s_wait_dscnt 0x0
	v_fmac_f32_e32 v27, v29, v30
	s_or_b32 s0, vcc_lo, s0
	s_delay_alu instid0(SALU_CYCLE_1)
	s_and_not1_b32 exec_lo, exec_lo, s0
	s_cbranch_execnz .LBB24_609
; %bb.610:
	s_or_b32 exec_lo, exec_lo, s0
.LBB24_611:
	s_delay_alu instid0(SALU_CYCLE_1)
	s_or_b32 exec_lo, exec_lo, s2
	v_mov_b32_e32 v0, 0
	ds_load_b32 v0, v0 offset:96
	s_wait_dscnt 0x0
	v_mul_f32_e32 v26, v27, v0
.LBB24_612:
	s_or_b32 exec_lo, exec_lo, s1
	v_mov_b64_e32 v[64:65], v[32:33]
	s_delay_alu instid0(VALU_DEP_2)
	v_mov_b64_e32 v[58:59], v[26:27]
	v_mov_b64_e32 v[56:57], v[24:25]
	;; [unrolled: 1-line block ×15, first 2 shown]
.LBB24_613:
	s_wait_xcnt 0x18
	v_lshl_add_u64 v[0:1], v[66:67], 2, s[26:27]
	s_wait_loadcnt 0x17
	v_lshl_add_u64 v[2:3], v[68:69], 2, s[26:27]
	s_wait_loadcnt 0x15
	v_lshl_add_u64 v[4:5], v[70:71], 2, s[26:27]
	s_wait_loadcnt 0x13
	v_lshl_add_u64 v[6:7], v[72:73], 2, s[26:27]
	s_wait_loadcnt 0x11
	v_lshl_add_u64 v[8:9], v[74:75], 2, s[26:27]
	s_wait_loadcnt 0xf
	v_lshl_add_u64 v[10:11], v[76:77], 2, s[26:27]
	s_wait_loadcnt 0xd
	v_lshl_add_u64 v[12:13], v[78:79], 2, s[26:27]
	s_wait_loadcnt 0xb
	v_lshl_add_u64 v[14:15], v[80:81], 2, s[26:27]
	s_wait_loadcnt 0x9
	v_lshl_add_u64 v[16:17], v[82:83], 2, s[26:27]
	s_wait_loadcnt 0x7
	v_lshl_add_u64 v[18:19], v[84:85], 2, s[26:27]
	s_wait_loadcnt 0x5
	v_lshl_add_u64 v[20:21], v[86:87], 2, s[26:27]
	s_wait_loadcnt 0x3
	v_lshl_add_u64 v[22:23], v[88:89], 2, s[26:27]
	s_wait_loadcnt 0x1
	v_lshl_add_u64 v[24:25], v[90:91], 2, s[26:27]
	s_wait_loadcnt 0x0
	v_lshl_add_u64 v[26:27], v[92:93], 2, s[26:27]
	v_lshl_add_u64 v[28:29], v[94:95], 2, s[26:27]
	;; [unrolled: 1-line block ×10, first 2 shown]
	s_clause 0x18
	global_store_b32 v[98:99], v34, off
	global_store_b32 v[102:103], v35, off
	;; [unrolled: 1-line block ×25, first 2 shown]
.LBB24_614:
	s_sendmsg sendmsg(MSG_DEALLOC_VGPRS)
	s_endpgm
	.section	.rodata,"a",@progbits
	.p2align	6, 0x0
	.amdhsa_kernel _ZN9rocsolver6v33100L18trti2_kernel_smallILi25EfPfEEv13rocblas_fill_17rocblas_diagonal_T1_iil
		.amdhsa_group_segment_fixed_size 212
		.amdhsa_private_segment_fixed_size 0
		.amdhsa_kernarg_size 32
		.amdhsa_user_sgpr_count 2
		.amdhsa_user_sgpr_dispatch_ptr 0
		.amdhsa_user_sgpr_queue_ptr 0
		.amdhsa_user_sgpr_kernarg_segment_ptr 1
		.amdhsa_user_sgpr_dispatch_id 0
		.amdhsa_user_sgpr_kernarg_preload_length 0
		.amdhsa_user_sgpr_kernarg_preload_offset 0
		.amdhsa_user_sgpr_private_segment_size 0
		.amdhsa_wavefront_size32 1
		.amdhsa_uses_dynamic_stack 0
		.amdhsa_enable_private_segment 0
		.amdhsa_system_sgpr_workgroup_id_x 1
		.amdhsa_system_sgpr_workgroup_id_y 0
		.amdhsa_system_sgpr_workgroup_id_z 0
		.amdhsa_system_sgpr_workgroup_info 0
		.amdhsa_system_vgpr_workitem_id 0
		.amdhsa_next_free_vgpr 131
		.amdhsa_next_free_sgpr 44
		.amdhsa_named_barrier_count 0
		.amdhsa_reserve_vcc 1
		.amdhsa_float_round_mode_32 0
		.amdhsa_float_round_mode_16_64 0
		.amdhsa_float_denorm_mode_32 3
		.amdhsa_float_denorm_mode_16_64 3
		.amdhsa_fp16_overflow 0
		.amdhsa_memory_ordered 1
		.amdhsa_forward_progress 1
		.amdhsa_inst_pref_size 255
		.amdhsa_round_robin_scheduling 0
		.amdhsa_exception_fp_ieee_invalid_op 0
		.amdhsa_exception_fp_denorm_src 0
		.amdhsa_exception_fp_ieee_div_zero 0
		.amdhsa_exception_fp_ieee_overflow 0
		.amdhsa_exception_fp_ieee_underflow 0
		.amdhsa_exception_fp_ieee_inexact 0
		.amdhsa_exception_int_div_zero 0
	.end_amdhsa_kernel
	.section	.text._ZN9rocsolver6v33100L18trti2_kernel_smallILi25EfPfEEv13rocblas_fill_17rocblas_diagonal_T1_iil,"axG",@progbits,_ZN9rocsolver6v33100L18trti2_kernel_smallILi25EfPfEEv13rocblas_fill_17rocblas_diagonal_T1_iil,comdat
.Lfunc_end24:
	.size	_ZN9rocsolver6v33100L18trti2_kernel_smallILi25EfPfEEv13rocblas_fill_17rocblas_diagonal_T1_iil, .Lfunc_end24-_ZN9rocsolver6v33100L18trti2_kernel_smallILi25EfPfEEv13rocblas_fill_17rocblas_diagonal_T1_iil
                                        ; -- End function
	.set _ZN9rocsolver6v33100L18trti2_kernel_smallILi25EfPfEEv13rocblas_fill_17rocblas_diagonal_T1_iil.num_vgpr, 131
	.set _ZN9rocsolver6v33100L18trti2_kernel_smallILi25EfPfEEv13rocblas_fill_17rocblas_diagonal_T1_iil.num_agpr, 0
	.set _ZN9rocsolver6v33100L18trti2_kernel_smallILi25EfPfEEv13rocblas_fill_17rocblas_diagonal_T1_iil.numbered_sgpr, 44
	.set _ZN9rocsolver6v33100L18trti2_kernel_smallILi25EfPfEEv13rocblas_fill_17rocblas_diagonal_T1_iil.num_named_barrier, 0
	.set _ZN9rocsolver6v33100L18trti2_kernel_smallILi25EfPfEEv13rocblas_fill_17rocblas_diagonal_T1_iil.private_seg_size, 0
	.set _ZN9rocsolver6v33100L18trti2_kernel_smallILi25EfPfEEv13rocblas_fill_17rocblas_diagonal_T1_iil.uses_vcc, 1
	.set _ZN9rocsolver6v33100L18trti2_kernel_smallILi25EfPfEEv13rocblas_fill_17rocblas_diagonal_T1_iil.uses_flat_scratch, 0
	.set _ZN9rocsolver6v33100L18trti2_kernel_smallILi25EfPfEEv13rocblas_fill_17rocblas_diagonal_T1_iil.has_dyn_sized_stack, 0
	.set _ZN9rocsolver6v33100L18trti2_kernel_smallILi25EfPfEEv13rocblas_fill_17rocblas_diagonal_T1_iil.has_recursion, 0
	.set _ZN9rocsolver6v33100L18trti2_kernel_smallILi25EfPfEEv13rocblas_fill_17rocblas_diagonal_T1_iil.has_indirect_call, 0
	.section	.AMDGPU.csdata,"",@progbits
; Kernel info:
; codeLenInByte = 41160
; TotalNumSgprs: 46
; NumVgprs: 131
; ScratchSize: 0
; MemoryBound: 0
; FloatMode: 240
; IeeeMode: 1
; LDSByteSize: 212 bytes/workgroup (compile time only)
; SGPRBlocks: 0
; VGPRBlocks: 8
; NumSGPRsForWavesPerEU: 46
; NumVGPRsForWavesPerEU: 131
; NamedBarCnt: 0
; Occupancy: 7
; WaveLimiterHint : 0
; COMPUTE_PGM_RSRC2:SCRATCH_EN: 0
; COMPUTE_PGM_RSRC2:USER_SGPR: 2
; COMPUTE_PGM_RSRC2:TRAP_HANDLER: 0
; COMPUTE_PGM_RSRC2:TGID_X_EN: 1
; COMPUTE_PGM_RSRC2:TGID_Y_EN: 0
; COMPUTE_PGM_RSRC2:TGID_Z_EN: 0
; COMPUTE_PGM_RSRC2:TIDIG_COMP_CNT: 0
	.section	.text._ZN9rocsolver6v33100L18trti2_kernel_smallILi26EfPfEEv13rocblas_fill_17rocblas_diagonal_T1_iil,"axG",@progbits,_ZN9rocsolver6v33100L18trti2_kernel_smallILi26EfPfEEv13rocblas_fill_17rocblas_diagonal_T1_iil,comdat
	.globl	_ZN9rocsolver6v33100L18trti2_kernel_smallILi26EfPfEEv13rocblas_fill_17rocblas_diagonal_T1_iil ; -- Begin function _ZN9rocsolver6v33100L18trti2_kernel_smallILi26EfPfEEv13rocblas_fill_17rocblas_diagonal_T1_iil
	.p2align	8
	.type	_ZN9rocsolver6v33100L18trti2_kernel_smallILi26EfPfEEv13rocblas_fill_17rocblas_diagonal_T1_iil,@function
_ZN9rocsolver6v33100L18trti2_kernel_smallILi26EfPfEEv13rocblas_fill_17rocblas_diagonal_T1_iil: ; @_ZN9rocsolver6v33100L18trti2_kernel_smallILi26EfPfEEv13rocblas_fill_17rocblas_diagonal_T1_iil
; %bb.0:
	s_mov_b32 s2, exec_lo
	v_cmpx_gt_u32_e32 26, v0
	s_cbranch_execz .LBB25_640
; %bb.1:
	s_load_b256 s[36:43], s[0:1], 0x0
	s_wait_xcnt 0x0
	s_bfe_u32 s0, ttmp6, 0x4000c
	s_and_b32 s1, ttmp6, 15
	s_add_co_i32 s0, s0, 1
	s_getreg_b32 s2, hwreg(HW_REG_IB_STS2, 6, 4)
	s_mul_i32 s0, ttmp9, s0
	v_mov_b32_e32 v1, 0
	s_add_co_i32 s0, s1, s0
	s_delay_alu instid0(VALU_DEP_1)
	v_dual_mov_b32 v35, v1 :: v_dual_lshlrev_b32 v34, 2, v0
	s_wait_kmcnt 0x0
	v_add3_u32 v66, s41, s41, v0
	s_ashr_i32 s1, s40, 31
	s_cmp_eq_u32 s2, 0
	s_cselect_b32 s2, ttmp9, s0
	s_delay_alu instid0(VALU_DEP_1)
	v_add_nc_u32_e32 v68, s41, v66
	s_ashr_i32 s3, s2, 31
	s_mov_b32 s0, s40
	s_mul_u64 s[2:3], s[42:43], s[2:3]
	s_lshl_b64 s[0:1], s[0:1], 2
	v_add_nc_u32_e32 v70, s41, v68
	s_lshl_b64 s[2:3], s[2:3], 2
	s_delay_alu instid0(SALU_CYCLE_1) | instskip(NEXT) | instid1(VALU_DEP_1)
	s_add_nc_u64 s[2:3], s[38:39], s[2:3]
	v_add_nc_u32_e32 v72, s41, v70
	s_add_nc_u64 s[26:27], s[2:3], s[0:1]
	s_mov_b32 s0, s41
	s_ashr_i32 s1, s41, 31
	s_cmp_lg_u32 s37, 0x84
	v_add_nc_u32_e32 v74, s41, v72
	s_cselect_b32 s28, -1, 0
	s_cmp_eq_u32 s37, 0x84
	v_add_nc_u64_e32 v[100:101], s[26:27], v[34:35]
	s_delay_alu instid0(VALU_DEP_2) | instskip(NEXT) | instid1(VALU_DEP_1)
	v_dual_mov_b32 v35, -1.0 :: v_dual_add_nc_u32 v76, s41, v74
	v_add_nc_u32_e32 v78, s41, v76
	s_delay_alu instid0(VALU_DEP_3)
	v_lshl_add_u64 v[104:105], s[0:1], 2, v[100:101]
	s_clause 0x7
	global_load_b32 v3, v[104:105], off
	global_load_b32 v4, v66, s[26:27] scale_offset
	global_load_b32 v5, v68, s[26:27] scale_offset
	;; [unrolled: 1-line block ×7, first 2 shown]
	v_add_nc_u32_e32 v80, s41, v78
	v_cmp_eq_u32_e64 s0, 0, v0
	s_delay_alu instid0(VALU_DEP_2) | instskip(NEXT) | instid1(VALU_DEP_1)
	v_add_nc_u32_e32 v82, s41, v80
	v_add_nc_u32_e32 v84, s41, v82
	s_delay_alu instid0(VALU_DEP_1) | instskip(NEXT) | instid1(VALU_DEP_1)
	v_add_nc_u32_e32 v86, s41, v84
	v_add_nc_u32_e32 v88, s41, v86
	s_delay_alu instid0(VALU_DEP_1) | instskip(NEXT) | instid1(VALU_DEP_1)
	v_add_nc_u32_e32 v90, s41, v88
	v_add_nc_u32_e32 v92, s41, v90
	s_delay_alu instid0(VALU_DEP_1)
	v_add_nc_u32_e32 v94, s41, v92
	s_clause 0x7
	global_load_b32 v11, v80, s[26:27] scale_offset
	global_load_b32 v12, v82, s[26:27] scale_offset
	;; [unrolled: 1-line block ×8, first 2 shown]
	v_add_nc_u32_e32 v96, s41, v94
	s_delay_alu instid0(VALU_DEP_1) | instskip(NEXT) | instid1(VALU_DEP_1)
	v_add_nc_u32_e32 v98, s41, v96
	v_add_nc_u32_e32 v102, s41, v98
	s_delay_alu instid0(VALU_DEP_1) | instskip(NEXT) | instid1(VALU_DEP_1)
	v_add_nc_u32_e32 v106, s41, v102
	;; [unrolled: 3-line block ×4, first 2 shown]
	v_add_nc_u32_e32 v116, s41, v114
	s_clause 0x9
	global_load_b32 v19, v96, s[26:27] scale_offset
	global_load_b32 v20, v98, s[26:27] scale_offset
	;; [unrolled: 1-line block ×10, first 2 shown]
	s_cbranch_scc1 .LBB25_3
; %bb.2:
	v_cmp_eq_u32_e64 s1, 1, v0
	v_cmp_eq_u32_e64 s2, 2, v0
	;; [unrolled: 1-line block ×5, first 2 shown]
	s_wait_loadcnt 0x1
	v_cndmask_b32_e64 v28, v2, v3, s1
	v_cmp_eq_u32_e64 s6, 6, v0
	v_cmp_eq_u32_e64 s7, 7, v0
	v_cmp_eq_u32_e64 s8, 8, v0
	v_cmp_eq_u32_e64 s9, 9, v0
	v_cndmask_b32_e64 v28, v28, v4, s2
	v_cmp_eq_u32_e64 s10, 10, v0
	v_cmp_eq_u32_e64 s11, 11, v0
	v_cmp_eq_u32_e64 s12, 12, v0
	v_cmp_eq_u32_e64 s13, 13, v0
	;; [unrolled: 5-line block ×5, first 2 shown]
	v_cndmask_b32_e64 v28, v28, v8, s6
	s_delay_alu instid0(VALU_DEP_1) | instskip(NEXT) | instid1(VALU_DEP_1)
	v_cndmask_b32_e64 v28, v28, v9, s7
	v_cndmask_b32_e64 v28, v28, v10, s8
	s_delay_alu instid0(VALU_DEP_1) | instskip(NEXT) | instid1(VALU_DEP_1)
	v_cndmask_b32_e64 v28, v28, v11, s9
	;; [unrolled: 3-line block ×9, first 2 shown]
	v_cndmask_b32_e64 v28, v28, v26, s24
	s_wait_loadcnt 0x0
	s_delay_alu instid0(VALU_DEP_1) | instskip(NEXT) | instid1(VALU_DEP_1)
	v_cndmask_b32_e64 v28, v28, v27, s25
	v_div_scale_f32 v29, null, v28, v28, 1.0
	v_div_scale_f32 v32, vcc_lo, 1.0, v28, 1.0
	s_delay_alu instid0(VALU_DEP_2) | instskip(SKIP_1) | instid1(TRANS32_DEP_1)
	v_rcp_f32_e32 v30, v29
	v_nop
	v_fma_f32 v31, -v29, v30, 1.0
	s_delay_alu instid0(VALU_DEP_1) | instskip(NEXT) | instid1(VALU_DEP_1)
	v_fmac_f32_e32 v30, v31, v30
	v_mul_f32_e32 v31, v32, v30
	s_delay_alu instid0(VALU_DEP_1) | instskip(NEXT) | instid1(VALU_DEP_1)
	v_fma_f32 v33, -v29, v31, v32
	v_fmac_f32_e32 v31, v33, v30
	s_delay_alu instid0(VALU_DEP_1) | instskip(NEXT) | instid1(VALU_DEP_1)
	v_fma_f32 v29, -v29, v31, v32
	v_div_fmas_f32 v29, v29, v30, v31
	s_delay_alu instid0(VALU_DEP_1) | instskip(NEXT) | instid1(VALU_DEP_1)
	v_div_fixup_f32 v28, v29, v28, 1.0
	v_dual_cndmask_b32 v27, v27, v28, s25 :: v_dual_cndmask_b32 v26, v26, v28, s24
	v_dual_cndmask_b32 v25, v25, v28, s23 :: v_dual_cndmask_b32 v24, v24, v28, s22
	;; [unrolled: 1-line block ×13, first 2 shown]
	v_xor_b32_e32 v35, 0x80000000, v28
.LBB25_3:
	v_dual_ashrrev_i32 v67, 31, v66 :: v_dual_ashrrev_i32 v69, 31, v68
	v_dual_ashrrev_i32 v71, 31, v70 :: v_dual_ashrrev_i32 v73, 31, v72
	;; [unrolled: 1-line block ×11, first 2 shown]
	v_ashrrev_i32_e32 v111, 31, v110
	v_ashrrev_i32_e32 v115, 31, v114
	v_add_nc_u32_e32 v121, 0x70, v34
	s_cmp_eq_u32 s36, 0x79
	ds_store_b32 v34, v35
	s_cbranch_scc1 .LBB25_7
; %bb.4:
	s_wait_loadcnt 0x0
	v_mov_b64_e32 v[64:65], v[32:33]
	v_mov_b64_e32 v[62:63], v[30:31]
	;; [unrolled: 1-line block ×16, first 2 shown]
	v_cmp_eq_u32_e64 s0, 25, v0
	ds_store_b32 v121, v26
	s_wait_dscnt 0x0
	s_barrier_signal -1
	s_barrier_wait -1
	s_and_saveexec_b32 s1, s0
	s_cbranch_execz .LBB25_11
; %bb.5:
	s_and_b32 vcc_lo, exec_lo, s28
	s_cbranch_vccz .LBB25_8
; %bb.6:
	v_cmp_eq_u32_e32 vcc_lo, 1, v0
	ds_load_b32 v35, v121
	v_cndmask_b32_e32 v34, v2, v3, vcc_lo
	v_cmp_eq_u32_e32 vcc_lo, 2, v0
	s_delay_alu instid0(VALU_DEP_2) | instskip(SKIP_1) | instid1(VALU_DEP_2)
	v_cndmask_b32_e32 v34, v34, v4, vcc_lo
	v_cmp_eq_u32_e32 vcc_lo, 3, v0
	v_cndmask_b32_e32 v34, v34, v5, vcc_lo
	v_cmp_eq_u32_e32 vcc_lo, 4, v0
	s_delay_alu instid0(VALU_DEP_2) | instskip(SKIP_1) | instid1(VALU_DEP_2)
	v_cndmask_b32_e32 v34, v34, v6, vcc_lo
	v_cmp_eq_u32_e32 vcc_lo, 5, v0
	;; [unrolled: 5-line block ×12, first 2 shown]
	v_cndmask_b32_e32 v34, v34, v27, vcc_lo
	s_wait_dscnt 0x0
	s_delay_alu instid0(VALU_DEP_1)
	v_mul_f32_e32 v57, v34, v35
	s_cbranch_execz .LBB25_9
	s_branch .LBB25_10
.LBB25_7:
                                        ; implicit-def: $vgpr34_vgpr35_vgpr36_vgpr37_vgpr38_vgpr39_vgpr40_vgpr41_vgpr42_vgpr43_vgpr44_vgpr45_vgpr46_vgpr47_vgpr48_vgpr49_vgpr50_vgpr51_vgpr52_vgpr53_vgpr54_vgpr55_vgpr56_vgpr57_vgpr58_vgpr59_vgpr60_vgpr61_vgpr62_vgpr63_vgpr64_vgpr65
	s_cbranch_execnz .LBB25_386
	s_branch .LBB25_639
.LBB25_8:
                                        ; implicit-def: $vgpr57
.LBB25_9:
	ds_load_b32 v57, v121
.LBB25_10:
	v_dual_mov_b32 v38, 0 :: v_dual_mov_b32 v34, v2
	v_dual_mov_b32 v35, v3 :: v_dual_mov_b32 v36, v4
	v_mov_b32_e32 v37, v5
	ds_load_b32 v58, v38 offset:96
	v_dual_mov_b32 v38, v6 :: v_dual_mov_b32 v39, v7
	v_dual_mov_b32 v40, v8 :: v_dual_mov_b32 v41, v9
	;; [unrolled: 1-line block ×9, first 2 shown]
	s_wait_dscnt 0x0
	v_dual_mov_b32 v56, v24 :: v_dual_mul_f32 v58, v57, v58
	v_dual_mov_b32 v59, v27 :: v_dual_mov_b32 v57, v25
.LBB25_11:
	s_or_b32 exec_lo, exec_lo, s1
	v_cmp_lt_u32_e64 s1, 23, v0
	ds_store_b32 v121, v57
	s_wait_dscnt 0x0
	s_barrier_signal -1
	s_barrier_wait -1
	s_and_saveexec_b32 s2, s1
	s_cbranch_execz .LBB25_17
; %bb.12:
	s_and_not1_b32 vcc_lo, exec_lo, s28
	s_cbranch_vccnz .LBB25_14
; %bb.13:
	v_cmp_eq_u32_e32 vcc_lo, 1, v0
	ds_load_b32 v61, v121
	v_cndmask_b32_e32 v60, v34, v35, vcc_lo
	v_cmp_eq_u32_e32 vcc_lo, 2, v0
	s_delay_alu instid0(VALU_DEP_2) | instskip(SKIP_1) | instid1(VALU_DEP_2)
	v_cndmask_b32_e32 v60, v60, v36, vcc_lo
	v_cmp_eq_u32_e32 vcc_lo, 3, v0
	v_cndmask_b32_e32 v60, v60, v37, vcc_lo
	v_cmp_eq_u32_e32 vcc_lo, 4, v0
	s_delay_alu instid0(VALU_DEP_2) | instskip(SKIP_1) | instid1(VALU_DEP_2)
	v_cndmask_b32_e32 v60, v60, v38, vcc_lo
	v_cmp_eq_u32_e32 vcc_lo, 5, v0
	;; [unrolled: 5-line block ×12, first 2 shown]
	v_cndmask_b32_e32 v57, v57, v59, vcc_lo
	s_wait_dscnt 0x0
	s_delay_alu instid0(VALU_DEP_1)
	v_mul_f32_e32 v57, v57, v61
	s_cbranch_execz .LBB25_15
	s_branch .LBB25_16
.LBB25_14:
                                        ; implicit-def: $vgpr57
.LBB25_15:
	ds_load_b32 v57, v121
.LBB25_16:
	v_mov_b32_e32 v60, 0
	ds_load_2addr_b32 v[60:61], v60 offset0:23 offset1:52
	s_wait_dscnt 0x0
	v_fma_f32 v61, v58, v61, v57
	s_delay_alu instid0(VALU_DEP_1) | instskip(NEXT) | instid1(VALU_DEP_1)
	v_cndmask_b32_e64 v57, v57, v61, s0
	v_mul_f32_e32 v57, v57, v60
.LBB25_17:
	s_or_b32 exec_lo, exec_lo, s2
	v_cmp_lt_u32_e64 s0, 22, v0
	ds_store_b32 v121, v56
	s_wait_dscnt 0x0
	s_barrier_signal -1
	s_barrier_wait -1
	s_and_saveexec_b32 s4, s0
	s_cbranch_execz .LBB25_33
; %bb.18:
	s_and_not1_b32 vcc_lo, exec_lo, s28
	s_cbranch_vccnz .LBB25_20
; %bb.19:
	v_cmp_eq_u32_e32 vcc_lo, 1, v0
	ds_load_b32 v119, v121
	v_cndmask_b32_e32 v118, v34, v35, vcc_lo
	v_cmp_eq_u32_e32 vcc_lo, 2, v0
	s_delay_alu instid0(VALU_DEP_2) | instskip(SKIP_1) | instid1(VALU_DEP_2)
	v_cndmask_b32_e32 v118, v118, v36, vcc_lo
	v_cmp_eq_u32_e32 vcc_lo, 3, v0
	v_cndmask_b32_e32 v118, v118, v37, vcc_lo
	v_cmp_eq_u32_e32 vcc_lo, 4, v0
	s_delay_alu instid0(VALU_DEP_2) | instskip(SKIP_1) | instid1(VALU_DEP_2)
	v_cndmask_b32_e32 v118, v118, v38, vcc_lo
	v_cmp_eq_u32_e32 vcc_lo, 5, v0
	v_cndmask_b32_e32 v118, v118, v39, vcc_lo
	v_cmp_eq_u32_e32 vcc_lo, 6, v0
	s_delay_alu instid0(VALU_DEP_2) | instskip(SKIP_1) | instid1(VALU_DEP_2)
	v_cndmask_b32_e32 v118, v118, v40, vcc_lo
	v_cmp_eq_u32_e32 vcc_lo, 7, v0
	v_cndmask_b32_e32 v118, v118, v41, vcc_lo
	v_cmp_eq_u32_e32 vcc_lo, 8, v0
	s_delay_alu instid0(VALU_DEP_2) | instskip(SKIP_1) | instid1(VALU_DEP_2)
	v_cndmask_b32_e32 v118, v118, v42, vcc_lo
	v_cmp_eq_u32_e32 vcc_lo, 9, v0
	v_cndmask_b32_e32 v118, v118, v43, vcc_lo
	v_cmp_eq_u32_e32 vcc_lo, 10, v0
	s_delay_alu instid0(VALU_DEP_2) | instskip(SKIP_1) | instid1(VALU_DEP_2)
	v_cndmask_b32_e32 v118, v118, v44, vcc_lo
	v_cmp_eq_u32_e32 vcc_lo, 11, v0
	v_cndmask_b32_e32 v118, v118, v45, vcc_lo
	v_cmp_eq_u32_e32 vcc_lo, 12, v0
	s_delay_alu instid0(VALU_DEP_2) | instskip(SKIP_1) | instid1(VALU_DEP_2)
	v_cndmask_b32_e32 v118, v118, v46, vcc_lo
	v_cmp_eq_u32_e32 vcc_lo, 13, v0
	v_cndmask_b32_e32 v118, v118, v47, vcc_lo
	v_cmp_eq_u32_e32 vcc_lo, 14, v0
	s_delay_alu instid0(VALU_DEP_2) | instskip(SKIP_1) | instid1(VALU_DEP_2)
	v_cndmask_b32_e32 v118, v118, v48, vcc_lo
	v_cmp_eq_u32_e32 vcc_lo, 15, v0
	v_cndmask_b32_e32 v118, v118, v49, vcc_lo
	v_cmp_eq_u32_e32 vcc_lo, 16, v0
	s_delay_alu instid0(VALU_DEP_2) | instskip(SKIP_1) | instid1(VALU_DEP_2)
	v_cndmask_b32_e32 v118, v118, v50, vcc_lo
	v_cmp_eq_u32_e32 vcc_lo, 17, v0
	v_cndmask_b32_e32 v118, v118, v51, vcc_lo
	v_cmp_eq_u32_e32 vcc_lo, 18, v0
	s_delay_alu instid0(VALU_DEP_2) | instskip(SKIP_1) | instid1(VALU_DEP_2)
	v_cndmask_b32_e32 v118, v118, v52, vcc_lo
	v_cmp_eq_u32_e32 vcc_lo, 19, v0
	v_cndmask_b32_e32 v118, v118, v53, vcc_lo
	v_cmp_eq_u32_e32 vcc_lo, 20, v0
	s_delay_alu instid0(VALU_DEP_2) | instskip(SKIP_1) | instid1(VALU_DEP_2)
	v_cndmask_b32_e32 v118, v118, v54, vcc_lo
	v_cmp_eq_u32_e32 vcc_lo, 21, v0
	v_cndmask_b32_e32 v118, v118, v55, vcc_lo
	v_cmp_eq_u32_e32 vcc_lo, 22, v0
	s_delay_alu instid0(VALU_DEP_2) | instskip(SKIP_1) | instid1(VALU_DEP_2)
	v_cndmask_b32_e32 v118, v118, v56, vcc_lo
	v_cmp_eq_u32_e32 vcc_lo, 23, v0
	v_cndmask_b32_e32 v118, v118, v57, vcc_lo
	v_cmp_eq_u32_e32 vcc_lo, 24, v0
	s_delay_alu instid0(VALU_DEP_2) | instskip(SKIP_1) | instid1(VALU_DEP_2)
	v_cndmask_b32_e32 v118, v118, v58, vcc_lo
	v_cmp_eq_u32_e32 vcc_lo, 25, v0
	v_cndmask_b32_e32 v118, v118, v59, vcc_lo
	s_wait_dscnt 0x0
	s_delay_alu instid0(VALU_DEP_1)
	v_mul_f32_e32 v122, v118, v119
	s_cbranch_execz .LBB25_21
	s_branch .LBB25_22
.LBB25_20:
                                        ; implicit-def: $vgpr122
.LBB25_21:
	ds_load_b32 v122, v121
.LBB25_22:
	s_and_saveexec_b32 s5, s1
	s_cbranch_execz .LBB25_32
; %bb.23:
	v_subrev_nc_u32_e32 v120, 24, v0
	v_mov_b32_e32 v118, 23
	v_subrev_nc_u32_e32 v119, 23, v0
	s_mov_b32 s1, exec_lo
	s_delay_alu instid0(VALU_DEP_3)
	v_cmpx_lt_u32_e32 6, v120
	s_cbranch_execz .LBB25_27
; %bb.24:
	s_delay_alu instid0(VALU_DEP_2) | instskip(SKIP_3) | instid1(VALU_DEP_1)
	v_and_b32_e32 v118, -8, v119
	s_mov_b32 s6, 0
	s_mov_b64 s[2:3], 30
	s_movk_i32 s7, 0xcc
	v_sub_nc_u32_e32 v120, 0, v118
.LBB25_25:                              ; =>This Inner Loop Header: Depth=1
	s_add_co_i32 m0, s2, -7
	v_movrels_b32_e32 v118, v34
	v_mov_b32_e32 v123, s7
	s_add_co_i32 m0, s2, -6
	s_add_co_i32 s7, s7, 32
	ds_load_2addr_b32 v[124:125], v123 offset1:1
	s_wait_dscnt 0x0
	v_fmac_f32_e32 v122, v118, v124
	v_movrels_b32_e32 v118, v34
	s_add_co_i32 m0, s2, -5
	s_delay_alu instid0(VALU_DEP_1) | instskip(SKIP_4) | instid1(VALU_DEP_1)
	v_fmac_f32_e32 v122, v118, v125
	ds_load_2addr_b32 v[124:125], v123 offset0:2 offset1:3
	v_movrels_b32_e32 v118, v34
	s_add_co_i32 m0, s2, -4
	s_wait_dscnt 0x0
	v_fmac_f32_e32 v122, v118, v124
	v_movrels_b32_e32 v118, v34
	s_add_co_i32 m0, s2, -3
	s_delay_alu instid0(VALU_DEP_1) | instskip(SKIP_4) | instid1(VALU_DEP_1)
	v_fmac_f32_e32 v122, v118, v125
	ds_load_2addr_b32 v[124:125], v123 offset0:4 offset1:5
	v_movrels_b32_e32 v118, v34
	s_add_co_i32 m0, s2, -2
	s_wait_dscnt 0x0
	v_fmac_f32_e32 v122, v118, v124
	v_movrels_b32_e32 v118, v34
	s_add_co_i32 m0, s2, -1
	s_delay_alu instid0(VALU_DEP_1) | instskip(SKIP_4) | instid1(SALU_CYCLE_1)
	v_fmac_f32_e32 v122, v118, v125
	ds_load_2addr_b32 v[124:125], v123 offset0:6 offset1:7
	v_movrels_b32_e32 v118, v34
	s_mov_b32 m0, s2
	s_add_nc_u64 s[2:3], s[2:3], 8
	s_add_co_i32 s8, s2, -7
	s_wait_dscnt 0x0
	v_fmac_f32_e32 v122, v118, v124
	v_movrels_b32_e32 v118, v34
	s_delay_alu instid0(VALU_DEP_1) | instskip(NEXT) | instid1(VALU_DEP_1)
	v_dual_fmac_f32 v122, v118, v125 :: v_dual_add_nc_u32 v118, s2, v120
	v_cmp_eq_u32_e32 vcc_lo, 30, v118
	v_mov_b32_e32 v118, s8
	s_or_b32 s6, vcc_lo, s6
	s_delay_alu instid0(SALU_CYCLE_1)
	s_and_not1_b32 exec_lo, exec_lo, s6
	s_cbranch_execnz .LBB25_25
; %bb.26:
	s_or_b32 exec_lo, exec_lo, s6
.LBB25_27:
	s_delay_alu instid0(SALU_CYCLE_1) | instskip(SKIP_3) | instid1(VALU_DEP_1)
	s_or_b32 exec_lo, exec_lo, s1
	v_and_b32_e32 v60, 7, v119
	s_mov_b32 s2, 0
	s_mov_b32 s1, exec_lo
	v_cmpx_ne_u32_e32 0, v60
	s_cbranch_execz .LBB25_31
; %bb.28:
	v_lshl_add_u32 v61, v118, 2, 0x70
	v_mov_b32_e32 v119, 0
.LBB25_29:                              ; =>This Inner Loop Header: Depth=1
	v_cmp_eq_u32_e32 vcc_lo, 1, v118
	ds_load_b32 v63, v61
	v_dual_add_nc_u32 v60, -1, v60 :: v_dual_add_nc_u32 v61, 4, v61
	v_cndmask_b32_e32 v62, v34, v35, vcc_lo
	v_cmp_eq_u32_e32 vcc_lo, 2, v118
	s_delay_alu instid0(VALU_DEP_2) | instskip(SKIP_1) | instid1(VALU_DEP_2)
	v_cndmask_b32_e32 v62, v62, v36, vcc_lo
	v_cmp_eq_u32_e32 vcc_lo, 3, v118
	v_cndmask_b32_e32 v62, v62, v37, vcc_lo
	v_cmp_eq_u32_e32 vcc_lo, 4, v118
	s_delay_alu instid0(VALU_DEP_2) | instskip(SKIP_1) | instid1(VALU_DEP_2)
	v_cndmask_b32_e32 v62, v62, v38, vcc_lo
	v_cmp_eq_u32_e32 vcc_lo, 5, v118
	v_cndmask_b32_e32 v62, v62, v39, vcc_lo
	v_cmp_eq_u32_e32 vcc_lo, 6, v118
	s_delay_alu instid0(VALU_DEP_2) | instskip(SKIP_1) | instid1(VALU_DEP_2)
	v_cndmask_b32_e32 v62, v62, v40, vcc_lo
	v_cmp_eq_u32_e32 vcc_lo, 7, v118
	v_cndmask_b32_e32 v62, v62, v41, vcc_lo
	v_cmp_eq_u32_e32 vcc_lo, 8, v118
	s_delay_alu instid0(VALU_DEP_2) | instskip(SKIP_1) | instid1(VALU_DEP_2)
	v_cndmask_b32_e32 v62, v62, v42, vcc_lo
	v_cmp_eq_u32_e32 vcc_lo, 9, v118
	v_cndmask_b32_e32 v62, v62, v43, vcc_lo
	v_cmp_eq_u32_e32 vcc_lo, 10, v118
	s_delay_alu instid0(VALU_DEP_2) | instskip(SKIP_1) | instid1(VALU_DEP_2)
	v_cndmask_b32_e32 v62, v62, v44, vcc_lo
	v_cmp_eq_u32_e32 vcc_lo, 11, v118
	v_cndmask_b32_e32 v62, v62, v45, vcc_lo
	v_cmp_eq_u32_e32 vcc_lo, 12, v118
	s_delay_alu instid0(VALU_DEP_2) | instskip(SKIP_1) | instid1(VALU_DEP_2)
	v_cndmask_b32_e32 v62, v62, v46, vcc_lo
	v_cmp_eq_u32_e32 vcc_lo, 13, v118
	v_cndmask_b32_e32 v62, v62, v47, vcc_lo
	v_cmp_eq_u32_e32 vcc_lo, 14, v118
	s_delay_alu instid0(VALU_DEP_2) | instskip(SKIP_1) | instid1(VALU_DEP_2)
	v_cndmask_b32_e32 v62, v62, v48, vcc_lo
	v_cmp_eq_u32_e32 vcc_lo, 15, v118
	v_cndmask_b32_e32 v62, v62, v49, vcc_lo
	v_cmp_eq_u32_e32 vcc_lo, 16, v118
	s_delay_alu instid0(VALU_DEP_2) | instskip(SKIP_1) | instid1(VALU_DEP_2)
	v_cndmask_b32_e32 v62, v62, v50, vcc_lo
	v_cmp_eq_u32_e32 vcc_lo, 17, v118
	v_cndmask_b32_e32 v62, v62, v51, vcc_lo
	v_cmp_eq_u32_e32 vcc_lo, 18, v118
	s_delay_alu instid0(VALU_DEP_2) | instskip(SKIP_1) | instid1(VALU_DEP_2)
	v_cndmask_b32_e32 v62, v62, v52, vcc_lo
	v_cmp_eq_u32_e32 vcc_lo, 19, v118
	v_cndmask_b32_e32 v62, v62, v53, vcc_lo
	v_cmp_eq_u32_e32 vcc_lo, 20, v118
	s_delay_alu instid0(VALU_DEP_2) | instskip(SKIP_1) | instid1(VALU_DEP_2)
	v_cndmask_b32_e32 v62, v62, v54, vcc_lo
	v_cmp_eq_u32_e32 vcc_lo, 21, v118
	v_cndmask_b32_e32 v62, v62, v55, vcc_lo
	v_cmp_eq_u32_e32 vcc_lo, 22, v118
	s_delay_alu instid0(VALU_DEP_2) | instskip(SKIP_1) | instid1(VALU_DEP_2)
	v_cndmask_b32_e32 v62, v62, v56, vcc_lo
	v_cmp_eq_u32_e32 vcc_lo, 23, v118
	v_cndmask_b32_e32 v62, v62, v57, vcc_lo
	v_cmp_eq_u32_e32 vcc_lo, 24, v118
	s_delay_alu instid0(VALU_DEP_2) | instskip(SKIP_2) | instid1(VALU_DEP_3)
	v_cndmask_b32_e32 v62, v62, v58, vcc_lo
	v_cmp_eq_u32_e32 vcc_lo, 25, v118
	v_add_nc_u64_e32 v[118:119], 1, v[118:119]
	v_cndmask_b32_e32 v62, v62, v59, vcc_lo
	v_cmp_eq_u32_e32 vcc_lo, 0, v60
	s_wait_dscnt 0x0
	s_delay_alu instid0(VALU_DEP_2) | instskip(SKIP_1) | instid1(SALU_CYCLE_1)
	v_fmac_f32_e32 v122, v62, v63
	s_or_b32 s2, vcc_lo, s2
	s_and_not1_b32 exec_lo, exec_lo, s2
	s_cbranch_execnz .LBB25_29
; %bb.30:
	s_or_b32 exec_lo, exec_lo, s2
.LBB25_31:
	s_delay_alu instid0(SALU_CYCLE_1)
	s_or_b32 exec_lo, exec_lo, s1
.LBB25_32:
	s_delay_alu instid0(SALU_CYCLE_1)
	s_or_b32 exec_lo, exec_lo, s5
	v_mov_b32_e32 v56, 0
	ds_load_b32 v56, v56 offset:88
	s_wait_dscnt 0x0
	v_mul_f32_e32 v56, v122, v56
.LBB25_33:
	s_or_b32 exec_lo, exec_lo, s4
	v_cmp_lt_u32_e64 s1, 21, v0
	ds_store_b32 v121, v55
	s_wait_dscnt 0x0
	s_barrier_signal -1
	s_barrier_wait -1
	s_and_saveexec_b32 s4, s1
	s_cbranch_execz .LBB25_49
; %bb.34:
	s_and_not1_b32 vcc_lo, exec_lo, s28
	s_cbranch_vccnz .LBB25_36
; %bb.35:
	v_cmp_eq_u32_e32 vcc_lo, 1, v0
	ds_load_b32 v119, v121
	v_cndmask_b32_e32 v118, v34, v35, vcc_lo
	v_cmp_eq_u32_e32 vcc_lo, 2, v0
	s_delay_alu instid0(VALU_DEP_2) | instskip(SKIP_1) | instid1(VALU_DEP_2)
	v_cndmask_b32_e32 v118, v118, v36, vcc_lo
	v_cmp_eq_u32_e32 vcc_lo, 3, v0
	v_cndmask_b32_e32 v118, v118, v37, vcc_lo
	v_cmp_eq_u32_e32 vcc_lo, 4, v0
	s_delay_alu instid0(VALU_DEP_2) | instskip(SKIP_1) | instid1(VALU_DEP_2)
	v_cndmask_b32_e32 v118, v118, v38, vcc_lo
	v_cmp_eq_u32_e32 vcc_lo, 5, v0
	;; [unrolled: 5-line block ×12, first 2 shown]
	v_cndmask_b32_e32 v118, v118, v59, vcc_lo
	s_wait_dscnt 0x0
	s_delay_alu instid0(VALU_DEP_1)
	v_mul_f32_e32 v122, v118, v119
	s_cbranch_execz .LBB25_37
	s_branch .LBB25_38
.LBB25_36:
                                        ; implicit-def: $vgpr122
.LBB25_37:
	ds_load_b32 v122, v121
.LBB25_38:
	s_and_saveexec_b32 s5, s0
	s_cbranch_execz .LBB25_48
; %bb.39:
	v_subrev_nc_u32_e32 v120, 23, v0
	v_mov_b32_e32 v118, 22
	v_subrev_nc_u32_e32 v119, 22, v0
	s_mov_b32 s0, exec_lo
	s_delay_alu instid0(VALU_DEP_3)
	v_cmpx_lt_u32_e32 6, v120
	s_cbranch_execz .LBB25_43
; %bb.40:
	s_delay_alu instid0(VALU_DEP_2) | instskip(SKIP_3) | instid1(VALU_DEP_1)
	v_and_b32_e32 v118, -8, v119
	s_mov_b32 s6, 0
	s_mov_b64 s[2:3], 29
	s_movk_i32 s7, 0xc8
	v_sub_nc_u32_e32 v120, 0, v118
.LBB25_41:                              ; =>This Inner Loop Header: Depth=1
	s_add_co_i32 m0, s2, -7
	v_movrels_b32_e32 v118, v34
	v_mov_b32_e32 v123, s7
	s_add_co_i32 m0, s2, -6
	s_add_co_i32 s7, s7, 32
	ds_load_2addr_b64 v[124:127], v123 offset1:1
	s_wait_dscnt 0x0
	v_fmac_f32_e32 v122, v118, v124
	v_movrels_b32_e32 v118, v34
	s_add_co_i32 m0, s2, -5
	s_delay_alu instid0(VALU_DEP_1) | instskip(SKIP_2) | instid1(VALU_DEP_1)
	v_fmac_f32_e32 v122, v118, v125
	v_movrels_b32_e32 v118, v34
	s_add_co_i32 m0, s2, -4
	v_fmac_f32_e32 v122, v118, v126
	v_movrels_b32_e32 v118, v34
	s_add_co_i32 m0, s2, -3
	s_delay_alu instid0(VALU_DEP_1) | instskip(SKIP_4) | instid1(VALU_DEP_1)
	v_fmac_f32_e32 v122, v118, v127
	ds_load_2addr_b64 v[124:127], v123 offset0:2 offset1:3
	v_movrels_b32_e32 v118, v34
	s_add_co_i32 m0, s2, -2
	s_wait_dscnt 0x0
	v_fmac_f32_e32 v122, v118, v124
	v_movrels_b32_e32 v118, v34
	s_add_co_i32 m0, s2, -1
	s_delay_alu instid0(VALU_DEP_1) | instskip(SKIP_3) | instid1(SALU_CYCLE_1)
	v_fmac_f32_e32 v122, v118, v125
	v_movrels_b32_e32 v118, v34
	s_mov_b32 m0, s2
	s_add_nc_u64 s[2:3], s[2:3], 8
	s_add_co_i32 s8, s2, -7
	s_delay_alu instid0(VALU_DEP_1) | instskip(SKIP_1) | instid1(VALU_DEP_1)
	v_fmac_f32_e32 v122, v118, v126
	v_movrels_b32_e32 v118, v34
	v_dual_fmac_f32 v122, v118, v127 :: v_dual_add_nc_u32 v118, s2, v120
	s_delay_alu instid0(VALU_DEP_1) | instskip(SKIP_2) | instid1(SALU_CYCLE_1)
	v_cmp_eq_u32_e32 vcc_lo, 29, v118
	v_mov_b32_e32 v118, s8
	s_or_b32 s6, vcc_lo, s6
	s_and_not1_b32 exec_lo, exec_lo, s6
	s_cbranch_execnz .LBB25_41
; %bb.42:
	s_or_b32 exec_lo, exec_lo, s6
.LBB25_43:
	s_delay_alu instid0(SALU_CYCLE_1) | instskip(SKIP_3) | instid1(VALU_DEP_1)
	s_or_b32 exec_lo, exec_lo, s0
	v_and_b32_e32 v60, 7, v119
	s_mov_b32 s2, 0
	s_mov_b32 s0, exec_lo
	v_cmpx_ne_u32_e32 0, v60
	s_cbranch_execz .LBB25_47
; %bb.44:
	v_lshl_add_u32 v61, v118, 2, 0x70
	v_mov_b32_e32 v119, 0
.LBB25_45:                              ; =>This Inner Loop Header: Depth=1
	v_cmp_eq_u32_e32 vcc_lo, 1, v118
	ds_load_b32 v63, v61
	v_dual_add_nc_u32 v60, -1, v60 :: v_dual_add_nc_u32 v61, 4, v61
	v_cndmask_b32_e32 v62, v34, v35, vcc_lo
	v_cmp_eq_u32_e32 vcc_lo, 2, v118
	s_delay_alu instid0(VALU_DEP_2) | instskip(SKIP_1) | instid1(VALU_DEP_2)
	v_cndmask_b32_e32 v62, v62, v36, vcc_lo
	v_cmp_eq_u32_e32 vcc_lo, 3, v118
	v_cndmask_b32_e32 v62, v62, v37, vcc_lo
	v_cmp_eq_u32_e32 vcc_lo, 4, v118
	s_delay_alu instid0(VALU_DEP_2) | instskip(SKIP_1) | instid1(VALU_DEP_2)
	v_cndmask_b32_e32 v62, v62, v38, vcc_lo
	v_cmp_eq_u32_e32 vcc_lo, 5, v118
	;; [unrolled: 5-line block ×11, first 2 shown]
	v_cndmask_b32_e32 v62, v62, v57, vcc_lo
	v_cmp_eq_u32_e32 vcc_lo, 24, v118
	s_delay_alu instid0(VALU_DEP_2) | instskip(SKIP_2) | instid1(VALU_DEP_3)
	v_cndmask_b32_e32 v62, v62, v58, vcc_lo
	v_cmp_eq_u32_e32 vcc_lo, 25, v118
	v_add_nc_u64_e32 v[118:119], 1, v[118:119]
	v_cndmask_b32_e32 v62, v62, v59, vcc_lo
	v_cmp_eq_u32_e32 vcc_lo, 0, v60
	s_wait_dscnt 0x0
	s_delay_alu instid0(VALU_DEP_2) | instskip(SKIP_1) | instid1(SALU_CYCLE_1)
	v_fmac_f32_e32 v122, v62, v63
	s_or_b32 s2, vcc_lo, s2
	s_and_not1_b32 exec_lo, exec_lo, s2
	s_cbranch_execnz .LBB25_45
; %bb.46:
	s_or_b32 exec_lo, exec_lo, s2
.LBB25_47:
	s_delay_alu instid0(SALU_CYCLE_1)
	s_or_b32 exec_lo, exec_lo, s0
.LBB25_48:
	s_delay_alu instid0(SALU_CYCLE_1)
	s_or_b32 exec_lo, exec_lo, s5
	v_mov_b32_e32 v55, 0
	ds_load_b32 v55, v55 offset:84
	s_wait_dscnt 0x0
	v_mul_f32_e32 v55, v122, v55
.LBB25_49:
	s_or_b32 exec_lo, exec_lo, s4
	v_cmp_lt_u32_e64 s0, 20, v0
	ds_store_b32 v121, v54
	s_wait_dscnt 0x0
	s_barrier_signal -1
	s_barrier_wait -1
	s_and_saveexec_b32 s4, s0
	s_cbranch_execz .LBB25_65
; %bb.50:
	s_and_not1_b32 vcc_lo, exec_lo, s28
	s_cbranch_vccnz .LBB25_52
; %bb.51:
	v_cmp_eq_u32_e32 vcc_lo, 1, v0
	ds_load_b32 v119, v121
	v_cndmask_b32_e32 v118, v34, v35, vcc_lo
	v_cmp_eq_u32_e32 vcc_lo, 2, v0
	s_delay_alu instid0(VALU_DEP_2) | instskip(SKIP_1) | instid1(VALU_DEP_2)
	v_cndmask_b32_e32 v118, v118, v36, vcc_lo
	v_cmp_eq_u32_e32 vcc_lo, 3, v0
	v_cndmask_b32_e32 v118, v118, v37, vcc_lo
	v_cmp_eq_u32_e32 vcc_lo, 4, v0
	s_delay_alu instid0(VALU_DEP_2) | instskip(SKIP_1) | instid1(VALU_DEP_2)
	v_cndmask_b32_e32 v118, v118, v38, vcc_lo
	v_cmp_eq_u32_e32 vcc_lo, 5, v0
	;; [unrolled: 5-line block ×12, first 2 shown]
	v_cndmask_b32_e32 v118, v118, v59, vcc_lo
	s_wait_dscnt 0x0
	s_delay_alu instid0(VALU_DEP_1)
	v_mul_f32_e32 v122, v118, v119
	s_cbranch_execz .LBB25_53
	s_branch .LBB25_54
.LBB25_52:
                                        ; implicit-def: $vgpr122
.LBB25_53:
	ds_load_b32 v122, v121
.LBB25_54:
	s_and_saveexec_b32 s5, s1
	s_cbranch_execz .LBB25_64
; %bb.55:
	v_subrev_nc_u32_e32 v120, 22, v0
	v_mov_b32_e32 v118, 21
	v_subrev_nc_u32_e32 v119, 21, v0
	s_mov_b32 s1, exec_lo
	s_delay_alu instid0(VALU_DEP_3)
	v_cmpx_lt_u32_e32 6, v120
	s_cbranch_execz .LBB25_59
; %bb.56:
	s_delay_alu instid0(VALU_DEP_2) | instskip(SKIP_3) | instid1(VALU_DEP_1)
	v_and_b32_e32 v118, -8, v119
	s_mov_b32 s6, 0
	s_mov_b64 s[2:3], 28
	s_movk_i32 s7, 0xc4
	v_sub_nc_u32_e32 v120, 0, v118
.LBB25_57:                              ; =>This Inner Loop Header: Depth=1
	s_add_co_i32 m0, s2, -7
	v_movrels_b32_e32 v118, v34
	v_mov_b32_e32 v123, s7
	s_add_co_i32 m0, s2, -6
	s_add_co_i32 s7, s7, 32
	ds_load_2addr_b32 v[124:125], v123 offset1:1
	s_wait_dscnt 0x0
	v_fmac_f32_e32 v122, v118, v124
	v_movrels_b32_e32 v118, v34
	s_add_co_i32 m0, s2, -5
	s_delay_alu instid0(VALU_DEP_1) | instskip(SKIP_4) | instid1(VALU_DEP_1)
	v_fmac_f32_e32 v122, v118, v125
	ds_load_2addr_b32 v[124:125], v123 offset0:2 offset1:3
	v_movrels_b32_e32 v118, v34
	s_add_co_i32 m0, s2, -4
	s_wait_dscnt 0x0
	v_fmac_f32_e32 v122, v118, v124
	v_movrels_b32_e32 v118, v34
	s_add_co_i32 m0, s2, -3
	s_delay_alu instid0(VALU_DEP_1) | instskip(SKIP_4) | instid1(VALU_DEP_1)
	v_fmac_f32_e32 v122, v118, v125
	ds_load_2addr_b32 v[124:125], v123 offset0:4 offset1:5
	v_movrels_b32_e32 v118, v34
	s_add_co_i32 m0, s2, -2
	s_wait_dscnt 0x0
	v_fmac_f32_e32 v122, v118, v124
	v_movrels_b32_e32 v118, v34
	s_add_co_i32 m0, s2, -1
	s_delay_alu instid0(VALU_DEP_1) | instskip(SKIP_4) | instid1(SALU_CYCLE_1)
	v_fmac_f32_e32 v122, v118, v125
	ds_load_2addr_b32 v[124:125], v123 offset0:6 offset1:7
	v_movrels_b32_e32 v118, v34
	s_mov_b32 m0, s2
	s_add_nc_u64 s[2:3], s[2:3], 8
	s_add_co_i32 s8, s2, -7
	s_wait_dscnt 0x0
	v_fmac_f32_e32 v122, v118, v124
	v_movrels_b32_e32 v118, v34
	s_delay_alu instid0(VALU_DEP_1) | instskip(NEXT) | instid1(VALU_DEP_1)
	v_dual_fmac_f32 v122, v118, v125 :: v_dual_add_nc_u32 v118, s2, v120
	v_cmp_eq_u32_e32 vcc_lo, 28, v118
	v_mov_b32_e32 v118, s8
	s_or_b32 s6, vcc_lo, s6
	s_delay_alu instid0(SALU_CYCLE_1)
	s_and_not1_b32 exec_lo, exec_lo, s6
	s_cbranch_execnz .LBB25_57
; %bb.58:
	s_or_b32 exec_lo, exec_lo, s6
.LBB25_59:
	s_delay_alu instid0(SALU_CYCLE_1) | instskip(SKIP_3) | instid1(VALU_DEP_1)
	s_or_b32 exec_lo, exec_lo, s1
	v_and_b32_e32 v60, 7, v119
	s_mov_b32 s2, 0
	s_mov_b32 s1, exec_lo
	v_cmpx_ne_u32_e32 0, v60
	s_cbranch_execz .LBB25_63
; %bb.60:
	v_lshl_add_u32 v61, v118, 2, 0x70
	v_mov_b32_e32 v119, 0
.LBB25_61:                              ; =>This Inner Loop Header: Depth=1
	v_cmp_eq_u32_e32 vcc_lo, 1, v118
	ds_load_b32 v63, v61
	v_dual_add_nc_u32 v60, -1, v60 :: v_dual_add_nc_u32 v61, 4, v61
	v_cndmask_b32_e32 v62, v34, v35, vcc_lo
	v_cmp_eq_u32_e32 vcc_lo, 2, v118
	s_delay_alu instid0(VALU_DEP_2) | instskip(SKIP_1) | instid1(VALU_DEP_2)
	v_cndmask_b32_e32 v62, v62, v36, vcc_lo
	v_cmp_eq_u32_e32 vcc_lo, 3, v118
	v_cndmask_b32_e32 v62, v62, v37, vcc_lo
	v_cmp_eq_u32_e32 vcc_lo, 4, v118
	s_delay_alu instid0(VALU_DEP_2) | instskip(SKIP_1) | instid1(VALU_DEP_2)
	v_cndmask_b32_e32 v62, v62, v38, vcc_lo
	v_cmp_eq_u32_e32 vcc_lo, 5, v118
	;; [unrolled: 5-line block ×11, first 2 shown]
	v_cndmask_b32_e32 v62, v62, v57, vcc_lo
	v_cmp_eq_u32_e32 vcc_lo, 24, v118
	s_delay_alu instid0(VALU_DEP_2) | instskip(SKIP_2) | instid1(VALU_DEP_3)
	v_cndmask_b32_e32 v62, v62, v58, vcc_lo
	v_cmp_eq_u32_e32 vcc_lo, 25, v118
	v_add_nc_u64_e32 v[118:119], 1, v[118:119]
	v_cndmask_b32_e32 v62, v62, v59, vcc_lo
	v_cmp_eq_u32_e32 vcc_lo, 0, v60
	s_wait_dscnt 0x0
	s_delay_alu instid0(VALU_DEP_2) | instskip(SKIP_1) | instid1(SALU_CYCLE_1)
	v_fmac_f32_e32 v122, v62, v63
	s_or_b32 s2, vcc_lo, s2
	s_and_not1_b32 exec_lo, exec_lo, s2
	s_cbranch_execnz .LBB25_61
; %bb.62:
	s_or_b32 exec_lo, exec_lo, s2
.LBB25_63:
	s_delay_alu instid0(SALU_CYCLE_1)
	s_or_b32 exec_lo, exec_lo, s1
.LBB25_64:
	s_delay_alu instid0(SALU_CYCLE_1)
	s_or_b32 exec_lo, exec_lo, s5
	v_mov_b32_e32 v54, 0
	ds_load_b32 v54, v54 offset:80
	s_wait_dscnt 0x0
	v_mul_f32_e32 v54, v122, v54
.LBB25_65:
	s_or_b32 exec_lo, exec_lo, s4
	v_cmp_lt_u32_e64 s1, 19, v0
	ds_store_b32 v121, v53
	s_wait_dscnt 0x0
	s_barrier_signal -1
	s_barrier_wait -1
	s_and_saveexec_b32 s4, s1
	s_cbranch_execz .LBB25_81
; %bb.66:
	s_and_not1_b32 vcc_lo, exec_lo, s28
	s_cbranch_vccnz .LBB25_68
; %bb.67:
	v_cmp_eq_u32_e32 vcc_lo, 1, v0
	ds_load_b32 v119, v121
	v_cndmask_b32_e32 v118, v34, v35, vcc_lo
	v_cmp_eq_u32_e32 vcc_lo, 2, v0
	s_delay_alu instid0(VALU_DEP_2) | instskip(SKIP_1) | instid1(VALU_DEP_2)
	v_cndmask_b32_e32 v118, v118, v36, vcc_lo
	v_cmp_eq_u32_e32 vcc_lo, 3, v0
	v_cndmask_b32_e32 v118, v118, v37, vcc_lo
	v_cmp_eq_u32_e32 vcc_lo, 4, v0
	s_delay_alu instid0(VALU_DEP_2) | instskip(SKIP_1) | instid1(VALU_DEP_2)
	v_cndmask_b32_e32 v118, v118, v38, vcc_lo
	v_cmp_eq_u32_e32 vcc_lo, 5, v0
	;; [unrolled: 5-line block ×12, first 2 shown]
	v_cndmask_b32_e32 v118, v118, v59, vcc_lo
	s_wait_dscnt 0x0
	s_delay_alu instid0(VALU_DEP_1)
	v_mul_f32_e32 v122, v118, v119
	s_cbranch_execz .LBB25_69
	s_branch .LBB25_70
.LBB25_68:
                                        ; implicit-def: $vgpr122
.LBB25_69:
	ds_load_b32 v122, v121
.LBB25_70:
	s_and_saveexec_b32 s5, s0
	s_cbranch_execz .LBB25_80
; %bb.71:
	v_subrev_nc_u32_e32 v120, 21, v0
	v_mov_b32_e32 v118, 20
	v_subrev_nc_u32_e32 v119, 20, v0
	s_mov_b32 s0, exec_lo
	s_delay_alu instid0(VALU_DEP_3)
	v_cmpx_lt_u32_e32 6, v120
	s_cbranch_execz .LBB25_75
; %bb.72:
	s_delay_alu instid0(VALU_DEP_2) | instskip(SKIP_3) | instid1(VALU_DEP_1)
	v_and_b32_e32 v118, -8, v119
	s_mov_b32 s6, 0
	s_mov_b64 s[2:3], 27
	s_movk_i32 s7, 0xc0
	v_sub_nc_u32_e32 v120, 0, v118
.LBB25_73:                              ; =>This Inner Loop Header: Depth=1
	s_add_co_i32 m0, s2, -7
	v_movrels_b32_e32 v123, v34
	v_mov_b32_e32 v118, s7
	s_add_co_i32 m0, s2, -6
	s_add_co_i32 s7, s7, 32
	v_movrels_b32_e32 v132, v34
	s_add_co_i32 m0, s2, -5
	ds_load_b128 v[124:127], v118
	ds_load_b128 v[128:131], v118 offset:16
	v_movrels_b32_e32 v118, v34
	s_add_co_i32 m0, s2, -4
	s_wait_dscnt 0x1
	v_fmac_f32_e32 v122, v123, v124
	v_movrels_b32_e32 v123, v34
	s_add_co_i32 m0, s2, -3
	s_delay_alu instid0(VALU_DEP_2) | instskip(NEXT) | instid1(VALU_DEP_1)
	v_fmac_f32_e32 v122, v132, v125
	v_fmac_f32_e32 v122, v118, v126
	v_movrels_b32_e32 v118, v34
	s_add_co_i32 m0, s2, -2
	s_delay_alu instid0(VALU_DEP_2) | instskip(SKIP_3) | instid1(VALU_DEP_2)
	v_fmac_f32_e32 v122, v123, v127
	v_movrels_b32_e32 v123, v34
	s_add_co_i32 m0, s2, -1
	s_wait_dscnt 0x0
	v_fmac_f32_e32 v122, v118, v128
	v_movrels_b32_e32 v118, v34
	s_mov_b32 m0, s2
	s_add_nc_u64 s[2:3], s[2:3], 8
	v_movrels_b32_e32 v124, v34
	v_dual_fmac_f32 v122, v123, v129 :: v_dual_add_nc_u32 v123, s2, v120
	s_add_co_i32 s8, s2, -7
	s_delay_alu instid0(VALU_DEP_1) | instskip(NEXT) | instid1(VALU_DEP_2)
	v_fmac_f32_e32 v122, v118, v130
	v_cmp_eq_u32_e32 vcc_lo, 27, v123
	s_delay_alu instid0(VALU_DEP_2) | instskip(SKIP_1) | instid1(SALU_CYCLE_1)
	v_dual_mov_b32 v118, s8 :: v_dual_fmac_f32 v122, v124, v131
	s_or_b32 s6, vcc_lo, s6
	s_and_not1_b32 exec_lo, exec_lo, s6
	s_cbranch_execnz .LBB25_73
; %bb.74:
	s_or_b32 exec_lo, exec_lo, s6
.LBB25_75:
	s_delay_alu instid0(SALU_CYCLE_1) | instskip(SKIP_3) | instid1(VALU_DEP_1)
	s_or_b32 exec_lo, exec_lo, s0
	v_and_b32_e32 v60, 7, v119
	s_mov_b32 s2, 0
	s_mov_b32 s0, exec_lo
	v_cmpx_ne_u32_e32 0, v60
	s_cbranch_execz .LBB25_79
; %bb.76:
	v_lshl_add_u32 v61, v118, 2, 0x70
	v_mov_b32_e32 v119, 0
.LBB25_77:                              ; =>This Inner Loop Header: Depth=1
	v_cmp_eq_u32_e32 vcc_lo, 1, v118
	ds_load_b32 v63, v61
	v_dual_add_nc_u32 v60, -1, v60 :: v_dual_add_nc_u32 v61, 4, v61
	v_cndmask_b32_e32 v62, v34, v35, vcc_lo
	v_cmp_eq_u32_e32 vcc_lo, 2, v118
	s_delay_alu instid0(VALU_DEP_2) | instskip(SKIP_1) | instid1(VALU_DEP_2)
	v_cndmask_b32_e32 v62, v62, v36, vcc_lo
	v_cmp_eq_u32_e32 vcc_lo, 3, v118
	v_cndmask_b32_e32 v62, v62, v37, vcc_lo
	v_cmp_eq_u32_e32 vcc_lo, 4, v118
	s_delay_alu instid0(VALU_DEP_2) | instskip(SKIP_1) | instid1(VALU_DEP_2)
	v_cndmask_b32_e32 v62, v62, v38, vcc_lo
	v_cmp_eq_u32_e32 vcc_lo, 5, v118
	;; [unrolled: 5-line block ×11, first 2 shown]
	v_cndmask_b32_e32 v62, v62, v57, vcc_lo
	v_cmp_eq_u32_e32 vcc_lo, 24, v118
	s_delay_alu instid0(VALU_DEP_2) | instskip(SKIP_2) | instid1(VALU_DEP_3)
	v_cndmask_b32_e32 v62, v62, v58, vcc_lo
	v_cmp_eq_u32_e32 vcc_lo, 25, v118
	v_add_nc_u64_e32 v[118:119], 1, v[118:119]
	v_cndmask_b32_e32 v62, v62, v59, vcc_lo
	v_cmp_eq_u32_e32 vcc_lo, 0, v60
	s_wait_dscnt 0x0
	s_delay_alu instid0(VALU_DEP_2) | instskip(SKIP_1) | instid1(SALU_CYCLE_1)
	v_fmac_f32_e32 v122, v62, v63
	s_or_b32 s2, vcc_lo, s2
	s_and_not1_b32 exec_lo, exec_lo, s2
	s_cbranch_execnz .LBB25_77
; %bb.78:
	s_or_b32 exec_lo, exec_lo, s2
.LBB25_79:
	s_delay_alu instid0(SALU_CYCLE_1)
	s_or_b32 exec_lo, exec_lo, s0
.LBB25_80:
	s_delay_alu instid0(SALU_CYCLE_1)
	s_or_b32 exec_lo, exec_lo, s5
	v_mov_b32_e32 v53, 0
	ds_load_b32 v53, v53 offset:76
	s_wait_dscnt 0x0
	v_mul_f32_e32 v53, v122, v53
.LBB25_81:
	s_or_b32 exec_lo, exec_lo, s4
	v_cmp_lt_u32_e64 s0, 18, v0
	ds_store_b32 v121, v52
	s_wait_dscnt 0x0
	s_barrier_signal -1
	s_barrier_wait -1
	s_and_saveexec_b32 s4, s0
	s_cbranch_execz .LBB25_97
; %bb.82:
	s_and_not1_b32 vcc_lo, exec_lo, s28
	s_cbranch_vccnz .LBB25_84
; %bb.83:
	v_cmp_eq_u32_e32 vcc_lo, 1, v0
	ds_load_b32 v119, v121
	v_cndmask_b32_e32 v118, v34, v35, vcc_lo
	v_cmp_eq_u32_e32 vcc_lo, 2, v0
	s_delay_alu instid0(VALU_DEP_2) | instskip(SKIP_1) | instid1(VALU_DEP_2)
	v_cndmask_b32_e32 v118, v118, v36, vcc_lo
	v_cmp_eq_u32_e32 vcc_lo, 3, v0
	v_cndmask_b32_e32 v118, v118, v37, vcc_lo
	v_cmp_eq_u32_e32 vcc_lo, 4, v0
	s_delay_alu instid0(VALU_DEP_2) | instskip(SKIP_1) | instid1(VALU_DEP_2)
	v_cndmask_b32_e32 v118, v118, v38, vcc_lo
	v_cmp_eq_u32_e32 vcc_lo, 5, v0
	;; [unrolled: 5-line block ×12, first 2 shown]
	v_cndmask_b32_e32 v118, v118, v59, vcc_lo
	s_wait_dscnt 0x0
	s_delay_alu instid0(VALU_DEP_1)
	v_mul_f32_e32 v122, v118, v119
	s_cbranch_execz .LBB25_85
	s_branch .LBB25_86
.LBB25_84:
                                        ; implicit-def: $vgpr122
.LBB25_85:
	ds_load_b32 v122, v121
.LBB25_86:
	s_and_saveexec_b32 s5, s1
	s_cbranch_execz .LBB25_96
; %bb.87:
	v_subrev_nc_u32_e32 v120, 20, v0
	v_mov_b32_e32 v118, 19
	v_subrev_nc_u32_e32 v119, 19, v0
	s_mov_b32 s1, exec_lo
	s_delay_alu instid0(VALU_DEP_3)
	v_cmpx_lt_u32_e32 6, v120
	s_cbranch_execz .LBB25_91
; %bb.88:
	s_delay_alu instid0(VALU_DEP_2) | instskip(SKIP_3) | instid1(VALU_DEP_1)
	v_and_b32_e32 v118, -8, v119
	s_mov_b32 s6, 0
	s_mov_b64 s[2:3], 26
	s_movk_i32 s7, 0xbc
	v_sub_nc_u32_e32 v120, 0, v118
.LBB25_89:                              ; =>This Inner Loop Header: Depth=1
	s_add_co_i32 m0, s2, -7
	v_movrels_b32_e32 v123, v34
	v_mov_b32_e32 v118, s7
	s_add_co_i32 m0, s2, -6
	s_add_co_i32 s7, s7, 32
	v_movrels_b32_e32 v132, v34
	ds_load_2addr_b32 v[124:125], v118 offset1:1
	ds_load_2addr_b32 v[126:127], v118 offset0:2 offset1:3
	s_add_co_i32 m0, s2, -5
	s_wait_dscnt 0x1
	v_fmac_f32_e32 v122, v123, v124
	ds_load_2addr_b32 v[128:129], v118 offset0:4 offset1:5
	ds_load_2addr_b32 v[130:131], v118 offset0:6 offset1:7
	v_movrels_b32_e32 v118, v34
	s_add_co_i32 m0, s2, -4
	v_fmac_f32_e32 v122, v132, v125
	v_movrels_b32_e32 v123, v34
	s_add_co_i32 m0, s2, -3
	s_wait_dscnt 0x2
	s_delay_alu instid0(VALU_DEP_2) | instskip(SKIP_2) | instid1(VALU_DEP_2)
	v_fmac_f32_e32 v122, v118, v126
	v_movrels_b32_e32 v118, v34
	s_add_co_i32 m0, s2, -2
	v_fmac_f32_e32 v122, v123, v127
	v_movrels_b32_e32 v123, v34
	s_add_co_i32 m0, s2, -1
	s_wait_dscnt 0x1
	s_delay_alu instid0(VALU_DEP_2)
	v_fmac_f32_e32 v122, v118, v128
	v_movrels_b32_e32 v118, v34
	s_mov_b32 m0, s2
	s_add_nc_u64 s[2:3], s[2:3], 8
	v_movrels_b32_e32 v124, v34
	v_dual_fmac_f32 v122, v123, v129 :: v_dual_add_nc_u32 v123, s2, v120
	s_add_co_i32 s8, s2, -7
	s_wait_dscnt 0x0
	s_delay_alu instid0(VALU_DEP_1) | instskip(NEXT) | instid1(VALU_DEP_2)
	v_fmac_f32_e32 v122, v118, v130
	v_cmp_eq_u32_e32 vcc_lo, 26, v123
	s_delay_alu instid0(VALU_DEP_2) | instskip(SKIP_1) | instid1(SALU_CYCLE_1)
	v_dual_mov_b32 v118, s8 :: v_dual_fmac_f32 v122, v124, v131
	s_or_b32 s6, vcc_lo, s6
	s_and_not1_b32 exec_lo, exec_lo, s6
	s_cbranch_execnz .LBB25_89
; %bb.90:
	s_or_b32 exec_lo, exec_lo, s6
.LBB25_91:
	s_delay_alu instid0(SALU_CYCLE_1) | instskip(SKIP_3) | instid1(VALU_DEP_1)
	s_or_b32 exec_lo, exec_lo, s1
	v_and_b32_e32 v60, 7, v119
	s_mov_b32 s2, 0
	s_mov_b32 s1, exec_lo
	v_cmpx_ne_u32_e32 0, v60
	s_cbranch_execz .LBB25_95
; %bb.92:
	v_lshl_add_u32 v61, v118, 2, 0x70
	v_mov_b32_e32 v119, 0
.LBB25_93:                              ; =>This Inner Loop Header: Depth=1
	v_cmp_eq_u32_e32 vcc_lo, 1, v118
	ds_load_b32 v63, v61
	v_dual_add_nc_u32 v60, -1, v60 :: v_dual_add_nc_u32 v61, 4, v61
	v_cndmask_b32_e32 v62, v34, v35, vcc_lo
	v_cmp_eq_u32_e32 vcc_lo, 2, v118
	s_delay_alu instid0(VALU_DEP_2) | instskip(SKIP_1) | instid1(VALU_DEP_2)
	v_cndmask_b32_e32 v62, v62, v36, vcc_lo
	v_cmp_eq_u32_e32 vcc_lo, 3, v118
	v_cndmask_b32_e32 v62, v62, v37, vcc_lo
	v_cmp_eq_u32_e32 vcc_lo, 4, v118
	s_delay_alu instid0(VALU_DEP_2) | instskip(SKIP_1) | instid1(VALU_DEP_2)
	v_cndmask_b32_e32 v62, v62, v38, vcc_lo
	v_cmp_eq_u32_e32 vcc_lo, 5, v118
	;; [unrolled: 5-line block ×11, first 2 shown]
	v_cndmask_b32_e32 v62, v62, v57, vcc_lo
	v_cmp_eq_u32_e32 vcc_lo, 24, v118
	s_delay_alu instid0(VALU_DEP_2) | instskip(SKIP_2) | instid1(VALU_DEP_3)
	v_cndmask_b32_e32 v62, v62, v58, vcc_lo
	v_cmp_eq_u32_e32 vcc_lo, 25, v118
	v_add_nc_u64_e32 v[118:119], 1, v[118:119]
	v_cndmask_b32_e32 v62, v62, v59, vcc_lo
	v_cmp_eq_u32_e32 vcc_lo, 0, v60
	s_wait_dscnt 0x0
	s_delay_alu instid0(VALU_DEP_2) | instskip(SKIP_1) | instid1(SALU_CYCLE_1)
	v_fmac_f32_e32 v122, v62, v63
	s_or_b32 s2, vcc_lo, s2
	s_and_not1_b32 exec_lo, exec_lo, s2
	s_cbranch_execnz .LBB25_93
; %bb.94:
	s_or_b32 exec_lo, exec_lo, s2
.LBB25_95:
	s_delay_alu instid0(SALU_CYCLE_1)
	s_or_b32 exec_lo, exec_lo, s1
.LBB25_96:
	s_delay_alu instid0(SALU_CYCLE_1)
	s_or_b32 exec_lo, exec_lo, s5
	v_mov_b32_e32 v52, 0
	ds_load_b32 v52, v52 offset:72
	s_wait_dscnt 0x0
	v_mul_f32_e32 v52, v122, v52
.LBB25_97:
	s_or_b32 exec_lo, exec_lo, s4
	v_cmp_lt_u32_e64 s1, 17, v0
	ds_store_b32 v121, v51
	s_wait_dscnt 0x0
	s_barrier_signal -1
	s_barrier_wait -1
	s_and_saveexec_b32 s4, s1
	s_cbranch_execz .LBB25_113
; %bb.98:
	s_and_not1_b32 vcc_lo, exec_lo, s28
	s_cbranch_vccnz .LBB25_100
; %bb.99:
	v_cmp_eq_u32_e32 vcc_lo, 1, v0
	ds_load_b32 v119, v121
	v_cndmask_b32_e32 v118, v34, v35, vcc_lo
	v_cmp_eq_u32_e32 vcc_lo, 2, v0
	s_delay_alu instid0(VALU_DEP_2) | instskip(SKIP_1) | instid1(VALU_DEP_2)
	v_cndmask_b32_e32 v118, v118, v36, vcc_lo
	v_cmp_eq_u32_e32 vcc_lo, 3, v0
	v_cndmask_b32_e32 v118, v118, v37, vcc_lo
	v_cmp_eq_u32_e32 vcc_lo, 4, v0
	s_delay_alu instid0(VALU_DEP_2) | instskip(SKIP_1) | instid1(VALU_DEP_2)
	v_cndmask_b32_e32 v118, v118, v38, vcc_lo
	v_cmp_eq_u32_e32 vcc_lo, 5, v0
	;; [unrolled: 5-line block ×12, first 2 shown]
	v_cndmask_b32_e32 v118, v118, v59, vcc_lo
	s_wait_dscnt 0x0
	s_delay_alu instid0(VALU_DEP_1)
	v_mul_f32_e32 v122, v118, v119
	s_cbranch_execz .LBB25_101
	s_branch .LBB25_102
.LBB25_100:
                                        ; implicit-def: $vgpr122
.LBB25_101:
	ds_load_b32 v122, v121
.LBB25_102:
	s_and_saveexec_b32 s5, s0
	s_cbranch_execz .LBB25_112
; %bb.103:
	v_subrev_nc_u32_e32 v120, 19, v0
	v_mov_b32_e32 v118, 18
	v_subrev_nc_u32_e32 v119, 18, v0
	s_mov_b32 s0, exec_lo
	s_delay_alu instid0(VALU_DEP_3)
	v_cmpx_lt_u32_e32 6, v120
	s_cbranch_execz .LBB25_107
; %bb.104:
	s_delay_alu instid0(VALU_DEP_2) | instskip(SKIP_3) | instid1(VALU_DEP_1)
	v_and_b32_e32 v118, -8, v119
	s_mov_b32 s6, 0
	s_mov_b64 s[2:3], 25
	s_movk_i32 s7, 0xb8
	v_sub_nc_u32_e32 v120, 0, v118
.LBB25_105:                             ; =>This Inner Loop Header: Depth=1
	s_add_co_i32 m0, s2, -7
	v_movrels_b32_e32 v123, v34
	v_mov_b32_e32 v118, s7
	s_add_co_i32 m0, s2, -6
	s_add_co_i32 s7, s7, 32
	v_movrels_b32_e32 v132, v34
	s_add_co_i32 m0, s2, -5
	ds_load_2addr_b64 v[124:127], v118 offset1:1
	ds_load_2addr_b64 v[128:131], v118 offset0:2 offset1:3
	v_movrels_b32_e32 v118, v34
	s_add_co_i32 m0, s2, -4
	s_wait_dscnt 0x1
	v_fmac_f32_e32 v122, v123, v124
	v_movrels_b32_e32 v123, v34
	s_add_co_i32 m0, s2, -3
	s_delay_alu instid0(VALU_DEP_2) | instskip(NEXT) | instid1(VALU_DEP_1)
	v_fmac_f32_e32 v122, v132, v125
	v_fmac_f32_e32 v122, v118, v126
	v_movrels_b32_e32 v118, v34
	s_add_co_i32 m0, s2, -2
	s_delay_alu instid0(VALU_DEP_2) | instskip(SKIP_3) | instid1(VALU_DEP_2)
	v_fmac_f32_e32 v122, v123, v127
	v_movrels_b32_e32 v123, v34
	s_add_co_i32 m0, s2, -1
	s_wait_dscnt 0x0
	v_fmac_f32_e32 v122, v118, v128
	v_movrels_b32_e32 v118, v34
	s_mov_b32 m0, s2
	s_add_nc_u64 s[2:3], s[2:3], 8
	v_movrels_b32_e32 v124, v34
	v_dual_fmac_f32 v122, v123, v129 :: v_dual_add_nc_u32 v123, s2, v120
	s_add_co_i32 s8, s2, -7
	s_delay_alu instid0(VALU_DEP_1) | instskip(NEXT) | instid1(VALU_DEP_2)
	v_fmac_f32_e32 v122, v118, v130
	v_cmp_eq_u32_e32 vcc_lo, 25, v123
	s_delay_alu instid0(VALU_DEP_2) | instskip(SKIP_1) | instid1(SALU_CYCLE_1)
	v_dual_mov_b32 v118, s8 :: v_dual_fmac_f32 v122, v124, v131
	s_or_b32 s6, vcc_lo, s6
	s_and_not1_b32 exec_lo, exec_lo, s6
	s_cbranch_execnz .LBB25_105
; %bb.106:
	s_or_b32 exec_lo, exec_lo, s6
.LBB25_107:
	s_delay_alu instid0(SALU_CYCLE_1) | instskip(SKIP_3) | instid1(VALU_DEP_1)
	s_or_b32 exec_lo, exec_lo, s0
	v_and_b32_e32 v60, 7, v119
	s_mov_b32 s2, 0
	s_mov_b32 s0, exec_lo
	v_cmpx_ne_u32_e32 0, v60
	s_cbranch_execz .LBB25_111
; %bb.108:
	v_lshl_add_u32 v61, v118, 2, 0x70
	v_mov_b32_e32 v119, 0
.LBB25_109:                             ; =>This Inner Loop Header: Depth=1
	v_cmp_eq_u32_e32 vcc_lo, 1, v118
	ds_load_b32 v63, v61
	v_dual_add_nc_u32 v60, -1, v60 :: v_dual_add_nc_u32 v61, 4, v61
	v_cndmask_b32_e32 v62, v34, v35, vcc_lo
	v_cmp_eq_u32_e32 vcc_lo, 2, v118
	s_delay_alu instid0(VALU_DEP_2) | instskip(SKIP_1) | instid1(VALU_DEP_2)
	v_cndmask_b32_e32 v62, v62, v36, vcc_lo
	v_cmp_eq_u32_e32 vcc_lo, 3, v118
	v_cndmask_b32_e32 v62, v62, v37, vcc_lo
	v_cmp_eq_u32_e32 vcc_lo, 4, v118
	s_delay_alu instid0(VALU_DEP_2) | instskip(SKIP_1) | instid1(VALU_DEP_2)
	v_cndmask_b32_e32 v62, v62, v38, vcc_lo
	v_cmp_eq_u32_e32 vcc_lo, 5, v118
	;; [unrolled: 5-line block ×11, first 2 shown]
	v_cndmask_b32_e32 v62, v62, v57, vcc_lo
	v_cmp_eq_u32_e32 vcc_lo, 24, v118
	s_delay_alu instid0(VALU_DEP_2) | instskip(SKIP_2) | instid1(VALU_DEP_3)
	v_cndmask_b32_e32 v62, v62, v58, vcc_lo
	v_cmp_eq_u32_e32 vcc_lo, 25, v118
	v_add_nc_u64_e32 v[118:119], 1, v[118:119]
	v_cndmask_b32_e32 v62, v62, v59, vcc_lo
	v_cmp_eq_u32_e32 vcc_lo, 0, v60
	s_wait_dscnt 0x0
	s_delay_alu instid0(VALU_DEP_2) | instskip(SKIP_1) | instid1(SALU_CYCLE_1)
	v_fmac_f32_e32 v122, v62, v63
	s_or_b32 s2, vcc_lo, s2
	s_and_not1_b32 exec_lo, exec_lo, s2
	s_cbranch_execnz .LBB25_109
; %bb.110:
	s_or_b32 exec_lo, exec_lo, s2
.LBB25_111:
	s_delay_alu instid0(SALU_CYCLE_1)
	s_or_b32 exec_lo, exec_lo, s0
.LBB25_112:
	s_delay_alu instid0(SALU_CYCLE_1)
	s_or_b32 exec_lo, exec_lo, s5
	v_mov_b32_e32 v51, 0
	ds_load_b32 v51, v51 offset:68
	s_wait_dscnt 0x0
	v_mul_f32_e32 v51, v122, v51
.LBB25_113:
	s_or_b32 exec_lo, exec_lo, s4
	v_cmp_lt_u32_e64 s0, 16, v0
	ds_store_b32 v121, v50
	s_wait_dscnt 0x0
	s_barrier_signal -1
	s_barrier_wait -1
	s_and_saveexec_b32 s4, s0
	s_cbranch_execz .LBB25_129
; %bb.114:
	s_and_not1_b32 vcc_lo, exec_lo, s28
	s_cbranch_vccnz .LBB25_116
; %bb.115:
	v_cmp_eq_u32_e32 vcc_lo, 1, v0
	ds_load_b32 v119, v121
	v_cndmask_b32_e32 v118, v34, v35, vcc_lo
	v_cmp_eq_u32_e32 vcc_lo, 2, v0
	s_delay_alu instid0(VALU_DEP_2) | instskip(SKIP_1) | instid1(VALU_DEP_2)
	v_cndmask_b32_e32 v118, v118, v36, vcc_lo
	v_cmp_eq_u32_e32 vcc_lo, 3, v0
	v_cndmask_b32_e32 v118, v118, v37, vcc_lo
	v_cmp_eq_u32_e32 vcc_lo, 4, v0
	s_delay_alu instid0(VALU_DEP_2) | instskip(SKIP_1) | instid1(VALU_DEP_2)
	v_cndmask_b32_e32 v118, v118, v38, vcc_lo
	v_cmp_eq_u32_e32 vcc_lo, 5, v0
	v_cndmask_b32_e32 v118, v118, v39, vcc_lo
	v_cmp_eq_u32_e32 vcc_lo, 6, v0
	s_delay_alu instid0(VALU_DEP_2) | instskip(SKIP_1) | instid1(VALU_DEP_2)
	v_cndmask_b32_e32 v118, v118, v40, vcc_lo
	v_cmp_eq_u32_e32 vcc_lo, 7, v0
	v_cndmask_b32_e32 v118, v118, v41, vcc_lo
	v_cmp_eq_u32_e32 vcc_lo, 8, v0
	s_delay_alu instid0(VALU_DEP_2) | instskip(SKIP_1) | instid1(VALU_DEP_2)
	v_cndmask_b32_e32 v118, v118, v42, vcc_lo
	v_cmp_eq_u32_e32 vcc_lo, 9, v0
	v_cndmask_b32_e32 v118, v118, v43, vcc_lo
	v_cmp_eq_u32_e32 vcc_lo, 10, v0
	s_delay_alu instid0(VALU_DEP_2) | instskip(SKIP_1) | instid1(VALU_DEP_2)
	v_cndmask_b32_e32 v118, v118, v44, vcc_lo
	v_cmp_eq_u32_e32 vcc_lo, 11, v0
	v_cndmask_b32_e32 v118, v118, v45, vcc_lo
	v_cmp_eq_u32_e32 vcc_lo, 12, v0
	s_delay_alu instid0(VALU_DEP_2) | instskip(SKIP_1) | instid1(VALU_DEP_2)
	v_cndmask_b32_e32 v118, v118, v46, vcc_lo
	v_cmp_eq_u32_e32 vcc_lo, 13, v0
	v_cndmask_b32_e32 v118, v118, v47, vcc_lo
	v_cmp_eq_u32_e32 vcc_lo, 14, v0
	s_delay_alu instid0(VALU_DEP_2) | instskip(SKIP_1) | instid1(VALU_DEP_2)
	v_cndmask_b32_e32 v118, v118, v48, vcc_lo
	v_cmp_eq_u32_e32 vcc_lo, 15, v0
	v_cndmask_b32_e32 v118, v118, v49, vcc_lo
	v_cmp_eq_u32_e32 vcc_lo, 16, v0
	s_delay_alu instid0(VALU_DEP_2) | instskip(SKIP_1) | instid1(VALU_DEP_2)
	v_cndmask_b32_e32 v118, v118, v50, vcc_lo
	v_cmp_eq_u32_e32 vcc_lo, 17, v0
	v_cndmask_b32_e32 v118, v118, v51, vcc_lo
	v_cmp_eq_u32_e32 vcc_lo, 18, v0
	s_delay_alu instid0(VALU_DEP_2) | instskip(SKIP_1) | instid1(VALU_DEP_2)
	v_cndmask_b32_e32 v118, v118, v52, vcc_lo
	v_cmp_eq_u32_e32 vcc_lo, 19, v0
	v_cndmask_b32_e32 v118, v118, v53, vcc_lo
	v_cmp_eq_u32_e32 vcc_lo, 20, v0
	s_delay_alu instid0(VALU_DEP_2) | instskip(SKIP_1) | instid1(VALU_DEP_2)
	v_cndmask_b32_e32 v118, v118, v54, vcc_lo
	v_cmp_eq_u32_e32 vcc_lo, 21, v0
	v_cndmask_b32_e32 v118, v118, v55, vcc_lo
	v_cmp_eq_u32_e32 vcc_lo, 22, v0
	s_delay_alu instid0(VALU_DEP_2) | instskip(SKIP_1) | instid1(VALU_DEP_2)
	v_cndmask_b32_e32 v118, v118, v56, vcc_lo
	v_cmp_eq_u32_e32 vcc_lo, 23, v0
	v_cndmask_b32_e32 v118, v118, v57, vcc_lo
	v_cmp_eq_u32_e32 vcc_lo, 24, v0
	s_delay_alu instid0(VALU_DEP_2) | instskip(SKIP_1) | instid1(VALU_DEP_2)
	v_cndmask_b32_e32 v118, v118, v58, vcc_lo
	v_cmp_eq_u32_e32 vcc_lo, 25, v0
	v_cndmask_b32_e32 v118, v118, v59, vcc_lo
	s_wait_dscnt 0x0
	s_delay_alu instid0(VALU_DEP_1)
	v_mul_f32_e32 v122, v118, v119
	s_cbranch_execz .LBB25_117
	s_branch .LBB25_118
.LBB25_116:
                                        ; implicit-def: $vgpr122
.LBB25_117:
	ds_load_b32 v122, v121
.LBB25_118:
	s_and_saveexec_b32 s5, s1
	s_cbranch_execz .LBB25_128
; %bb.119:
	v_subrev_nc_u32_e32 v120, 18, v0
	v_mov_b32_e32 v118, 17
	v_subrev_nc_u32_e32 v119, 17, v0
	s_mov_b32 s1, exec_lo
	s_delay_alu instid0(VALU_DEP_3)
	v_cmpx_lt_u32_e32 6, v120
	s_cbranch_execz .LBB25_123
; %bb.120:
	s_delay_alu instid0(VALU_DEP_2) | instskip(SKIP_3) | instid1(VALU_DEP_1)
	v_and_b32_e32 v118, -8, v119
	s_mov_b32 s6, 0
	s_mov_b64 s[2:3], 24
	s_movk_i32 s7, 0xb4
	v_sub_nc_u32_e32 v120, 0, v118
.LBB25_121:                             ; =>This Inner Loop Header: Depth=1
	s_add_co_i32 m0, s2, -7
	v_movrels_b32_e32 v123, v34
	v_mov_b32_e32 v118, s7
	s_add_co_i32 m0, s2, -6
	s_add_co_i32 s7, s7, 32
	v_movrels_b32_e32 v132, v34
	ds_load_2addr_b32 v[124:125], v118 offset1:1
	ds_load_2addr_b32 v[126:127], v118 offset0:2 offset1:3
	s_add_co_i32 m0, s2, -5
	s_wait_dscnt 0x1
	v_fmac_f32_e32 v122, v123, v124
	ds_load_2addr_b32 v[128:129], v118 offset0:4 offset1:5
	ds_load_2addr_b32 v[130:131], v118 offset0:6 offset1:7
	v_movrels_b32_e32 v118, v34
	s_add_co_i32 m0, s2, -4
	v_fmac_f32_e32 v122, v132, v125
	v_movrels_b32_e32 v123, v34
	s_add_co_i32 m0, s2, -3
	s_wait_dscnt 0x2
	s_delay_alu instid0(VALU_DEP_2) | instskip(SKIP_2) | instid1(VALU_DEP_2)
	v_fmac_f32_e32 v122, v118, v126
	v_movrels_b32_e32 v118, v34
	s_add_co_i32 m0, s2, -2
	v_fmac_f32_e32 v122, v123, v127
	v_movrels_b32_e32 v123, v34
	s_add_co_i32 m0, s2, -1
	s_wait_dscnt 0x1
	s_delay_alu instid0(VALU_DEP_2)
	v_fmac_f32_e32 v122, v118, v128
	v_movrels_b32_e32 v118, v34
	s_mov_b32 m0, s2
	s_add_nc_u64 s[2:3], s[2:3], 8
	v_movrels_b32_e32 v124, v34
	v_dual_fmac_f32 v122, v123, v129 :: v_dual_add_nc_u32 v123, s2, v120
	s_add_co_i32 s8, s2, -7
	s_wait_dscnt 0x0
	s_delay_alu instid0(VALU_DEP_1) | instskip(NEXT) | instid1(VALU_DEP_2)
	v_fmac_f32_e32 v122, v118, v130
	v_cmp_eq_u32_e32 vcc_lo, 24, v123
	s_delay_alu instid0(VALU_DEP_2) | instskip(SKIP_1) | instid1(SALU_CYCLE_1)
	v_dual_mov_b32 v118, s8 :: v_dual_fmac_f32 v122, v124, v131
	s_or_b32 s6, vcc_lo, s6
	s_and_not1_b32 exec_lo, exec_lo, s6
	s_cbranch_execnz .LBB25_121
; %bb.122:
	s_or_b32 exec_lo, exec_lo, s6
.LBB25_123:
	s_delay_alu instid0(SALU_CYCLE_1) | instskip(SKIP_3) | instid1(VALU_DEP_1)
	s_or_b32 exec_lo, exec_lo, s1
	v_and_b32_e32 v60, 7, v119
	s_mov_b32 s2, 0
	s_mov_b32 s1, exec_lo
	v_cmpx_ne_u32_e32 0, v60
	s_cbranch_execz .LBB25_127
; %bb.124:
	v_lshl_add_u32 v61, v118, 2, 0x70
	v_mov_b32_e32 v119, 0
.LBB25_125:                             ; =>This Inner Loop Header: Depth=1
	v_cmp_eq_u32_e32 vcc_lo, 1, v118
	ds_load_b32 v63, v61
	v_dual_add_nc_u32 v60, -1, v60 :: v_dual_add_nc_u32 v61, 4, v61
	v_cndmask_b32_e32 v62, v34, v35, vcc_lo
	v_cmp_eq_u32_e32 vcc_lo, 2, v118
	s_delay_alu instid0(VALU_DEP_2) | instskip(SKIP_1) | instid1(VALU_DEP_2)
	v_cndmask_b32_e32 v62, v62, v36, vcc_lo
	v_cmp_eq_u32_e32 vcc_lo, 3, v118
	v_cndmask_b32_e32 v62, v62, v37, vcc_lo
	v_cmp_eq_u32_e32 vcc_lo, 4, v118
	s_delay_alu instid0(VALU_DEP_2) | instskip(SKIP_1) | instid1(VALU_DEP_2)
	v_cndmask_b32_e32 v62, v62, v38, vcc_lo
	v_cmp_eq_u32_e32 vcc_lo, 5, v118
	v_cndmask_b32_e32 v62, v62, v39, vcc_lo
	v_cmp_eq_u32_e32 vcc_lo, 6, v118
	s_delay_alu instid0(VALU_DEP_2) | instskip(SKIP_1) | instid1(VALU_DEP_2)
	v_cndmask_b32_e32 v62, v62, v40, vcc_lo
	v_cmp_eq_u32_e32 vcc_lo, 7, v118
	v_cndmask_b32_e32 v62, v62, v41, vcc_lo
	v_cmp_eq_u32_e32 vcc_lo, 8, v118
	s_delay_alu instid0(VALU_DEP_2) | instskip(SKIP_1) | instid1(VALU_DEP_2)
	v_cndmask_b32_e32 v62, v62, v42, vcc_lo
	v_cmp_eq_u32_e32 vcc_lo, 9, v118
	v_cndmask_b32_e32 v62, v62, v43, vcc_lo
	v_cmp_eq_u32_e32 vcc_lo, 10, v118
	s_delay_alu instid0(VALU_DEP_2) | instskip(SKIP_1) | instid1(VALU_DEP_2)
	v_cndmask_b32_e32 v62, v62, v44, vcc_lo
	v_cmp_eq_u32_e32 vcc_lo, 11, v118
	v_cndmask_b32_e32 v62, v62, v45, vcc_lo
	v_cmp_eq_u32_e32 vcc_lo, 12, v118
	s_delay_alu instid0(VALU_DEP_2) | instskip(SKIP_1) | instid1(VALU_DEP_2)
	v_cndmask_b32_e32 v62, v62, v46, vcc_lo
	v_cmp_eq_u32_e32 vcc_lo, 13, v118
	v_cndmask_b32_e32 v62, v62, v47, vcc_lo
	v_cmp_eq_u32_e32 vcc_lo, 14, v118
	s_delay_alu instid0(VALU_DEP_2) | instskip(SKIP_1) | instid1(VALU_DEP_2)
	v_cndmask_b32_e32 v62, v62, v48, vcc_lo
	v_cmp_eq_u32_e32 vcc_lo, 15, v118
	v_cndmask_b32_e32 v62, v62, v49, vcc_lo
	v_cmp_eq_u32_e32 vcc_lo, 16, v118
	s_delay_alu instid0(VALU_DEP_2) | instskip(SKIP_1) | instid1(VALU_DEP_2)
	v_cndmask_b32_e32 v62, v62, v50, vcc_lo
	v_cmp_eq_u32_e32 vcc_lo, 17, v118
	v_cndmask_b32_e32 v62, v62, v51, vcc_lo
	v_cmp_eq_u32_e32 vcc_lo, 18, v118
	s_delay_alu instid0(VALU_DEP_2) | instskip(SKIP_1) | instid1(VALU_DEP_2)
	v_cndmask_b32_e32 v62, v62, v52, vcc_lo
	v_cmp_eq_u32_e32 vcc_lo, 19, v118
	v_cndmask_b32_e32 v62, v62, v53, vcc_lo
	v_cmp_eq_u32_e32 vcc_lo, 20, v118
	s_delay_alu instid0(VALU_DEP_2) | instskip(SKIP_1) | instid1(VALU_DEP_2)
	v_cndmask_b32_e32 v62, v62, v54, vcc_lo
	v_cmp_eq_u32_e32 vcc_lo, 21, v118
	v_cndmask_b32_e32 v62, v62, v55, vcc_lo
	v_cmp_eq_u32_e32 vcc_lo, 22, v118
	s_delay_alu instid0(VALU_DEP_2) | instskip(SKIP_1) | instid1(VALU_DEP_2)
	v_cndmask_b32_e32 v62, v62, v56, vcc_lo
	v_cmp_eq_u32_e32 vcc_lo, 23, v118
	v_cndmask_b32_e32 v62, v62, v57, vcc_lo
	v_cmp_eq_u32_e32 vcc_lo, 24, v118
	s_delay_alu instid0(VALU_DEP_2) | instskip(SKIP_2) | instid1(VALU_DEP_3)
	v_cndmask_b32_e32 v62, v62, v58, vcc_lo
	v_cmp_eq_u32_e32 vcc_lo, 25, v118
	v_add_nc_u64_e32 v[118:119], 1, v[118:119]
	v_cndmask_b32_e32 v62, v62, v59, vcc_lo
	v_cmp_eq_u32_e32 vcc_lo, 0, v60
	s_wait_dscnt 0x0
	s_delay_alu instid0(VALU_DEP_2) | instskip(SKIP_1) | instid1(SALU_CYCLE_1)
	v_fmac_f32_e32 v122, v62, v63
	s_or_b32 s2, vcc_lo, s2
	s_and_not1_b32 exec_lo, exec_lo, s2
	s_cbranch_execnz .LBB25_125
; %bb.126:
	s_or_b32 exec_lo, exec_lo, s2
.LBB25_127:
	s_delay_alu instid0(SALU_CYCLE_1)
	s_or_b32 exec_lo, exec_lo, s1
.LBB25_128:
	s_delay_alu instid0(SALU_CYCLE_1)
	s_or_b32 exec_lo, exec_lo, s5
	v_mov_b32_e32 v50, 0
	ds_load_b32 v50, v50 offset:64
	s_wait_dscnt 0x0
	v_mul_f32_e32 v50, v122, v50
.LBB25_129:
	s_or_b32 exec_lo, exec_lo, s4
	v_cmp_lt_u32_e64 s1, 15, v0
	ds_store_b32 v121, v49
	s_wait_dscnt 0x0
	s_barrier_signal -1
	s_barrier_wait -1
	s_and_saveexec_b32 s4, s1
	s_cbranch_execz .LBB25_145
; %bb.130:
	s_and_not1_b32 vcc_lo, exec_lo, s28
	s_cbranch_vccnz .LBB25_132
; %bb.131:
	v_cmp_eq_u32_e32 vcc_lo, 1, v0
	ds_load_b32 v119, v121
	v_cndmask_b32_e32 v118, v34, v35, vcc_lo
	v_cmp_eq_u32_e32 vcc_lo, 2, v0
	s_delay_alu instid0(VALU_DEP_2) | instskip(SKIP_1) | instid1(VALU_DEP_2)
	v_cndmask_b32_e32 v118, v118, v36, vcc_lo
	v_cmp_eq_u32_e32 vcc_lo, 3, v0
	v_cndmask_b32_e32 v118, v118, v37, vcc_lo
	v_cmp_eq_u32_e32 vcc_lo, 4, v0
	s_delay_alu instid0(VALU_DEP_2) | instskip(SKIP_1) | instid1(VALU_DEP_2)
	v_cndmask_b32_e32 v118, v118, v38, vcc_lo
	v_cmp_eq_u32_e32 vcc_lo, 5, v0
	;; [unrolled: 5-line block ×12, first 2 shown]
	v_cndmask_b32_e32 v118, v118, v59, vcc_lo
	s_wait_dscnt 0x0
	s_delay_alu instid0(VALU_DEP_1)
	v_mul_f32_e32 v122, v118, v119
	s_cbranch_execz .LBB25_133
	s_branch .LBB25_134
.LBB25_132:
                                        ; implicit-def: $vgpr122
.LBB25_133:
	ds_load_b32 v122, v121
.LBB25_134:
	s_and_saveexec_b32 s5, s0
	s_cbranch_execz .LBB25_144
; %bb.135:
	v_subrev_nc_u32_e32 v118, 17, v0
	s_delay_alu instid0(VALU_DEP_1)
	v_cmp_lt_u32_e32 vcc_lo, 6, v118
	v_mov_b32_e32 v118, 16
	s_and_saveexec_b32 s0, vcc_lo
	s_cbranch_execz .LBB25_139
; %bb.136:
	v_and_b32_e32 v118, 24, v0
	s_mov_b32 s6, 0
	s_mov_b64 s[2:3], 23
	s_movk_i32 s7, 0xb0
	s_delay_alu instid0(VALU_DEP_1)
	v_sub_nc_u32_e32 v120, 0, v118
.LBB25_137:                             ; =>This Inner Loop Header: Depth=1
	s_add_co_i32 m0, s2, -7
	v_movrels_b32_e32 v119, v34
	v_mov_b32_e32 v118, s7
	s_add_co_i32 m0, s2, -6
	s_add_co_i32 s7, s7, 32
	v_movrels_b32_e32 v123, v34
	s_add_co_i32 m0, s2, -5
	ds_load_b128 v[124:127], v118
	ds_load_b128 v[128:131], v118 offset:16
	v_movrels_b32_e32 v118, v34
	s_add_co_i32 m0, s2, -4
	s_wait_dscnt 0x1
	v_fmac_f32_e32 v122, v119, v124
	v_movrels_b32_e32 v119, v34
	s_add_co_i32 m0, s2, -3
	s_delay_alu instid0(VALU_DEP_2) | instskip(NEXT) | instid1(VALU_DEP_1)
	v_fmac_f32_e32 v122, v123, v125
	v_fmac_f32_e32 v122, v118, v126
	v_movrels_b32_e32 v118, v34
	s_add_co_i32 m0, s2, -2
	s_delay_alu instid0(VALU_DEP_2) | instskip(SKIP_3) | instid1(VALU_DEP_2)
	v_fmac_f32_e32 v122, v119, v127
	v_movrels_b32_e32 v119, v34
	s_add_co_i32 m0, s2, -1
	s_wait_dscnt 0x0
	v_fmac_f32_e32 v122, v118, v128
	v_movrels_b32_e32 v118, v34
	s_mov_b32 m0, s2
	s_add_nc_u64 s[2:3], s[2:3], 8
	v_movrels_b32_e32 v123, v34
	v_dual_fmac_f32 v122, v119, v129 :: v_dual_add_nc_u32 v119, s2, v120
	s_add_co_i32 s8, s2, -7
	s_delay_alu instid0(VALU_DEP_1) | instskip(NEXT) | instid1(VALU_DEP_2)
	v_fmac_f32_e32 v122, v118, v130
	v_cmp_eq_u32_e32 vcc_lo, 7, v119
	s_delay_alu instid0(VALU_DEP_2) | instskip(SKIP_1) | instid1(SALU_CYCLE_1)
	v_dual_mov_b32 v118, s8 :: v_dual_fmac_f32 v122, v123, v131
	s_or_b32 s6, vcc_lo, s6
	s_and_not1_b32 exec_lo, exec_lo, s6
	s_cbranch_execnz .LBB25_137
; %bb.138:
	s_or_b32 exec_lo, exec_lo, s6
.LBB25_139:
	s_delay_alu instid0(SALU_CYCLE_1) | instskip(SKIP_3) | instid1(VALU_DEP_1)
	s_or_b32 exec_lo, exec_lo, s0
	v_and_b32_e32 v60, 7, v0
	s_mov_b32 s2, 0
	s_mov_b32 s0, exec_lo
	v_cmpx_ne_u32_e32 0, v60
	s_cbranch_execz .LBB25_143
; %bb.140:
	v_lshl_add_u32 v61, v118, 2, 0x70
	v_mov_b32_e32 v119, 0
.LBB25_141:                             ; =>This Inner Loop Header: Depth=1
	v_cmp_eq_u32_e32 vcc_lo, 1, v118
	ds_load_b32 v63, v61
	v_dual_add_nc_u32 v60, -1, v60 :: v_dual_add_nc_u32 v61, 4, v61
	v_cndmask_b32_e32 v62, v34, v35, vcc_lo
	v_cmp_eq_u32_e32 vcc_lo, 2, v118
	s_delay_alu instid0(VALU_DEP_2) | instskip(SKIP_1) | instid1(VALU_DEP_2)
	v_cndmask_b32_e32 v62, v62, v36, vcc_lo
	v_cmp_eq_u32_e32 vcc_lo, 3, v118
	v_cndmask_b32_e32 v62, v62, v37, vcc_lo
	v_cmp_eq_u32_e32 vcc_lo, 4, v118
	s_delay_alu instid0(VALU_DEP_2) | instskip(SKIP_1) | instid1(VALU_DEP_2)
	v_cndmask_b32_e32 v62, v62, v38, vcc_lo
	v_cmp_eq_u32_e32 vcc_lo, 5, v118
	v_cndmask_b32_e32 v62, v62, v39, vcc_lo
	v_cmp_eq_u32_e32 vcc_lo, 6, v118
	s_delay_alu instid0(VALU_DEP_2) | instskip(SKIP_1) | instid1(VALU_DEP_2)
	v_cndmask_b32_e32 v62, v62, v40, vcc_lo
	v_cmp_eq_u32_e32 vcc_lo, 7, v118
	v_cndmask_b32_e32 v62, v62, v41, vcc_lo
	v_cmp_eq_u32_e32 vcc_lo, 8, v118
	s_delay_alu instid0(VALU_DEP_2) | instskip(SKIP_1) | instid1(VALU_DEP_2)
	v_cndmask_b32_e32 v62, v62, v42, vcc_lo
	v_cmp_eq_u32_e32 vcc_lo, 9, v118
	v_cndmask_b32_e32 v62, v62, v43, vcc_lo
	v_cmp_eq_u32_e32 vcc_lo, 10, v118
	s_delay_alu instid0(VALU_DEP_2) | instskip(SKIP_1) | instid1(VALU_DEP_2)
	v_cndmask_b32_e32 v62, v62, v44, vcc_lo
	v_cmp_eq_u32_e32 vcc_lo, 11, v118
	v_cndmask_b32_e32 v62, v62, v45, vcc_lo
	v_cmp_eq_u32_e32 vcc_lo, 12, v118
	s_delay_alu instid0(VALU_DEP_2) | instskip(SKIP_1) | instid1(VALU_DEP_2)
	v_cndmask_b32_e32 v62, v62, v46, vcc_lo
	v_cmp_eq_u32_e32 vcc_lo, 13, v118
	v_cndmask_b32_e32 v62, v62, v47, vcc_lo
	v_cmp_eq_u32_e32 vcc_lo, 14, v118
	s_delay_alu instid0(VALU_DEP_2) | instskip(SKIP_1) | instid1(VALU_DEP_2)
	v_cndmask_b32_e32 v62, v62, v48, vcc_lo
	v_cmp_eq_u32_e32 vcc_lo, 15, v118
	v_cndmask_b32_e32 v62, v62, v49, vcc_lo
	v_cmp_eq_u32_e32 vcc_lo, 16, v118
	s_delay_alu instid0(VALU_DEP_2) | instskip(SKIP_1) | instid1(VALU_DEP_2)
	v_cndmask_b32_e32 v62, v62, v50, vcc_lo
	v_cmp_eq_u32_e32 vcc_lo, 17, v118
	v_cndmask_b32_e32 v62, v62, v51, vcc_lo
	v_cmp_eq_u32_e32 vcc_lo, 18, v118
	s_delay_alu instid0(VALU_DEP_2) | instskip(SKIP_1) | instid1(VALU_DEP_2)
	v_cndmask_b32_e32 v62, v62, v52, vcc_lo
	v_cmp_eq_u32_e32 vcc_lo, 19, v118
	v_cndmask_b32_e32 v62, v62, v53, vcc_lo
	v_cmp_eq_u32_e32 vcc_lo, 20, v118
	s_delay_alu instid0(VALU_DEP_2) | instskip(SKIP_1) | instid1(VALU_DEP_2)
	v_cndmask_b32_e32 v62, v62, v54, vcc_lo
	v_cmp_eq_u32_e32 vcc_lo, 21, v118
	v_cndmask_b32_e32 v62, v62, v55, vcc_lo
	v_cmp_eq_u32_e32 vcc_lo, 22, v118
	s_delay_alu instid0(VALU_DEP_2) | instskip(SKIP_1) | instid1(VALU_DEP_2)
	v_cndmask_b32_e32 v62, v62, v56, vcc_lo
	v_cmp_eq_u32_e32 vcc_lo, 23, v118
	v_cndmask_b32_e32 v62, v62, v57, vcc_lo
	v_cmp_eq_u32_e32 vcc_lo, 24, v118
	s_delay_alu instid0(VALU_DEP_2) | instskip(SKIP_2) | instid1(VALU_DEP_3)
	v_cndmask_b32_e32 v62, v62, v58, vcc_lo
	v_cmp_eq_u32_e32 vcc_lo, 25, v118
	v_add_nc_u64_e32 v[118:119], 1, v[118:119]
	v_cndmask_b32_e32 v62, v62, v59, vcc_lo
	v_cmp_eq_u32_e32 vcc_lo, 0, v60
	s_wait_dscnt 0x0
	s_delay_alu instid0(VALU_DEP_2) | instskip(SKIP_1) | instid1(SALU_CYCLE_1)
	v_fmac_f32_e32 v122, v62, v63
	s_or_b32 s2, vcc_lo, s2
	s_and_not1_b32 exec_lo, exec_lo, s2
	s_cbranch_execnz .LBB25_141
; %bb.142:
	s_or_b32 exec_lo, exec_lo, s2
.LBB25_143:
	s_delay_alu instid0(SALU_CYCLE_1)
	s_or_b32 exec_lo, exec_lo, s0
.LBB25_144:
	s_delay_alu instid0(SALU_CYCLE_1)
	s_or_b32 exec_lo, exec_lo, s5
	v_mov_b32_e32 v49, 0
	ds_load_b32 v49, v49 offset:60
	s_wait_dscnt 0x0
	v_mul_f32_e32 v49, v122, v49
.LBB25_145:
	s_or_b32 exec_lo, exec_lo, s4
	v_cmp_lt_u32_e64 s0, 14, v0
	ds_store_b32 v121, v48
	s_wait_dscnt 0x0
	s_barrier_signal -1
	s_barrier_wait -1
	s_and_saveexec_b32 s4, s0
	s_cbranch_execz .LBB25_161
; %bb.146:
	s_and_not1_b32 vcc_lo, exec_lo, s28
	s_cbranch_vccnz .LBB25_148
; %bb.147:
	v_cmp_eq_u32_e32 vcc_lo, 1, v0
	ds_load_b32 v119, v121
	v_cndmask_b32_e32 v118, v34, v35, vcc_lo
	v_cmp_eq_u32_e32 vcc_lo, 2, v0
	s_delay_alu instid0(VALU_DEP_2) | instskip(SKIP_1) | instid1(VALU_DEP_2)
	v_cndmask_b32_e32 v118, v118, v36, vcc_lo
	v_cmp_eq_u32_e32 vcc_lo, 3, v0
	v_cndmask_b32_e32 v118, v118, v37, vcc_lo
	v_cmp_eq_u32_e32 vcc_lo, 4, v0
	s_delay_alu instid0(VALU_DEP_2) | instskip(SKIP_1) | instid1(VALU_DEP_2)
	v_cndmask_b32_e32 v118, v118, v38, vcc_lo
	v_cmp_eq_u32_e32 vcc_lo, 5, v0
	;; [unrolled: 5-line block ×12, first 2 shown]
	v_cndmask_b32_e32 v118, v118, v59, vcc_lo
	s_wait_dscnt 0x0
	s_delay_alu instid0(VALU_DEP_1)
	v_mul_f32_e32 v122, v118, v119
	s_cbranch_execz .LBB25_149
	s_branch .LBB25_150
.LBB25_148:
                                        ; implicit-def: $vgpr122
.LBB25_149:
	ds_load_b32 v122, v121
.LBB25_150:
	s_and_saveexec_b32 s5, s1
	s_cbranch_execz .LBB25_160
; %bb.151:
	v_dual_add_nc_u32 v118, -16, v0 :: v_dual_add_nc_u32 v119, -15, v0
	s_delay_alu instid0(VALU_DEP_1)
	v_cmp_lt_u32_e32 vcc_lo, 6, v118
	v_mov_b32_e32 v118, 15
	s_and_saveexec_b32 s1, vcc_lo
	s_cbranch_execz .LBB25_155
; %bb.152:
	v_and_b32_e32 v118, -8, v119
	s_mov_b32 s6, 0
	s_mov_b64 s[2:3], 22
	s_movk_i32 s7, 0xac
	s_delay_alu instid0(VALU_DEP_1)
	v_sub_nc_u32_e32 v120, 0, v118
.LBB25_153:                             ; =>This Inner Loop Header: Depth=1
	s_add_co_i32 m0, s2, -7
	v_movrels_b32_e32 v123, v34
	v_mov_b32_e32 v118, s7
	s_add_co_i32 m0, s2, -6
	s_add_co_i32 s7, s7, 32
	v_movrels_b32_e32 v132, v34
	ds_load_2addr_b32 v[124:125], v118 offset1:1
	ds_load_2addr_b32 v[126:127], v118 offset0:2 offset1:3
	s_add_co_i32 m0, s2, -5
	s_wait_dscnt 0x1
	v_fmac_f32_e32 v122, v123, v124
	ds_load_2addr_b32 v[128:129], v118 offset0:4 offset1:5
	ds_load_2addr_b32 v[130:131], v118 offset0:6 offset1:7
	v_movrels_b32_e32 v118, v34
	s_add_co_i32 m0, s2, -4
	v_fmac_f32_e32 v122, v132, v125
	v_movrels_b32_e32 v123, v34
	s_add_co_i32 m0, s2, -3
	s_wait_dscnt 0x2
	s_delay_alu instid0(VALU_DEP_2) | instskip(SKIP_2) | instid1(VALU_DEP_2)
	v_fmac_f32_e32 v122, v118, v126
	v_movrels_b32_e32 v118, v34
	s_add_co_i32 m0, s2, -2
	v_fmac_f32_e32 v122, v123, v127
	v_movrels_b32_e32 v123, v34
	s_add_co_i32 m0, s2, -1
	s_wait_dscnt 0x1
	s_delay_alu instid0(VALU_DEP_2)
	v_fmac_f32_e32 v122, v118, v128
	v_movrels_b32_e32 v118, v34
	s_mov_b32 m0, s2
	s_add_nc_u64 s[2:3], s[2:3], 8
	v_movrels_b32_e32 v124, v34
	v_dual_fmac_f32 v122, v123, v129 :: v_dual_add_nc_u32 v123, s2, v120
	s_add_co_i32 s8, s2, -7
	s_wait_dscnt 0x0
	s_delay_alu instid0(VALU_DEP_1) | instskip(NEXT) | instid1(VALU_DEP_2)
	v_fmac_f32_e32 v122, v118, v130
	v_cmp_eq_u32_e32 vcc_lo, 22, v123
	s_delay_alu instid0(VALU_DEP_2) | instskip(SKIP_1) | instid1(SALU_CYCLE_1)
	v_dual_mov_b32 v118, s8 :: v_dual_fmac_f32 v122, v124, v131
	s_or_b32 s6, vcc_lo, s6
	s_and_not1_b32 exec_lo, exec_lo, s6
	s_cbranch_execnz .LBB25_153
; %bb.154:
	s_or_b32 exec_lo, exec_lo, s6
.LBB25_155:
	s_delay_alu instid0(SALU_CYCLE_1) | instskip(SKIP_3) | instid1(VALU_DEP_1)
	s_or_b32 exec_lo, exec_lo, s1
	v_and_b32_e32 v60, 7, v119
	s_mov_b32 s2, 0
	s_mov_b32 s1, exec_lo
	v_cmpx_ne_u32_e32 0, v60
	s_cbranch_execz .LBB25_159
; %bb.156:
	v_lshl_add_u32 v61, v118, 2, 0x70
	v_mov_b32_e32 v119, 0
.LBB25_157:                             ; =>This Inner Loop Header: Depth=1
	v_cmp_eq_u32_e32 vcc_lo, 1, v118
	ds_load_b32 v63, v61
	v_dual_add_nc_u32 v60, -1, v60 :: v_dual_add_nc_u32 v61, 4, v61
	v_cndmask_b32_e32 v62, v34, v35, vcc_lo
	v_cmp_eq_u32_e32 vcc_lo, 2, v118
	s_delay_alu instid0(VALU_DEP_2) | instskip(SKIP_1) | instid1(VALU_DEP_2)
	v_cndmask_b32_e32 v62, v62, v36, vcc_lo
	v_cmp_eq_u32_e32 vcc_lo, 3, v118
	v_cndmask_b32_e32 v62, v62, v37, vcc_lo
	v_cmp_eq_u32_e32 vcc_lo, 4, v118
	s_delay_alu instid0(VALU_DEP_2) | instskip(SKIP_1) | instid1(VALU_DEP_2)
	v_cndmask_b32_e32 v62, v62, v38, vcc_lo
	v_cmp_eq_u32_e32 vcc_lo, 5, v118
	;; [unrolled: 5-line block ×11, first 2 shown]
	v_cndmask_b32_e32 v62, v62, v57, vcc_lo
	v_cmp_eq_u32_e32 vcc_lo, 24, v118
	s_delay_alu instid0(VALU_DEP_2) | instskip(SKIP_2) | instid1(VALU_DEP_3)
	v_cndmask_b32_e32 v62, v62, v58, vcc_lo
	v_cmp_eq_u32_e32 vcc_lo, 25, v118
	v_add_nc_u64_e32 v[118:119], 1, v[118:119]
	v_cndmask_b32_e32 v62, v62, v59, vcc_lo
	v_cmp_eq_u32_e32 vcc_lo, 0, v60
	s_wait_dscnt 0x0
	s_delay_alu instid0(VALU_DEP_2) | instskip(SKIP_1) | instid1(SALU_CYCLE_1)
	v_fmac_f32_e32 v122, v62, v63
	s_or_b32 s2, vcc_lo, s2
	s_and_not1_b32 exec_lo, exec_lo, s2
	s_cbranch_execnz .LBB25_157
; %bb.158:
	s_or_b32 exec_lo, exec_lo, s2
.LBB25_159:
	s_delay_alu instid0(SALU_CYCLE_1)
	s_or_b32 exec_lo, exec_lo, s1
.LBB25_160:
	s_delay_alu instid0(SALU_CYCLE_1)
	s_or_b32 exec_lo, exec_lo, s5
	v_mov_b32_e32 v48, 0
	ds_load_b32 v48, v48 offset:56
	s_wait_dscnt 0x0
	v_mul_f32_e32 v48, v122, v48
.LBB25_161:
	s_or_b32 exec_lo, exec_lo, s4
	v_cmp_lt_u32_e64 s1, 13, v0
	ds_store_b32 v121, v47
	s_wait_dscnt 0x0
	s_barrier_signal -1
	s_barrier_wait -1
	s_and_saveexec_b32 s4, s1
	s_cbranch_execz .LBB25_177
; %bb.162:
	s_and_not1_b32 vcc_lo, exec_lo, s28
	s_cbranch_vccnz .LBB25_164
; %bb.163:
	v_cmp_eq_u32_e32 vcc_lo, 1, v0
	ds_load_b32 v119, v121
	v_cndmask_b32_e32 v118, v34, v35, vcc_lo
	v_cmp_eq_u32_e32 vcc_lo, 2, v0
	s_delay_alu instid0(VALU_DEP_2) | instskip(SKIP_1) | instid1(VALU_DEP_2)
	v_cndmask_b32_e32 v118, v118, v36, vcc_lo
	v_cmp_eq_u32_e32 vcc_lo, 3, v0
	v_cndmask_b32_e32 v118, v118, v37, vcc_lo
	v_cmp_eq_u32_e32 vcc_lo, 4, v0
	s_delay_alu instid0(VALU_DEP_2) | instskip(SKIP_1) | instid1(VALU_DEP_2)
	v_cndmask_b32_e32 v118, v118, v38, vcc_lo
	v_cmp_eq_u32_e32 vcc_lo, 5, v0
	;; [unrolled: 5-line block ×12, first 2 shown]
	v_cndmask_b32_e32 v118, v118, v59, vcc_lo
	s_wait_dscnt 0x0
	s_delay_alu instid0(VALU_DEP_1)
	v_mul_f32_e32 v122, v118, v119
	s_cbranch_execz .LBB25_165
	s_branch .LBB25_166
.LBB25_164:
                                        ; implicit-def: $vgpr122
.LBB25_165:
	ds_load_b32 v122, v121
.LBB25_166:
	s_and_saveexec_b32 s5, s0
	s_cbranch_execz .LBB25_176
; %bb.167:
	v_dual_add_nc_u32 v118, -15, v0 :: v_dual_add_nc_u32 v119, -14, v0
	s_delay_alu instid0(VALU_DEP_1)
	v_cmp_lt_u32_e32 vcc_lo, 6, v118
	v_mov_b32_e32 v118, 14
	s_and_saveexec_b32 s0, vcc_lo
	s_cbranch_execz .LBB25_171
; %bb.168:
	v_and_b32_e32 v118, -8, v119
	s_mov_b32 s6, 0
	s_mov_b64 s[2:3], 21
	s_movk_i32 s7, 0xa8
	s_delay_alu instid0(VALU_DEP_1)
	v_sub_nc_u32_e32 v120, 0, v118
.LBB25_169:                             ; =>This Inner Loop Header: Depth=1
	s_add_co_i32 m0, s2, -7
	v_movrels_b32_e32 v123, v34
	v_mov_b32_e32 v118, s7
	s_add_co_i32 m0, s2, -6
	s_add_co_i32 s7, s7, 32
	v_movrels_b32_e32 v132, v34
	s_add_co_i32 m0, s2, -5
	ds_load_2addr_b64 v[124:127], v118 offset1:1
	ds_load_2addr_b64 v[128:131], v118 offset0:2 offset1:3
	v_movrels_b32_e32 v118, v34
	s_add_co_i32 m0, s2, -4
	s_wait_dscnt 0x1
	v_fmac_f32_e32 v122, v123, v124
	v_movrels_b32_e32 v123, v34
	s_add_co_i32 m0, s2, -3
	s_delay_alu instid0(VALU_DEP_2) | instskip(NEXT) | instid1(VALU_DEP_1)
	v_fmac_f32_e32 v122, v132, v125
	v_fmac_f32_e32 v122, v118, v126
	v_movrels_b32_e32 v118, v34
	s_add_co_i32 m0, s2, -2
	s_delay_alu instid0(VALU_DEP_2) | instskip(SKIP_3) | instid1(VALU_DEP_2)
	v_fmac_f32_e32 v122, v123, v127
	v_movrels_b32_e32 v123, v34
	s_add_co_i32 m0, s2, -1
	s_wait_dscnt 0x0
	v_fmac_f32_e32 v122, v118, v128
	v_movrels_b32_e32 v118, v34
	s_mov_b32 m0, s2
	s_add_nc_u64 s[2:3], s[2:3], 8
	v_movrels_b32_e32 v124, v34
	v_dual_fmac_f32 v122, v123, v129 :: v_dual_add_nc_u32 v123, s2, v120
	s_add_co_i32 s8, s2, -7
	s_delay_alu instid0(VALU_DEP_1) | instskip(NEXT) | instid1(VALU_DEP_2)
	v_fmac_f32_e32 v122, v118, v130
	v_cmp_eq_u32_e32 vcc_lo, 21, v123
	s_delay_alu instid0(VALU_DEP_2) | instskip(SKIP_1) | instid1(SALU_CYCLE_1)
	v_dual_mov_b32 v118, s8 :: v_dual_fmac_f32 v122, v124, v131
	s_or_b32 s6, vcc_lo, s6
	s_and_not1_b32 exec_lo, exec_lo, s6
	s_cbranch_execnz .LBB25_169
; %bb.170:
	s_or_b32 exec_lo, exec_lo, s6
.LBB25_171:
	s_delay_alu instid0(SALU_CYCLE_1) | instskip(SKIP_3) | instid1(VALU_DEP_1)
	s_or_b32 exec_lo, exec_lo, s0
	v_and_b32_e32 v60, 7, v119
	s_mov_b32 s2, 0
	s_mov_b32 s0, exec_lo
	v_cmpx_ne_u32_e32 0, v60
	s_cbranch_execz .LBB25_175
; %bb.172:
	v_lshl_add_u32 v61, v118, 2, 0x70
	v_mov_b32_e32 v119, 0
.LBB25_173:                             ; =>This Inner Loop Header: Depth=1
	v_cmp_eq_u32_e32 vcc_lo, 1, v118
	ds_load_b32 v63, v61
	v_dual_add_nc_u32 v60, -1, v60 :: v_dual_add_nc_u32 v61, 4, v61
	v_cndmask_b32_e32 v62, v34, v35, vcc_lo
	v_cmp_eq_u32_e32 vcc_lo, 2, v118
	s_delay_alu instid0(VALU_DEP_2) | instskip(SKIP_1) | instid1(VALU_DEP_2)
	v_cndmask_b32_e32 v62, v62, v36, vcc_lo
	v_cmp_eq_u32_e32 vcc_lo, 3, v118
	v_cndmask_b32_e32 v62, v62, v37, vcc_lo
	v_cmp_eq_u32_e32 vcc_lo, 4, v118
	s_delay_alu instid0(VALU_DEP_2) | instskip(SKIP_1) | instid1(VALU_DEP_2)
	v_cndmask_b32_e32 v62, v62, v38, vcc_lo
	v_cmp_eq_u32_e32 vcc_lo, 5, v118
	;; [unrolled: 5-line block ×11, first 2 shown]
	v_cndmask_b32_e32 v62, v62, v57, vcc_lo
	v_cmp_eq_u32_e32 vcc_lo, 24, v118
	s_delay_alu instid0(VALU_DEP_2) | instskip(SKIP_2) | instid1(VALU_DEP_3)
	v_cndmask_b32_e32 v62, v62, v58, vcc_lo
	v_cmp_eq_u32_e32 vcc_lo, 25, v118
	v_add_nc_u64_e32 v[118:119], 1, v[118:119]
	v_cndmask_b32_e32 v62, v62, v59, vcc_lo
	v_cmp_eq_u32_e32 vcc_lo, 0, v60
	s_wait_dscnt 0x0
	s_delay_alu instid0(VALU_DEP_2) | instskip(SKIP_1) | instid1(SALU_CYCLE_1)
	v_fmac_f32_e32 v122, v62, v63
	s_or_b32 s2, vcc_lo, s2
	s_and_not1_b32 exec_lo, exec_lo, s2
	s_cbranch_execnz .LBB25_173
; %bb.174:
	s_or_b32 exec_lo, exec_lo, s2
.LBB25_175:
	s_delay_alu instid0(SALU_CYCLE_1)
	s_or_b32 exec_lo, exec_lo, s0
.LBB25_176:
	s_delay_alu instid0(SALU_CYCLE_1)
	s_or_b32 exec_lo, exec_lo, s5
	v_mov_b32_e32 v47, 0
	ds_load_b32 v47, v47 offset:52
	s_wait_dscnt 0x0
	v_mul_f32_e32 v47, v122, v47
.LBB25_177:
	s_or_b32 exec_lo, exec_lo, s4
	v_cmp_lt_u32_e64 s0, 12, v0
	ds_store_b32 v121, v46
	s_wait_dscnt 0x0
	s_barrier_signal -1
	s_barrier_wait -1
	s_and_saveexec_b32 s4, s0
	s_cbranch_execz .LBB25_193
; %bb.178:
	s_and_not1_b32 vcc_lo, exec_lo, s28
	s_cbranch_vccnz .LBB25_180
; %bb.179:
	v_cmp_eq_u32_e32 vcc_lo, 1, v0
	ds_load_b32 v119, v121
	v_cndmask_b32_e32 v118, v34, v35, vcc_lo
	v_cmp_eq_u32_e32 vcc_lo, 2, v0
	s_delay_alu instid0(VALU_DEP_2) | instskip(SKIP_1) | instid1(VALU_DEP_2)
	v_cndmask_b32_e32 v118, v118, v36, vcc_lo
	v_cmp_eq_u32_e32 vcc_lo, 3, v0
	v_cndmask_b32_e32 v118, v118, v37, vcc_lo
	v_cmp_eq_u32_e32 vcc_lo, 4, v0
	s_delay_alu instid0(VALU_DEP_2) | instskip(SKIP_1) | instid1(VALU_DEP_2)
	v_cndmask_b32_e32 v118, v118, v38, vcc_lo
	v_cmp_eq_u32_e32 vcc_lo, 5, v0
	;; [unrolled: 5-line block ×12, first 2 shown]
	v_cndmask_b32_e32 v118, v118, v59, vcc_lo
	s_wait_dscnt 0x0
	s_delay_alu instid0(VALU_DEP_1)
	v_mul_f32_e32 v122, v118, v119
	s_cbranch_execz .LBB25_181
	s_branch .LBB25_182
.LBB25_180:
                                        ; implicit-def: $vgpr122
.LBB25_181:
	ds_load_b32 v122, v121
.LBB25_182:
	s_and_saveexec_b32 s5, s1
	s_cbranch_execz .LBB25_192
; %bb.183:
	v_dual_add_nc_u32 v118, -14, v0 :: v_dual_add_nc_u32 v119, -13, v0
	s_delay_alu instid0(VALU_DEP_1)
	v_cmp_lt_u32_e32 vcc_lo, 6, v118
	v_mov_b32_e32 v118, 13
	s_and_saveexec_b32 s1, vcc_lo
	s_cbranch_execz .LBB25_187
; %bb.184:
	v_and_b32_e32 v118, -8, v119
	s_mov_b32 s6, 0
	s_mov_b64 s[2:3], 20
	s_movk_i32 s7, 0xa4
	s_delay_alu instid0(VALU_DEP_1)
	v_sub_nc_u32_e32 v120, 0, v118
.LBB25_185:                             ; =>This Inner Loop Header: Depth=1
	s_add_co_i32 m0, s2, -7
	v_movrels_b32_e32 v123, v34
	v_mov_b32_e32 v118, s7
	s_add_co_i32 m0, s2, -6
	s_add_co_i32 s7, s7, 32
	v_movrels_b32_e32 v132, v34
	ds_load_2addr_b32 v[124:125], v118 offset1:1
	ds_load_2addr_b32 v[126:127], v118 offset0:2 offset1:3
	s_add_co_i32 m0, s2, -5
	s_wait_dscnt 0x1
	v_fmac_f32_e32 v122, v123, v124
	ds_load_2addr_b32 v[128:129], v118 offset0:4 offset1:5
	ds_load_2addr_b32 v[130:131], v118 offset0:6 offset1:7
	v_movrels_b32_e32 v118, v34
	s_add_co_i32 m0, s2, -4
	v_fmac_f32_e32 v122, v132, v125
	v_movrels_b32_e32 v123, v34
	s_add_co_i32 m0, s2, -3
	s_wait_dscnt 0x2
	s_delay_alu instid0(VALU_DEP_2) | instskip(SKIP_2) | instid1(VALU_DEP_2)
	v_fmac_f32_e32 v122, v118, v126
	v_movrels_b32_e32 v118, v34
	s_add_co_i32 m0, s2, -2
	v_fmac_f32_e32 v122, v123, v127
	v_movrels_b32_e32 v123, v34
	s_add_co_i32 m0, s2, -1
	s_wait_dscnt 0x1
	s_delay_alu instid0(VALU_DEP_2)
	v_fmac_f32_e32 v122, v118, v128
	v_movrels_b32_e32 v118, v34
	s_mov_b32 m0, s2
	s_add_nc_u64 s[2:3], s[2:3], 8
	v_movrels_b32_e32 v124, v34
	v_dual_fmac_f32 v122, v123, v129 :: v_dual_add_nc_u32 v123, s2, v120
	s_add_co_i32 s8, s2, -7
	s_wait_dscnt 0x0
	s_delay_alu instid0(VALU_DEP_1) | instskip(NEXT) | instid1(VALU_DEP_2)
	v_fmac_f32_e32 v122, v118, v130
	v_cmp_eq_u32_e32 vcc_lo, 20, v123
	s_delay_alu instid0(VALU_DEP_2) | instskip(SKIP_1) | instid1(SALU_CYCLE_1)
	v_dual_mov_b32 v118, s8 :: v_dual_fmac_f32 v122, v124, v131
	s_or_b32 s6, vcc_lo, s6
	s_and_not1_b32 exec_lo, exec_lo, s6
	s_cbranch_execnz .LBB25_185
; %bb.186:
	s_or_b32 exec_lo, exec_lo, s6
.LBB25_187:
	s_delay_alu instid0(SALU_CYCLE_1) | instskip(SKIP_3) | instid1(VALU_DEP_1)
	s_or_b32 exec_lo, exec_lo, s1
	v_and_b32_e32 v60, 7, v119
	s_mov_b32 s2, 0
	s_mov_b32 s1, exec_lo
	v_cmpx_ne_u32_e32 0, v60
	s_cbranch_execz .LBB25_191
; %bb.188:
	v_lshl_add_u32 v61, v118, 2, 0x70
	v_mov_b32_e32 v119, 0
.LBB25_189:                             ; =>This Inner Loop Header: Depth=1
	v_cmp_eq_u32_e32 vcc_lo, 1, v118
	ds_load_b32 v63, v61
	v_dual_add_nc_u32 v60, -1, v60 :: v_dual_add_nc_u32 v61, 4, v61
	v_cndmask_b32_e32 v62, v34, v35, vcc_lo
	v_cmp_eq_u32_e32 vcc_lo, 2, v118
	s_delay_alu instid0(VALU_DEP_2) | instskip(SKIP_1) | instid1(VALU_DEP_2)
	v_cndmask_b32_e32 v62, v62, v36, vcc_lo
	v_cmp_eq_u32_e32 vcc_lo, 3, v118
	v_cndmask_b32_e32 v62, v62, v37, vcc_lo
	v_cmp_eq_u32_e32 vcc_lo, 4, v118
	s_delay_alu instid0(VALU_DEP_2) | instskip(SKIP_1) | instid1(VALU_DEP_2)
	v_cndmask_b32_e32 v62, v62, v38, vcc_lo
	v_cmp_eq_u32_e32 vcc_lo, 5, v118
	;; [unrolled: 5-line block ×11, first 2 shown]
	v_cndmask_b32_e32 v62, v62, v57, vcc_lo
	v_cmp_eq_u32_e32 vcc_lo, 24, v118
	s_delay_alu instid0(VALU_DEP_2) | instskip(SKIP_2) | instid1(VALU_DEP_3)
	v_cndmask_b32_e32 v62, v62, v58, vcc_lo
	v_cmp_eq_u32_e32 vcc_lo, 25, v118
	v_add_nc_u64_e32 v[118:119], 1, v[118:119]
	v_cndmask_b32_e32 v62, v62, v59, vcc_lo
	v_cmp_eq_u32_e32 vcc_lo, 0, v60
	s_wait_dscnt 0x0
	s_delay_alu instid0(VALU_DEP_2) | instskip(SKIP_1) | instid1(SALU_CYCLE_1)
	v_fmac_f32_e32 v122, v62, v63
	s_or_b32 s2, vcc_lo, s2
	s_and_not1_b32 exec_lo, exec_lo, s2
	s_cbranch_execnz .LBB25_189
; %bb.190:
	s_or_b32 exec_lo, exec_lo, s2
.LBB25_191:
	s_delay_alu instid0(SALU_CYCLE_1)
	s_or_b32 exec_lo, exec_lo, s1
.LBB25_192:
	s_delay_alu instid0(SALU_CYCLE_1)
	s_or_b32 exec_lo, exec_lo, s5
	v_mov_b32_e32 v46, 0
	ds_load_b32 v46, v46 offset:48
	s_wait_dscnt 0x0
	v_mul_f32_e32 v46, v122, v46
.LBB25_193:
	s_or_b32 exec_lo, exec_lo, s4
	v_cmp_lt_u32_e64 s1, 11, v0
	ds_store_b32 v121, v45
	s_wait_dscnt 0x0
	s_barrier_signal -1
	s_barrier_wait -1
	s_and_saveexec_b32 s4, s1
	s_cbranch_execz .LBB25_209
; %bb.194:
	s_and_not1_b32 vcc_lo, exec_lo, s28
	s_cbranch_vccnz .LBB25_196
; %bb.195:
	v_cmp_eq_u32_e32 vcc_lo, 1, v0
	ds_load_b32 v119, v121
	v_cndmask_b32_e32 v118, v34, v35, vcc_lo
	v_cmp_eq_u32_e32 vcc_lo, 2, v0
	s_delay_alu instid0(VALU_DEP_2) | instskip(SKIP_1) | instid1(VALU_DEP_2)
	v_cndmask_b32_e32 v118, v118, v36, vcc_lo
	v_cmp_eq_u32_e32 vcc_lo, 3, v0
	v_cndmask_b32_e32 v118, v118, v37, vcc_lo
	v_cmp_eq_u32_e32 vcc_lo, 4, v0
	s_delay_alu instid0(VALU_DEP_2) | instskip(SKIP_1) | instid1(VALU_DEP_2)
	v_cndmask_b32_e32 v118, v118, v38, vcc_lo
	v_cmp_eq_u32_e32 vcc_lo, 5, v0
	;; [unrolled: 5-line block ×12, first 2 shown]
	v_cndmask_b32_e32 v118, v118, v59, vcc_lo
	s_wait_dscnt 0x0
	s_delay_alu instid0(VALU_DEP_1)
	v_mul_f32_e32 v122, v118, v119
	s_cbranch_execz .LBB25_197
	s_branch .LBB25_198
.LBB25_196:
                                        ; implicit-def: $vgpr122
.LBB25_197:
	ds_load_b32 v122, v121
.LBB25_198:
	s_and_saveexec_b32 s5, s0
	s_cbranch_execz .LBB25_208
; %bb.199:
	v_dual_add_nc_u32 v118, -13, v0 :: v_dual_add_nc_u32 v119, -12, v0
	s_delay_alu instid0(VALU_DEP_1)
	v_cmp_lt_u32_e32 vcc_lo, 6, v118
	v_mov_b32_e32 v118, 12
	s_and_saveexec_b32 s0, vcc_lo
	s_cbranch_execz .LBB25_203
; %bb.200:
	v_and_b32_e32 v118, -8, v119
	s_mov_b32 s6, 0
	s_mov_b64 s[2:3], 19
	s_movk_i32 s7, 0xa0
	s_delay_alu instid0(VALU_DEP_1)
	v_sub_nc_u32_e32 v120, 0, v118
.LBB25_201:                             ; =>This Inner Loop Header: Depth=1
	s_add_co_i32 m0, s2, -7
	v_movrels_b32_e32 v123, v34
	v_mov_b32_e32 v118, s7
	s_add_co_i32 m0, s2, -6
	s_add_co_i32 s7, s7, 32
	v_movrels_b32_e32 v132, v34
	s_add_co_i32 m0, s2, -5
	ds_load_b128 v[124:127], v118
	ds_load_b128 v[128:131], v118 offset:16
	v_movrels_b32_e32 v118, v34
	s_add_co_i32 m0, s2, -4
	s_wait_dscnt 0x1
	v_fmac_f32_e32 v122, v123, v124
	v_movrels_b32_e32 v123, v34
	s_add_co_i32 m0, s2, -3
	s_delay_alu instid0(VALU_DEP_2) | instskip(NEXT) | instid1(VALU_DEP_1)
	v_fmac_f32_e32 v122, v132, v125
	v_fmac_f32_e32 v122, v118, v126
	v_movrels_b32_e32 v118, v34
	s_add_co_i32 m0, s2, -2
	s_delay_alu instid0(VALU_DEP_2) | instskip(SKIP_3) | instid1(VALU_DEP_2)
	v_fmac_f32_e32 v122, v123, v127
	v_movrels_b32_e32 v123, v34
	s_add_co_i32 m0, s2, -1
	s_wait_dscnt 0x0
	v_fmac_f32_e32 v122, v118, v128
	v_movrels_b32_e32 v118, v34
	s_mov_b32 m0, s2
	s_add_nc_u64 s[2:3], s[2:3], 8
	v_movrels_b32_e32 v124, v34
	v_dual_fmac_f32 v122, v123, v129 :: v_dual_add_nc_u32 v123, s2, v120
	s_add_co_i32 s8, s2, -7
	s_delay_alu instid0(VALU_DEP_1) | instskip(NEXT) | instid1(VALU_DEP_2)
	v_fmac_f32_e32 v122, v118, v130
	v_cmp_eq_u32_e32 vcc_lo, 19, v123
	s_delay_alu instid0(VALU_DEP_2) | instskip(SKIP_1) | instid1(SALU_CYCLE_1)
	v_dual_mov_b32 v118, s8 :: v_dual_fmac_f32 v122, v124, v131
	s_or_b32 s6, vcc_lo, s6
	s_and_not1_b32 exec_lo, exec_lo, s6
	s_cbranch_execnz .LBB25_201
; %bb.202:
	s_or_b32 exec_lo, exec_lo, s6
.LBB25_203:
	s_delay_alu instid0(SALU_CYCLE_1) | instskip(SKIP_3) | instid1(VALU_DEP_1)
	s_or_b32 exec_lo, exec_lo, s0
	v_and_b32_e32 v60, 7, v119
	s_mov_b32 s2, 0
	s_mov_b32 s0, exec_lo
	v_cmpx_ne_u32_e32 0, v60
	s_cbranch_execz .LBB25_207
; %bb.204:
	v_lshl_add_u32 v61, v118, 2, 0x70
	v_mov_b32_e32 v119, 0
.LBB25_205:                             ; =>This Inner Loop Header: Depth=1
	v_cmp_eq_u32_e32 vcc_lo, 1, v118
	ds_load_b32 v63, v61
	v_dual_add_nc_u32 v60, -1, v60 :: v_dual_add_nc_u32 v61, 4, v61
	v_cndmask_b32_e32 v62, v34, v35, vcc_lo
	v_cmp_eq_u32_e32 vcc_lo, 2, v118
	s_delay_alu instid0(VALU_DEP_2) | instskip(SKIP_1) | instid1(VALU_DEP_2)
	v_cndmask_b32_e32 v62, v62, v36, vcc_lo
	v_cmp_eq_u32_e32 vcc_lo, 3, v118
	v_cndmask_b32_e32 v62, v62, v37, vcc_lo
	v_cmp_eq_u32_e32 vcc_lo, 4, v118
	s_delay_alu instid0(VALU_DEP_2) | instskip(SKIP_1) | instid1(VALU_DEP_2)
	v_cndmask_b32_e32 v62, v62, v38, vcc_lo
	v_cmp_eq_u32_e32 vcc_lo, 5, v118
	;; [unrolled: 5-line block ×11, first 2 shown]
	v_cndmask_b32_e32 v62, v62, v57, vcc_lo
	v_cmp_eq_u32_e32 vcc_lo, 24, v118
	s_delay_alu instid0(VALU_DEP_2) | instskip(SKIP_2) | instid1(VALU_DEP_3)
	v_cndmask_b32_e32 v62, v62, v58, vcc_lo
	v_cmp_eq_u32_e32 vcc_lo, 25, v118
	v_add_nc_u64_e32 v[118:119], 1, v[118:119]
	v_cndmask_b32_e32 v62, v62, v59, vcc_lo
	v_cmp_eq_u32_e32 vcc_lo, 0, v60
	s_wait_dscnt 0x0
	s_delay_alu instid0(VALU_DEP_2) | instskip(SKIP_1) | instid1(SALU_CYCLE_1)
	v_fmac_f32_e32 v122, v62, v63
	s_or_b32 s2, vcc_lo, s2
	s_and_not1_b32 exec_lo, exec_lo, s2
	s_cbranch_execnz .LBB25_205
; %bb.206:
	s_or_b32 exec_lo, exec_lo, s2
.LBB25_207:
	s_delay_alu instid0(SALU_CYCLE_1)
	s_or_b32 exec_lo, exec_lo, s0
.LBB25_208:
	s_delay_alu instid0(SALU_CYCLE_1)
	s_or_b32 exec_lo, exec_lo, s5
	v_mov_b32_e32 v45, 0
	ds_load_b32 v45, v45 offset:44
	s_wait_dscnt 0x0
	v_mul_f32_e32 v45, v122, v45
.LBB25_209:
	s_or_b32 exec_lo, exec_lo, s4
	v_cmp_lt_u32_e64 s0, 10, v0
	ds_store_b32 v121, v44
	s_wait_dscnt 0x0
	s_barrier_signal -1
	s_barrier_wait -1
	s_and_saveexec_b32 s4, s0
	s_cbranch_execz .LBB25_225
; %bb.210:
	s_and_not1_b32 vcc_lo, exec_lo, s28
	s_cbranch_vccnz .LBB25_212
; %bb.211:
	v_cmp_eq_u32_e32 vcc_lo, 1, v0
	ds_load_b32 v119, v121
	v_cndmask_b32_e32 v118, v34, v35, vcc_lo
	v_cmp_eq_u32_e32 vcc_lo, 2, v0
	s_delay_alu instid0(VALU_DEP_2) | instskip(SKIP_1) | instid1(VALU_DEP_2)
	v_cndmask_b32_e32 v118, v118, v36, vcc_lo
	v_cmp_eq_u32_e32 vcc_lo, 3, v0
	v_cndmask_b32_e32 v118, v118, v37, vcc_lo
	v_cmp_eq_u32_e32 vcc_lo, 4, v0
	s_delay_alu instid0(VALU_DEP_2) | instskip(SKIP_1) | instid1(VALU_DEP_2)
	v_cndmask_b32_e32 v118, v118, v38, vcc_lo
	v_cmp_eq_u32_e32 vcc_lo, 5, v0
	;; [unrolled: 5-line block ×12, first 2 shown]
	v_cndmask_b32_e32 v118, v118, v59, vcc_lo
	s_wait_dscnt 0x0
	s_delay_alu instid0(VALU_DEP_1)
	v_mul_f32_e32 v122, v118, v119
	s_cbranch_execz .LBB25_213
	s_branch .LBB25_214
.LBB25_212:
                                        ; implicit-def: $vgpr122
.LBB25_213:
	ds_load_b32 v122, v121
.LBB25_214:
	s_and_saveexec_b32 s5, s1
	s_cbranch_execz .LBB25_224
; %bb.215:
	v_dual_add_nc_u32 v118, -12, v0 :: v_dual_add_nc_u32 v119, -11, v0
	s_delay_alu instid0(VALU_DEP_1)
	v_cmp_lt_u32_e32 vcc_lo, 6, v118
	v_mov_b32_e32 v118, 11
	s_and_saveexec_b32 s1, vcc_lo
	s_cbranch_execz .LBB25_219
; %bb.216:
	v_and_b32_e32 v118, -8, v119
	s_mov_b32 s6, 0
	s_mov_b64 s[2:3], 18
	s_movk_i32 s7, 0x9c
	s_delay_alu instid0(VALU_DEP_1)
	v_sub_nc_u32_e32 v120, 0, v118
.LBB25_217:                             ; =>This Inner Loop Header: Depth=1
	s_add_co_i32 m0, s2, -7
	v_movrels_b32_e32 v123, v34
	v_mov_b32_e32 v118, s7
	s_add_co_i32 m0, s2, -6
	s_add_co_i32 s7, s7, 32
	v_movrels_b32_e32 v132, v34
	ds_load_2addr_b32 v[124:125], v118 offset1:1
	ds_load_2addr_b32 v[126:127], v118 offset0:2 offset1:3
	s_add_co_i32 m0, s2, -5
	s_wait_dscnt 0x1
	v_fmac_f32_e32 v122, v123, v124
	ds_load_2addr_b32 v[128:129], v118 offset0:4 offset1:5
	ds_load_2addr_b32 v[130:131], v118 offset0:6 offset1:7
	v_movrels_b32_e32 v118, v34
	s_add_co_i32 m0, s2, -4
	v_fmac_f32_e32 v122, v132, v125
	v_movrels_b32_e32 v123, v34
	s_add_co_i32 m0, s2, -3
	s_wait_dscnt 0x2
	s_delay_alu instid0(VALU_DEP_2) | instskip(SKIP_2) | instid1(VALU_DEP_2)
	v_fmac_f32_e32 v122, v118, v126
	v_movrels_b32_e32 v118, v34
	s_add_co_i32 m0, s2, -2
	v_fmac_f32_e32 v122, v123, v127
	v_movrels_b32_e32 v123, v34
	s_add_co_i32 m0, s2, -1
	s_wait_dscnt 0x1
	s_delay_alu instid0(VALU_DEP_2)
	v_fmac_f32_e32 v122, v118, v128
	v_movrels_b32_e32 v118, v34
	s_mov_b32 m0, s2
	s_add_nc_u64 s[2:3], s[2:3], 8
	v_movrels_b32_e32 v124, v34
	v_dual_fmac_f32 v122, v123, v129 :: v_dual_add_nc_u32 v123, s2, v120
	s_add_co_i32 s8, s2, -7
	s_wait_dscnt 0x0
	s_delay_alu instid0(VALU_DEP_1) | instskip(NEXT) | instid1(VALU_DEP_2)
	v_fmac_f32_e32 v122, v118, v130
	v_cmp_eq_u32_e32 vcc_lo, 18, v123
	s_delay_alu instid0(VALU_DEP_2) | instskip(SKIP_1) | instid1(SALU_CYCLE_1)
	v_dual_mov_b32 v118, s8 :: v_dual_fmac_f32 v122, v124, v131
	s_or_b32 s6, vcc_lo, s6
	s_and_not1_b32 exec_lo, exec_lo, s6
	s_cbranch_execnz .LBB25_217
; %bb.218:
	s_or_b32 exec_lo, exec_lo, s6
.LBB25_219:
	s_delay_alu instid0(SALU_CYCLE_1) | instskip(SKIP_3) | instid1(VALU_DEP_1)
	s_or_b32 exec_lo, exec_lo, s1
	v_and_b32_e32 v60, 7, v119
	s_mov_b32 s2, 0
	s_mov_b32 s1, exec_lo
	v_cmpx_ne_u32_e32 0, v60
	s_cbranch_execz .LBB25_223
; %bb.220:
	v_lshl_add_u32 v61, v118, 2, 0x70
	v_mov_b32_e32 v119, 0
.LBB25_221:                             ; =>This Inner Loop Header: Depth=1
	v_cmp_eq_u32_e32 vcc_lo, 1, v118
	ds_load_b32 v63, v61
	v_dual_add_nc_u32 v60, -1, v60 :: v_dual_add_nc_u32 v61, 4, v61
	v_cndmask_b32_e32 v62, v34, v35, vcc_lo
	v_cmp_eq_u32_e32 vcc_lo, 2, v118
	s_delay_alu instid0(VALU_DEP_2) | instskip(SKIP_1) | instid1(VALU_DEP_2)
	v_cndmask_b32_e32 v62, v62, v36, vcc_lo
	v_cmp_eq_u32_e32 vcc_lo, 3, v118
	v_cndmask_b32_e32 v62, v62, v37, vcc_lo
	v_cmp_eq_u32_e32 vcc_lo, 4, v118
	s_delay_alu instid0(VALU_DEP_2) | instskip(SKIP_1) | instid1(VALU_DEP_2)
	v_cndmask_b32_e32 v62, v62, v38, vcc_lo
	v_cmp_eq_u32_e32 vcc_lo, 5, v118
	;; [unrolled: 5-line block ×11, first 2 shown]
	v_cndmask_b32_e32 v62, v62, v57, vcc_lo
	v_cmp_eq_u32_e32 vcc_lo, 24, v118
	s_delay_alu instid0(VALU_DEP_2) | instskip(SKIP_2) | instid1(VALU_DEP_3)
	v_cndmask_b32_e32 v62, v62, v58, vcc_lo
	v_cmp_eq_u32_e32 vcc_lo, 25, v118
	v_add_nc_u64_e32 v[118:119], 1, v[118:119]
	v_cndmask_b32_e32 v62, v62, v59, vcc_lo
	v_cmp_eq_u32_e32 vcc_lo, 0, v60
	s_wait_dscnt 0x0
	s_delay_alu instid0(VALU_DEP_2) | instskip(SKIP_1) | instid1(SALU_CYCLE_1)
	v_fmac_f32_e32 v122, v62, v63
	s_or_b32 s2, vcc_lo, s2
	s_and_not1_b32 exec_lo, exec_lo, s2
	s_cbranch_execnz .LBB25_221
; %bb.222:
	s_or_b32 exec_lo, exec_lo, s2
.LBB25_223:
	s_delay_alu instid0(SALU_CYCLE_1)
	s_or_b32 exec_lo, exec_lo, s1
.LBB25_224:
	s_delay_alu instid0(SALU_CYCLE_1)
	s_or_b32 exec_lo, exec_lo, s5
	v_mov_b32_e32 v44, 0
	ds_load_b32 v44, v44 offset:40
	s_wait_dscnt 0x0
	v_mul_f32_e32 v44, v122, v44
.LBB25_225:
	s_or_b32 exec_lo, exec_lo, s4
	v_cmp_lt_u32_e64 s1, 9, v0
	ds_store_b32 v121, v43
	s_wait_dscnt 0x0
	s_barrier_signal -1
	s_barrier_wait -1
	s_and_saveexec_b32 s4, s1
	s_cbranch_execz .LBB25_241
; %bb.226:
	s_and_not1_b32 vcc_lo, exec_lo, s28
	s_cbranch_vccnz .LBB25_228
; %bb.227:
	v_cmp_eq_u32_e32 vcc_lo, 1, v0
	ds_load_b32 v119, v121
	v_cndmask_b32_e32 v118, v34, v35, vcc_lo
	v_cmp_eq_u32_e32 vcc_lo, 2, v0
	s_delay_alu instid0(VALU_DEP_2) | instskip(SKIP_1) | instid1(VALU_DEP_2)
	v_cndmask_b32_e32 v118, v118, v36, vcc_lo
	v_cmp_eq_u32_e32 vcc_lo, 3, v0
	v_cndmask_b32_e32 v118, v118, v37, vcc_lo
	v_cmp_eq_u32_e32 vcc_lo, 4, v0
	s_delay_alu instid0(VALU_DEP_2) | instskip(SKIP_1) | instid1(VALU_DEP_2)
	v_cndmask_b32_e32 v118, v118, v38, vcc_lo
	v_cmp_eq_u32_e32 vcc_lo, 5, v0
	;; [unrolled: 5-line block ×12, first 2 shown]
	v_cndmask_b32_e32 v118, v118, v59, vcc_lo
	s_wait_dscnt 0x0
	s_delay_alu instid0(VALU_DEP_1)
	v_mul_f32_e32 v122, v118, v119
	s_cbranch_execz .LBB25_229
	s_branch .LBB25_230
.LBB25_228:
                                        ; implicit-def: $vgpr122
.LBB25_229:
	ds_load_b32 v122, v121
.LBB25_230:
	s_and_saveexec_b32 s5, s0
	s_cbranch_execz .LBB25_240
; %bb.231:
	v_dual_add_nc_u32 v118, -11, v0 :: v_dual_add_nc_u32 v119, -10, v0
	s_delay_alu instid0(VALU_DEP_1)
	v_cmp_lt_u32_e32 vcc_lo, 6, v118
	v_mov_b32_e32 v118, 10
	s_and_saveexec_b32 s0, vcc_lo
	s_cbranch_execz .LBB25_235
; %bb.232:
	v_and_b32_e32 v118, -8, v119
	s_mov_b32 s6, 0
	s_mov_b64 s[2:3], 17
	s_movk_i32 s7, 0x98
	s_delay_alu instid0(VALU_DEP_1)
	v_sub_nc_u32_e32 v120, 0, v118
.LBB25_233:                             ; =>This Inner Loop Header: Depth=1
	s_add_co_i32 m0, s2, -7
	v_movrels_b32_e32 v123, v34
	v_mov_b32_e32 v118, s7
	s_add_co_i32 m0, s2, -6
	s_add_co_i32 s7, s7, 32
	v_movrels_b32_e32 v132, v34
	s_add_co_i32 m0, s2, -5
	ds_load_2addr_b64 v[124:127], v118 offset1:1
	ds_load_2addr_b64 v[128:131], v118 offset0:2 offset1:3
	v_movrels_b32_e32 v118, v34
	s_add_co_i32 m0, s2, -4
	s_wait_dscnt 0x1
	v_fmac_f32_e32 v122, v123, v124
	v_movrels_b32_e32 v123, v34
	s_add_co_i32 m0, s2, -3
	s_delay_alu instid0(VALU_DEP_2) | instskip(NEXT) | instid1(VALU_DEP_1)
	v_fmac_f32_e32 v122, v132, v125
	v_fmac_f32_e32 v122, v118, v126
	v_movrels_b32_e32 v118, v34
	s_add_co_i32 m0, s2, -2
	s_delay_alu instid0(VALU_DEP_2) | instskip(SKIP_3) | instid1(VALU_DEP_2)
	v_fmac_f32_e32 v122, v123, v127
	v_movrels_b32_e32 v123, v34
	s_add_co_i32 m0, s2, -1
	s_wait_dscnt 0x0
	v_fmac_f32_e32 v122, v118, v128
	v_movrels_b32_e32 v118, v34
	s_mov_b32 m0, s2
	s_add_nc_u64 s[2:3], s[2:3], 8
	v_movrels_b32_e32 v124, v34
	v_dual_fmac_f32 v122, v123, v129 :: v_dual_add_nc_u32 v123, s2, v120
	s_add_co_i32 s8, s2, -7
	s_delay_alu instid0(VALU_DEP_1) | instskip(NEXT) | instid1(VALU_DEP_2)
	v_fmac_f32_e32 v122, v118, v130
	v_cmp_eq_u32_e32 vcc_lo, 17, v123
	s_delay_alu instid0(VALU_DEP_2) | instskip(SKIP_1) | instid1(SALU_CYCLE_1)
	v_dual_mov_b32 v118, s8 :: v_dual_fmac_f32 v122, v124, v131
	s_or_b32 s6, vcc_lo, s6
	s_and_not1_b32 exec_lo, exec_lo, s6
	s_cbranch_execnz .LBB25_233
; %bb.234:
	s_or_b32 exec_lo, exec_lo, s6
.LBB25_235:
	s_delay_alu instid0(SALU_CYCLE_1) | instskip(SKIP_3) | instid1(VALU_DEP_1)
	s_or_b32 exec_lo, exec_lo, s0
	v_and_b32_e32 v60, 7, v119
	s_mov_b32 s2, 0
	s_mov_b32 s0, exec_lo
	v_cmpx_ne_u32_e32 0, v60
	s_cbranch_execz .LBB25_239
; %bb.236:
	v_lshl_add_u32 v61, v118, 2, 0x70
	v_mov_b32_e32 v119, 0
.LBB25_237:                             ; =>This Inner Loop Header: Depth=1
	v_cmp_eq_u32_e32 vcc_lo, 1, v118
	ds_load_b32 v63, v61
	v_dual_add_nc_u32 v60, -1, v60 :: v_dual_add_nc_u32 v61, 4, v61
	v_cndmask_b32_e32 v62, v34, v35, vcc_lo
	v_cmp_eq_u32_e32 vcc_lo, 2, v118
	s_delay_alu instid0(VALU_DEP_2) | instskip(SKIP_1) | instid1(VALU_DEP_2)
	v_cndmask_b32_e32 v62, v62, v36, vcc_lo
	v_cmp_eq_u32_e32 vcc_lo, 3, v118
	v_cndmask_b32_e32 v62, v62, v37, vcc_lo
	v_cmp_eq_u32_e32 vcc_lo, 4, v118
	s_delay_alu instid0(VALU_DEP_2) | instskip(SKIP_1) | instid1(VALU_DEP_2)
	v_cndmask_b32_e32 v62, v62, v38, vcc_lo
	v_cmp_eq_u32_e32 vcc_lo, 5, v118
	;; [unrolled: 5-line block ×11, first 2 shown]
	v_cndmask_b32_e32 v62, v62, v57, vcc_lo
	v_cmp_eq_u32_e32 vcc_lo, 24, v118
	s_delay_alu instid0(VALU_DEP_2) | instskip(SKIP_2) | instid1(VALU_DEP_3)
	v_cndmask_b32_e32 v62, v62, v58, vcc_lo
	v_cmp_eq_u32_e32 vcc_lo, 25, v118
	v_add_nc_u64_e32 v[118:119], 1, v[118:119]
	v_cndmask_b32_e32 v62, v62, v59, vcc_lo
	v_cmp_eq_u32_e32 vcc_lo, 0, v60
	s_wait_dscnt 0x0
	s_delay_alu instid0(VALU_DEP_2) | instskip(SKIP_1) | instid1(SALU_CYCLE_1)
	v_fmac_f32_e32 v122, v62, v63
	s_or_b32 s2, vcc_lo, s2
	s_and_not1_b32 exec_lo, exec_lo, s2
	s_cbranch_execnz .LBB25_237
; %bb.238:
	s_or_b32 exec_lo, exec_lo, s2
.LBB25_239:
	s_delay_alu instid0(SALU_CYCLE_1)
	s_or_b32 exec_lo, exec_lo, s0
.LBB25_240:
	s_delay_alu instid0(SALU_CYCLE_1)
	s_or_b32 exec_lo, exec_lo, s5
	v_mov_b32_e32 v43, 0
	ds_load_b32 v43, v43 offset:36
	s_wait_dscnt 0x0
	v_mul_f32_e32 v43, v122, v43
.LBB25_241:
	s_or_b32 exec_lo, exec_lo, s4
	v_cmp_lt_u32_e64 s0, 8, v0
	ds_store_b32 v121, v42
	s_wait_dscnt 0x0
	s_barrier_signal -1
	s_barrier_wait -1
	s_and_saveexec_b32 s4, s0
	s_cbranch_execz .LBB25_257
; %bb.242:
	s_and_not1_b32 vcc_lo, exec_lo, s28
	s_cbranch_vccnz .LBB25_244
; %bb.243:
	v_cmp_eq_u32_e32 vcc_lo, 1, v0
	ds_load_b32 v119, v121
	v_cndmask_b32_e32 v118, v34, v35, vcc_lo
	v_cmp_eq_u32_e32 vcc_lo, 2, v0
	s_delay_alu instid0(VALU_DEP_2) | instskip(SKIP_1) | instid1(VALU_DEP_2)
	v_cndmask_b32_e32 v118, v118, v36, vcc_lo
	v_cmp_eq_u32_e32 vcc_lo, 3, v0
	v_cndmask_b32_e32 v118, v118, v37, vcc_lo
	v_cmp_eq_u32_e32 vcc_lo, 4, v0
	s_delay_alu instid0(VALU_DEP_2) | instskip(SKIP_1) | instid1(VALU_DEP_2)
	v_cndmask_b32_e32 v118, v118, v38, vcc_lo
	v_cmp_eq_u32_e32 vcc_lo, 5, v0
	;; [unrolled: 5-line block ×12, first 2 shown]
	v_cndmask_b32_e32 v118, v118, v59, vcc_lo
	s_wait_dscnt 0x0
	s_delay_alu instid0(VALU_DEP_1)
	v_mul_f32_e32 v122, v118, v119
	s_cbranch_execz .LBB25_245
	s_branch .LBB25_246
.LBB25_244:
                                        ; implicit-def: $vgpr122
.LBB25_245:
	ds_load_b32 v122, v121
.LBB25_246:
	s_and_saveexec_b32 s5, s1
	s_cbranch_execz .LBB25_256
; %bb.247:
	v_dual_add_nc_u32 v118, -10, v0 :: v_dual_add_nc_u32 v119, -9, v0
	s_delay_alu instid0(VALU_DEP_1)
	v_cmp_lt_u32_e32 vcc_lo, 6, v118
	v_mov_b32_e32 v118, 9
	s_and_saveexec_b32 s1, vcc_lo
	s_cbranch_execz .LBB25_251
; %bb.248:
	v_and_b32_e32 v118, -8, v119
	s_mov_b32 s6, 0
	s_mov_b64 s[2:3], 16
	s_movk_i32 s7, 0x94
	s_delay_alu instid0(VALU_DEP_1)
	v_sub_nc_u32_e32 v120, 0, v118
.LBB25_249:                             ; =>This Inner Loop Header: Depth=1
	s_add_co_i32 m0, s2, -7
	v_movrels_b32_e32 v123, v34
	v_mov_b32_e32 v118, s7
	s_add_co_i32 m0, s2, -6
	s_add_co_i32 s7, s7, 32
	v_movrels_b32_e32 v132, v34
	ds_load_2addr_b32 v[124:125], v118 offset1:1
	ds_load_2addr_b32 v[126:127], v118 offset0:2 offset1:3
	s_add_co_i32 m0, s2, -5
	s_wait_dscnt 0x1
	v_fmac_f32_e32 v122, v123, v124
	ds_load_2addr_b32 v[128:129], v118 offset0:4 offset1:5
	ds_load_2addr_b32 v[130:131], v118 offset0:6 offset1:7
	v_movrels_b32_e32 v118, v34
	s_add_co_i32 m0, s2, -4
	v_fmac_f32_e32 v122, v132, v125
	v_movrels_b32_e32 v123, v34
	s_add_co_i32 m0, s2, -3
	s_wait_dscnt 0x2
	s_delay_alu instid0(VALU_DEP_2) | instskip(SKIP_2) | instid1(VALU_DEP_2)
	v_fmac_f32_e32 v122, v118, v126
	v_movrels_b32_e32 v118, v34
	s_add_co_i32 m0, s2, -2
	v_fmac_f32_e32 v122, v123, v127
	v_movrels_b32_e32 v123, v34
	s_add_co_i32 m0, s2, -1
	s_wait_dscnt 0x1
	s_delay_alu instid0(VALU_DEP_2)
	v_fmac_f32_e32 v122, v118, v128
	v_movrels_b32_e32 v118, v34
	s_mov_b32 m0, s2
	s_add_nc_u64 s[2:3], s[2:3], 8
	v_movrels_b32_e32 v124, v34
	v_dual_fmac_f32 v122, v123, v129 :: v_dual_add_nc_u32 v123, s2, v120
	s_add_co_i32 s8, s2, -7
	s_wait_dscnt 0x0
	s_delay_alu instid0(VALU_DEP_1) | instskip(NEXT) | instid1(VALU_DEP_2)
	v_fmac_f32_e32 v122, v118, v130
	v_cmp_eq_u32_e32 vcc_lo, 16, v123
	s_delay_alu instid0(VALU_DEP_2) | instskip(SKIP_1) | instid1(SALU_CYCLE_1)
	v_dual_mov_b32 v118, s8 :: v_dual_fmac_f32 v122, v124, v131
	s_or_b32 s6, vcc_lo, s6
	s_and_not1_b32 exec_lo, exec_lo, s6
	s_cbranch_execnz .LBB25_249
; %bb.250:
	s_or_b32 exec_lo, exec_lo, s6
.LBB25_251:
	s_delay_alu instid0(SALU_CYCLE_1) | instskip(SKIP_3) | instid1(VALU_DEP_1)
	s_or_b32 exec_lo, exec_lo, s1
	v_and_b32_e32 v60, 7, v119
	s_mov_b32 s2, 0
	s_mov_b32 s1, exec_lo
	v_cmpx_ne_u32_e32 0, v60
	s_cbranch_execz .LBB25_255
; %bb.252:
	v_lshl_add_u32 v61, v118, 2, 0x70
	v_mov_b32_e32 v119, 0
.LBB25_253:                             ; =>This Inner Loop Header: Depth=1
	v_cmp_eq_u32_e32 vcc_lo, 1, v118
	ds_load_b32 v63, v61
	v_dual_add_nc_u32 v60, -1, v60 :: v_dual_add_nc_u32 v61, 4, v61
	v_cndmask_b32_e32 v62, v34, v35, vcc_lo
	v_cmp_eq_u32_e32 vcc_lo, 2, v118
	s_delay_alu instid0(VALU_DEP_2) | instskip(SKIP_1) | instid1(VALU_DEP_2)
	v_cndmask_b32_e32 v62, v62, v36, vcc_lo
	v_cmp_eq_u32_e32 vcc_lo, 3, v118
	v_cndmask_b32_e32 v62, v62, v37, vcc_lo
	v_cmp_eq_u32_e32 vcc_lo, 4, v118
	s_delay_alu instid0(VALU_DEP_2) | instskip(SKIP_1) | instid1(VALU_DEP_2)
	v_cndmask_b32_e32 v62, v62, v38, vcc_lo
	v_cmp_eq_u32_e32 vcc_lo, 5, v118
	;; [unrolled: 5-line block ×11, first 2 shown]
	v_cndmask_b32_e32 v62, v62, v57, vcc_lo
	v_cmp_eq_u32_e32 vcc_lo, 24, v118
	s_delay_alu instid0(VALU_DEP_2) | instskip(SKIP_2) | instid1(VALU_DEP_3)
	v_cndmask_b32_e32 v62, v62, v58, vcc_lo
	v_cmp_eq_u32_e32 vcc_lo, 25, v118
	v_add_nc_u64_e32 v[118:119], 1, v[118:119]
	v_cndmask_b32_e32 v62, v62, v59, vcc_lo
	v_cmp_eq_u32_e32 vcc_lo, 0, v60
	s_wait_dscnt 0x0
	s_delay_alu instid0(VALU_DEP_2) | instskip(SKIP_1) | instid1(SALU_CYCLE_1)
	v_fmac_f32_e32 v122, v62, v63
	s_or_b32 s2, vcc_lo, s2
	s_and_not1_b32 exec_lo, exec_lo, s2
	s_cbranch_execnz .LBB25_253
; %bb.254:
	s_or_b32 exec_lo, exec_lo, s2
.LBB25_255:
	s_delay_alu instid0(SALU_CYCLE_1)
	s_or_b32 exec_lo, exec_lo, s1
.LBB25_256:
	s_delay_alu instid0(SALU_CYCLE_1)
	s_or_b32 exec_lo, exec_lo, s5
	v_mov_b32_e32 v42, 0
	ds_load_b32 v42, v42 offset:32
	s_wait_dscnt 0x0
	v_mul_f32_e32 v42, v122, v42
.LBB25_257:
	s_or_b32 exec_lo, exec_lo, s4
	v_cmp_lt_u32_e64 s1, 7, v0
	ds_store_b32 v121, v41
	s_wait_dscnt 0x0
	s_barrier_signal -1
	s_barrier_wait -1
	s_and_saveexec_b32 s4, s1
	s_cbranch_execz .LBB25_273
; %bb.258:
	s_and_not1_b32 vcc_lo, exec_lo, s28
	s_cbranch_vccnz .LBB25_260
; %bb.259:
	v_cmp_eq_u32_e32 vcc_lo, 1, v0
	ds_load_b32 v119, v121
	v_cndmask_b32_e32 v118, v34, v35, vcc_lo
	v_cmp_eq_u32_e32 vcc_lo, 2, v0
	s_delay_alu instid0(VALU_DEP_2) | instskip(SKIP_1) | instid1(VALU_DEP_2)
	v_cndmask_b32_e32 v118, v118, v36, vcc_lo
	v_cmp_eq_u32_e32 vcc_lo, 3, v0
	v_cndmask_b32_e32 v118, v118, v37, vcc_lo
	v_cmp_eq_u32_e32 vcc_lo, 4, v0
	s_delay_alu instid0(VALU_DEP_2) | instskip(SKIP_1) | instid1(VALU_DEP_2)
	v_cndmask_b32_e32 v118, v118, v38, vcc_lo
	v_cmp_eq_u32_e32 vcc_lo, 5, v0
	;; [unrolled: 5-line block ×12, first 2 shown]
	v_cndmask_b32_e32 v118, v118, v59, vcc_lo
	s_wait_dscnt 0x0
	s_delay_alu instid0(VALU_DEP_1)
	v_mul_f32_e32 v122, v118, v119
	s_cbranch_execz .LBB25_261
	s_branch .LBB25_262
.LBB25_260:
                                        ; implicit-def: $vgpr122
.LBB25_261:
	ds_load_b32 v122, v121
.LBB25_262:
	s_and_saveexec_b32 s5, s0
	s_cbranch_execz .LBB25_272
; %bb.263:
	v_add_nc_u32_e32 v118, -9, v0
	s_delay_alu instid0(VALU_DEP_1)
	v_cmp_lt_u32_e32 vcc_lo, 6, v118
	v_mov_b32_e32 v118, 8
	s_and_saveexec_b32 s0, vcc_lo
	s_cbranch_execz .LBB25_267
; %bb.264:
	v_and_b32_e32 v118, 24, v0
	s_mov_b32 s6, 0
	s_mov_b64 s[2:3], 15
	s_movk_i32 s7, 0x90
	s_delay_alu instid0(VALU_DEP_1)
	v_sub_nc_u32_e32 v120, 0, v118
.LBB25_265:                             ; =>This Inner Loop Header: Depth=1
	s_add_co_i32 m0, s2, -7
	v_movrels_b32_e32 v119, v34
	v_mov_b32_e32 v118, s7
	s_add_co_i32 m0, s2, -6
	s_add_co_i32 s7, s7, 32
	v_movrels_b32_e32 v123, v34
	s_add_co_i32 m0, s2, -5
	ds_load_b128 v[124:127], v118
	ds_load_b128 v[128:131], v118 offset:16
	v_movrels_b32_e32 v118, v34
	s_add_co_i32 m0, s2, -4
	s_wait_dscnt 0x1
	v_fmac_f32_e32 v122, v119, v124
	v_movrels_b32_e32 v119, v34
	s_add_co_i32 m0, s2, -3
	s_delay_alu instid0(VALU_DEP_2) | instskip(NEXT) | instid1(VALU_DEP_1)
	v_fmac_f32_e32 v122, v123, v125
	v_fmac_f32_e32 v122, v118, v126
	v_movrels_b32_e32 v118, v34
	s_add_co_i32 m0, s2, -2
	s_delay_alu instid0(VALU_DEP_2) | instskip(SKIP_3) | instid1(VALU_DEP_2)
	v_fmac_f32_e32 v122, v119, v127
	v_movrels_b32_e32 v119, v34
	s_add_co_i32 m0, s2, -1
	s_wait_dscnt 0x0
	v_fmac_f32_e32 v122, v118, v128
	v_movrels_b32_e32 v118, v34
	s_mov_b32 m0, s2
	s_add_nc_u64 s[2:3], s[2:3], 8
	v_movrels_b32_e32 v123, v34
	v_dual_fmac_f32 v122, v119, v129 :: v_dual_add_nc_u32 v119, s2, v120
	s_add_co_i32 s8, s2, -7
	s_delay_alu instid0(VALU_DEP_1) | instskip(NEXT) | instid1(VALU_DEP_2)
	v_fmac_f32_e32 v122, v118, v130
	v_cmp_eq_u32_e32 vcc_lo, 7, v119
	s_delay_alu instid0(VALU_DEP_2) | instskip(SKIP_1) | instid1(SALU_CYCLE_1)
	v_dual_mov_b32 v118, s8 :: v_dual_fmac_f32 v122, v123, v131
	s_or_b32 s6, vcc_lo, s6
	s_and_not1_b32 exec_lo, exec_lo, s6
	s_cbranch_execnz .LBB25_265
; %bb.266:
	s_or_b32 exec_lo, exec_lo, s6
.LBB25_267:
	s_delay_alu instid0(SALU_CYCLE_1) | instskip(SKIP_3) | instid1(VALU_DEP_1)
	s_or_b32 exec_lo, exec_lo, s0
	v_and_b32_e32 v60, 7, v0
	s_mov_b32 s2, 0
	s_mov_b32 s0, exec_lo
	v_cmpx_ne_u32_e32 0, v60
	s_cbranch_execz .LBB25_271
; %bb.268:
	v_lshl_add_u32 v61, v118, 2, 0x70
	v_mov_b32_e32 v119, 0
.LBB25_269:                             ; =>This Inner Loop Header: Depth=1
	v_cmp_eq_u32_e32 vcc_lo, 1, v118
	ds_load_b32 v63, v61
	v_dual_add_nc_u32 v60, -1, v60 :: v_dual_add_nc_u32 v61, 4, v61
	v_cndmask_b32_e32 v62, v34, v35, vcc_lo
	v_cmp_eq_u32_e32 vcc_lo, 2, v118
	s_delay_alu instid0(VALU_DEP_2) | instskip(SKIP_1) | instid1(VALU_DEP_2)
	v_cndmask_b32_e32 v62, v62, v36, vcc_lo
	v_cmp_eq_u32_e32 vcc_lo, 3, v118
	v_cndmask_b32_e32 v62, v62, v37, vcc_lo
	v_cmp_eq_u32_e32 vcc_lo, 4, v118
	s_delay_alu instid0(VALU_DEP_2) | instskip(SKIP_1) | instid1(VALU_DEP_2)
	v_cndmask_b32_e32 v62, v62, v38, vcc_lo
	v_cmp_eq_u32_e32 vcc_lo, 5, v118
	;; [unrolled: 5-line block ×11, first 2 shown]
	v_cndmask_b32_e32 v62, v62, v57, vcc_lo
	v_cmp_eq_u32_e32 vcc_lo, 24, v118
	s_delay_alu instid0(VALU_DEP_2) | instskip(SKIP_2) | instid1(VALU_DEP_3)
	v_cndmask_b32_e32 v62, v62, v58, vcc_lo
	v_cmp_eq_u32_e32 vcc_lo, 25, v118
	v_add_nc_u64_e32 v[118:119], 1, v[118:119]
	v_cndmask_b32_e32 v62, v62, v59, vcc_lo
	v_cmp_eq_u32_e32 vcc_lo, 0, v60
	s_wait_dscnt 0x0
	s_delay_alu instid0(VALU_DEP_2) | instskip(SKIP_1) | instid1(SALU_CYCLE_1)
	v_fmac_f32_e32 v122, v62, v63
	s_or_b32 s2, vcc_lo, s2
	s_and_not1_b32 exec_lo, exec_lo, s2
	s_cbranch_execnz .LBB25_269
; %bb.270:
	s_or_b32 exec_lo, exec_lo, s2
.LBB25_271:
	s_delay_alu instid0(SALU_CYCLE_1)
	s_or_b32 exec_lo, exec_lo, s0
.LBB25_272:
	s_delay_alu instid0(SALU_CYCLE_1)
	s_or_b32 exec_lo, exec_lo, s5
	v_mov_b32_e32 v41, 0
	ds_load_b32 v41, v41 offset:28
	s_wait_dscnt 0x0
	v_mul_f32_e32 v41, v122, v41
.LBB25_273:
	s_or_b32 exec_lo, exec_lo, s4
	v_cmp_lt_u32_e64 s0, 6, v0
	ds_store_b32 v121, v40
	s_wait_dscnt 0x0
	s_barrier_signal -1
	s_barrier_wait -1
	s_and_saveexec_b32 s4, s0
	s_cbranch_execz .LBB25_289
; %bb.274:
	s_and_not1_b32 vcc_lo, exec_lo, s28
	s_cbranch_vccnz .LBB25_276
; %bb.275:
	v_cmp_eq_u32_e32 vcc_lo, 1, v0
	ds_load_b32 v119, v121
	v_cndmask_b32_e32 v118, v34, v35, vcc_lo
	v_cmp_eq_u32_e32 vcc_lo, 2, v0
	s_delay_alu instid0(VALU_DEP_2) | instskip(SKIP_1) | instid1(VALU_DEP_2)
	v_cndmask_b32_e32 v118, v118, v36, vcc_lo
	v_cmp_eq_u32_e32 vcc_lo, 3, v0
	v_cndmask_b32_e32 v118, v118, v37, vcc_lo
	v_cmp_eq_u32_e32 vcc_lo, 4, v0
	s_delay_alu instid0(VALU_DEP_2) | instskip(SKIP_1) | instid1(VALU_DEP_2)
	v_cndmask_b32_e32 v118, v118, v38, vcc_lo
	v_cmp_eq_u32_e32 vcc_lo, 5, v0
	;; [unrolled: 5-line block ×12, first 2 shown]
	v_cndmask_b32_e32 v118, v118, v59, vcc_lo
	s_wait_dscnt 0x0
	s_delay_alu instid0(VALU_DEP_1)
	v_mul_f32_e32 v122, v118, v119
	s_cbranch_execz .LBB25_277
	s_branch .LBB25_278
.LBB25_276:
                                        ; implicit-def: $vgpr122
.LBB25_277:
	ds_load_b32 v122, v121
.LBB25_278:
	s_and_saveexec_b32 s5, s1
	s_cbranch_execz .LBB25_288
; %bb.279:
	v_dual_add_nc_u32 v118, -8, v0 :: v_dual_add_nc_u32 v119, -7, v0
	s_delay_alu instid0(VALU_DEP_1)
	v_cmp_lt_u32_e32 vcc_lo, 6, v118
	v_mov_b32_e32 v118, 7
	s_and_saveexec_b32 s1, vcc_lo
	s_cbranch_execz .LBB25_283
; %bb.280:
	v_and_b32_e32 v118, -8, v119
	s_mov_b32 s6, 0
	s_mov_b64 s[2:3], 14
	s_movk_i32 s7, 0x8c
	s_delay_alu instid0(VALU_DEP_1)
	v_sub_nc_u32_e32 v120, 0, v118
.LBB25_281:                             ; =>This Inner Loop Header: Depth=1
	s_add_co_i32 m0, s2, -7
	v_movrels_b32_e32 v123, v34
	v_mov_b32_e32 v118, s7
	s_add_co_i32 m0, s2, -6
	s_add_co_i32 s7, s7, 32
	v_movrels_b32_e32 v132, v34
	ds_load_2addr_b32 v[124:125], v118 offset1:1
	ds_load_2addr_b32 v[126:127], v118 offset0:2 offset1:3
	s_add_co_i32 m0, s2, -5
	s_wait_dscnt 0x1
	v_fmac_f32_e32 v122, v123, v124
	ds_load_2addr_b32 v[128:129], v118 offset0:4 offset1:5
	ds_load_2addr_b32 v[130:131], v118 offset0:6 offset1:7
	v_movrels_b32_e32 v118, v34
	s_add_co_i32 m0, s2, -4
	v_fmac_f32_e32 v122, v132, v125
	v_movrels_b32_e32 v123, v34
	s_add_co_i32 m0, s2, -3
	s_wait_dscnt 0x2
	s_delay_alu instid0(VALU_DEP_2) | instskip(SKIP_2) | instid1(VALU_DEP_2)
	v_fmac_f32_e32 v122, v118, v126
	v_movrels_b32_e32 v118, v34
	s_add_co_i32 m0, s2, -2
	v_fmac_f32_e32 v122, v123, v127
	v_movrels_b32_e32 v123, v34
	s_add_co_i32 m0, s2, -1
	s_wait_dscnt 0x1
	s_delay_alu instid0(VALU_DEP_2)
	v_fmac_f32_e32 v122, v118, v128
	v_movrels_b32_e32 v118, v34
	s_mov_b32 m0, s2
	s_add_nc_u64 s[2:3], s[2:3], 8
	v_movrels_b32_e32 v124, v34
	v_dual_fmac_f32 v122, v123, v129 :: v_dual_add_nc_u32 v123, s2, v120
	s_add_co_i32 s8, s2, -7
	s_wait_dscnt 0x0
	s_delay_alu instid0(VALU_DEP_1) | instskip(NEXT) | instid1(VALU_DEP_2)
	v_fmac_f32_e32 v122, v118, v130
	v_cmp_eq_u32_e32 vcc_lo, 14, v123
	s_delay_alu instid0(VALU_DEP_2) | instskip(SKIP_1) | instid1(SALU_CYCLE_1)
	v_dual_mov_b32 v118, s8 :: v_dual_fmac_f32 v122, v124, v131
	s_or_b32 s6, vcc_lo, s6
	s_and_not1_b32 exec_lo, exec_lo, s6
	s_cbranch_execnz .LBB25_281
; %bb.282:
	s_or_b32 exec_lo, exec_lo, s6
.LBB25_283:
	s_delay_alu instid0(SALU_CYCLE_1) | instskip(SKIP_3) | instid1(VALU_DEP_1)
	s_or_b32 exec_lo, exec_lo, s1
	v_and_b32_e32 v60, 7, v119
	s_mov_b32 s2, 0
	s_mov_b32 s1, exec_lo
	v_cmpx_ne_u32_e32 0, v60
	s_cbranch_execz .LBB25_287
; %bb.284:
	v_lshl_add_u32 v61, v118, 2, 0x70
	v_mov_b32_e32 v119, 0
.LBB25_285:                             ; =>This Inner Loop Header: Depth=1
	v_cmp_eq_u32_e32 vcc_lo, 1, v118
	ds_load_b32 v63, v61
	v_dual_add_nc_u32 v60, -1, v60 :: v_dual_add_nc_u32 v61, 4, v61
	v_cndmask_b32_e32 v62, v34, v35, vcc_lo
	v_cmp_eq_u32_e32 vcc_lo, 2, v118
	s_delay_alu instid0(VALU_DEP_2) | instskip(SKIP_1) | instid1(VALU_DEP_2)
	v_cndmask_b32_e32 v62, v62, v36, vcc_lo
	v_cmp_eq_u32_e32 vcc_lo, 3, v118
	v_cndmask_b32_e32 v62, v62, v37, vcc_lo
	v_cmp_eq_u32_e32 vcc_lo, 4, v118
	s_delay_alu instid0(VALU_DEP_2) | instskip(SKIP_1) | instid1(VALU_DEP_2)
	v_cndmask_b32_e32 v62, v62, v38, vcc_lo
	v_cmp_eq_u32_e32 vcc_lo, 5, v118
	;; [unrolled: 5-line block ×11, first 2 shown]
	v_cndmask_b32_e32 v62, v62, v57, vcc_lo
	v_cmp_eq_u32_e32 vcc_lo, 24, v118
	s_delay_alu instid0(VALU_DEP_2) | instskip(SKIP_2) | instid1(VALU_DEP_3)
	v_cndmask_b32_e32 v62, v62, v58, vcc_lo
	v_cmp_eq_u32_e32 vcc_lo, 25, v118
	v_add_nc_u64_e32 v[118:119], 1, v[118:119]
	v_cndmask_b32_e32 v62, v62, v59, vcc_lo
	v_cmp_eq_u32_e32 vcc_lo, 0, v60
	s_wait_dscnt 0x0
	s_delay_alu instid0(VALU_DEP_2) | instskip(SKIP_1) | instid1(SALU_CYCLE_1)
	v_fmac_f32_e32 v122, v62, v63
	s_or_b32 s2, vcc_lo, s2
	s_and_not1_b32 exec_lo, exec_lo, s2
	s_cbranch_execnz .LBB25_285
; %bb.286:
	s_or_b32 exec_lo, exec_lo, s2
.LBB25_287:
	s_delay_alu instid0(SALU_CYCLE_1)
	s_or_b32 exec_lo, exec_lo, s1
.LBB25_288:
	s_delay_alu instid0(SALU_CYCLE_1)
	s_or_b32 exec_lo, exec_lo, s5
	v_mov_b32_e32 v40, 0
	ds_load_b32 v40, v40 offset:24
	s_wait_dscnt 0x0
	v_mul_f32_e32 v40, v122, v40
.LBB25_289:
	s_or_b32 exec_lo, exec_lo, s4
	v_cmp_lt_u32_e64 s1, 5, v0
	ds_store_b32 v121, v39
	s_wait_dscnt 0x0
	s_barrier_signal -1
	s_barrier_wait -1
	s_and_saveexec_b32 s4, s1
	s_cbranch_execz .LBB25_305
; %bb.290:
	s_and_not1_b32 vcc_lo, exec_lo, s28
	s_cbranch_vccnz .LBB25_292
; %bb.291:
	v_cmp_eq_u32_e32 vcc_lo, 1, v0
	ds_load_b32 v119, v121
	v_cndmask_b32_e32 v118, v34, v35, vcc_lo
	v_cmp_eq_u32_e32 vcc_lo, 2, v0
	s_delay_alu instid0(VALU_DEP_2) | instskip(SKIP_1) | instid1(VALU_DEP_2)
	v_cndmask_b32_e32 v118, v118, v36, vcc_lo
	v_cmp_eq_u32_e32 vcc_lo, 3, v0
	v_cndmask_b32_e32 v118, v118, v37, vcc_lo
	v_cmp_eq_u32_e32 vcc_lo, 4, v0
	s_delay_alu instid0(VALU_DEP_2) | instskip(SKIP_1) | instid1(VALU_DEP_2)
	v_cndmask_b32_e32 v118, v118, v38, vcc_lo
	v_cmp_eq_u32_e32 vcc_lo, 5, v0
	;; [unrolled: 5-line block ×12, first 2 shown]
	v_cndmask_b32_e32 v118, v118, v59, vcc_lo
	s_wait_dscnt 0x0
	s_delay_alu instid0(VALU_DEP_1)
	v_mul_f32_e32 v122, v118, v119
	s_cbranch_execz .LBB25_293
	s_branch .LBB25_294
.LBB25_292:
                                        ; implicit-def: $vgpr122
.LBB25_293:
	ds_load_b32 v122, v121
.LBB25_294:
	s_and_saveexec_b32 s5, s0
	s_cbranch_execz .LBB25_304
; %bb.295:
	v_dual_add_nc_u32 v120, -7, v0 :: v_dual_add_nc_u32 v119, -6, v0
	v_mov_b32_e32 v118, 6
	s_mov_b32 s0, exec_lo
	s_delay_alu instid0(VALU_DEP_2)
	v_cmpx_lt_u32_e32 6, v120
	s_cbranch_execz .LBB25_299
; %bb.296:
	v_and_b32_e32 v118, -8, v119
	s_mov_b32 s6, 0
	s_mov_b64 s[2:3], 13
	s_movk_i32 s7, 0x88
	s_delay_alu instid0(VALU_DEP_1)
	v_sub_nc_u32_e32 v120, 0, v118
.LBB25_297:                             ; =>This Inner Loop Header: Depth=1
	s_add_co_i32 m0, s2, -7
	v_movrels_b32_e32 v123, v34
	v_mov_b32_e32 v118, s7
	s_add_co_i32 m0, s2, -6
	s_add_co_i32 s7, s7, 32
	v_movrels_b32_e32 v132, v34
	s_add_co_i32 m0, s2, -5
	ds_load_2addr_b64 v[124:127], v118 offset1:1
	ds_load_2addr_b64 v[128:131], v118 offset0:2 offset1:3
	v_movrels_b32_e32 v118, v34
	s_add_co_i32 m0, s2, -4
	s_wait_dscnt 0x1
	v_fmac_f32_e32 v122, v123, v124
	v_movrels_b32_e32 v123, v34
	s_add_co_i32 m0, s2, -3
	s_delay_alu instid0(VALU_DEP_2) | instskip(NEXT) | instid1(VALU_DEP_1)
	v_fmac_f32_e32 v122, v132, v125
	v_fmac_f32_e32 v122, v118, v126
	v_movrels_b32_e32 v118, v34
	s_add_co_i32 m0, s2, -2
	s_delay_alu instid0(VALU_DEP_2) | instskip(SKIP_3) | instid1(VALU_DEP_2)
	v_fmac_f32_e32 v122, v123, v127
	v_movrels_b32_e32 v123, v34
	s_add_co_i32 m0, s2, -1
	s_wait_dscnt 0x0
	v_fmac_f32_e32 v122, v118, v128
	v_movrels_b32_e32 v118, v34
	s_mov_b32 m0, s2
	s_add_nc_u64 s[2:3], s[2:3], 8
	v_movrels_b32_e32 v124, v34
	v_dual_fmac_f32 v122, v123, v129 :: v_dual_add_nc_u32 v123, s2, v120
	s_add_co_i32 s8, s2, -7
	s_delay_alu instid0(VALU_DEP_1) | instskip(NEXT) | instid1(VALU_DEP_2)
	v_fmac_f32_e32 v122, v118, v130
	v_cmp_eq_u32_e32 vcc_lo, 13, v123
	s_delay_alu instid0(VALU_DEP_2) | instskip(SKIP_1) | instid1(SALU_CYCLE_1)
	v_dual_mov_b32 v118, s8 :: v_dual_fmac_f32 v122, v124, v131
	s_or_b32 s6, vcc_lo, s6
	s_and_not1_b32 exec_lo, exec_lo, s6
	s_cbranch_execnz .LBB25_297
; %bb.298:
	s_or_b32 exec_lo, exec_lo, s6
.LBB25_299:
	s_delay_alu instid0(SALU_CYCLE_1) | instskip(SKIP_3) | instid1(VALU_DEP_1)
	s_or_b32 exec_lo, exec_lo, s0
	v_and_b32_e32 v60, 7, v119
	s_mov_b32 s2, 0
	s_mov_b32 s0, exec_lo
	v_cmpx_ne_u32_e32 0, v60
	s_cbranch_execz .LBB25_303
; %bb.300:
	v_lshl_add_u32 v61, v118, 2, 0x70
	v_mov_b32_e32 v119, 0
.LBB25_301:                             ; =>This Inner Loop Header: Depth=1
	v_cmp_eq_u32_e32 vcc_lo, 1, v118
	ds_load_b32 v63, v61
	v_dual_add_nc_u32 v60, -1, v60 :: v_dual_add_nc_u32 v61, 4, v61
	v_cndmask_b32_e32 v62, v34, v35, vcc_lo
	v_cmp_eq_u32_e32 vcc_lo, 2, v118
	s_delay_alu instid0(VALU_DEP_2) | instskip(SKIP_1) | instid1(VALU_DEP_2)
	v_cndmask_b32_e32 v62, v62, v36, vcc_lo
	v_cmp_eq_u32_e32 vcc_lo, 3, v118
	v_cndmask_b32_e32 v62, v62, v37, vcc_lo
	v_cmp_eq_u32_e32 vcc_lo, 4, v118
	s_delay_alu instid0(VALU_DEP_2) | instskip(SKIP_1) | instid1(VALU_DEP_2)
	v_cndmask_b32_e32 v62, v62, v38, vcc_lo
	v_cmp_eq_u32_e32 vcc_lo, 5, v118
	;; [unrolled: 5-line block ×11, first 2 shown]
	v_cndmask_b32_e32 v62, v62, v57, vcc_lo
	v_cmp_eq_u32_e32 vcc_lo, 24, v118
	s_delay_alu instid0(VALU_DEP_2) | instskip(SKIP_2) | instid1(VALU_DEP_3)
	v_cndmask_b32_e32 v62, v62, v58, vcc_lo
	v_cmp_eq_u32_e32 vcc_lo, 25, v118
	v_add_nc_u64_e32 v[118:119], 1, v[118:119]
	v_cndmask_b32_e32 v62, v62, v59, vcc_lo
	v_cmp_eq_u32_e32 vcc_lo, 0, v60
	s_wait_dscnt 0x0
	s_delay_alu instid0(VALU_DEP_2) | instskip(SKIP_1) | instid1(SALU_CYCLE_1)
	v_fmac_f32_e32 v122, v62, v63
	s_or_b32 s2, vcc_lo, s2
	s_and_not1_b32 exec_lo, exec_lo, s2
	s_cbranch_execnz .LBB25_301
; %bb.302:
	s_or_b32 exec_lo, exec_lo, s2
.LBB25_303:
	s_delay_alu instid0(SALU_CYCLE_1)
	s_or_b32 exec_lo, exec_lo, s0
.LBB25_304:
	s_delay_alu instid0(SALU_CYCLE_1)
	s_or_b32 exec_lo, exec_lo, s5
	v_mov_b32_e32 v39, 0
	ds_load_b32 v39, v39 offset:20
	s_wait_dscnt 0x0
	v_mul_f32_e32 v39, v122, v39
.LBB25_305:
	s_or_b32 exec_lo, exec_lo, s4
	v_cmp_lt_u32_e64 s0, 4, v0
	ds_store_b32 v121, v38
	s_wait_dscnt 0x0
	s_barrier_signal -1
	s_barrier_wait -1
	s_and_saveexec_b32 s4, s0
	s_cbranch_execz .LBB25_321
; %bb.306:
	s_and_not1_b32 vcc_lo, exec_lo, s28
	s_cbranch_vccnz .LBB25_308
; %bb.307:
	v_cmp_eq_u32_e32 vcc_lo, 1, v0
	ds_load_b32 v119, v121
	v_cndmask_b32_e32 v118, v34, v35, vcc_lo
	v_cmp_eq_u32_e32 vcc_lo, 2, v0
	s_delay_alu instid0(VALU_DEP_2) | instskip(SKIP_1) | instid1(VALU_DEP_2)
	v_cndmask_b32_e32 v118, v118, v36, vcc_lo
	v_cmp_eq_u32_e32 vcc_lo, 3, v0
	v_cndmask_b32_e32 v118, v118, v37, vcc_lo
	v_cmp_eq_u32_e32 vcc_lo, 4, v0
	s_delay_alu instid0(VALU_DEP_2) | instskip(SKIP_1) | instid1(VALU_DEP_2)
	v_cndmask_b32_e32 v118, v118, v38, vcc_lo
	v_cmp_eq_u32_e32 vcc_lo, 5, v0
	;; [unrolled: 5-line block ×12, first 2 shown]
	v_cndmask_b32_e32 v118, v118, v59, vcc_lo
	s_wait_dscnt 0x0
	s_delay_alu instid0(VALU_DEP_1)
	v_mul_f32_e32 v122, v118, v119
	s_cbranch_execz .LBB25_309
	s_branch .LBB25_310
.LBB25_308:
                                        ; implicit-def: $vgpr122
.LBB25_309:
	ds_load_b32 v122, v121
.LBB25_310:
	s_and_saveexec_b32 s5, s1
	s_cbranch_execz .LBB25_320
; %bb.311:
	v_dual_add_nc_u32 v118, -6, v0 :: v_dual_add_nc_u32 v119, -5, v0
	s_delay_alu instid0(VALU_DEP_1)
	v_cmp_lt_u32_e32 vcc_lo, 6, v118
	v_mov_b32_e32 v118, 5
	s_and_saveexec_b32 s1, vcc_lo
	s_cbranch_execz .LBB25_315
; %bb.312:
	v_and_b32_e32 v118, -8, v119
	s_mov_b32 s6, 0
	s_mov_b64 s[2:3], 12
	s_movk_i32 s7, 0x84
	s_delay_alu instid0(VALU_DEP_1)
	v_sub_nc_u32_e32 v120, 0, v118
.LBB25_313:                             ; =>This Inner Loop Header: Depth=1
	s_add_co_i32 m0, s2, -7
	v_movrels_b32_e32 v123, v34
	v_mov_b32_e32 v118, s7
	s_add_co_i32 m0, s2, -6
	s_add_co_i32 s7, s7, 32
	v_movrels_b32_e32 v132, v34
	ds_load_2addr_b32 v[124:125], v118 offset1:1
	ds_load_2addr_b32 v[126:127], v118 offset0:2 offset1:3
	s_add_co_i32 m0, s2, -5
	s_wait_dscnt 0x1
	v_fmac_f32_e32 v122, v123, v124
	ds_load_2addr_b32 v[128:129], v118 offset0:4 offset1:5
	ds_load_2addr_b32 v[130:131], v118 offset0:6 offset1:7
	v_movrels_b32_e32 v118, v34
	s_add_co_i32 m0, s2, -4
	v_fmac_f32_e32 v122, v132, v125
	v_movrels_b32_e32 v123, v34
	s_add_co_i32 m0, s2, -3
	s_wait_dscnt 0x2
	s_delay_alu instid0(VALU_DEP_2) | instskip(SKIP_2) | instid1(VALU_DEP_2)
	v_fmac_f32_e32 v122, v118, v126
	v_movrels_b32_e32 v118, v34
	s_add_co_i32 m0, s2, -2
	v_fmac_f32_e32 v122, v123, v127
	v_movrels_b32_e32 v123, v34
	s_add_co_i32 m0, s2, -1
	s_wait_dscnt 0x1
	s_delay_alu instid0(VALU_DEP_2)
	v_fmac_f32_e32 v122, v118, v128
	v_movrels_b32_e32 v118, v34
	s_mov_b32 m0, s2
	s_add_nc_u64 s[2:3], s[2:3], 8
	v_movrels_b32_e32 v124, v34
	v_dual_fmac_f32 v122, v123, v129 :: v_dual_add_nc_u32 v123, s2, v120
	s_add_co_i32 s8, s2, -7
	s_wait_dscnt 0x0
	s_delay_alu instid0(VALU_DEP_1) | instskip(NEXT) | instid1(VALU_DEP_2)
	v_fmac_f32_e32 v122, v118, v130
	v_cmp_eq_u32_e32 vcc_lo, 12, v123
	s_delay_alu instid0(VALU_DEP_2) | instskip(SKIP_1) | instid1(SALU_CYCLE_1)
	v_dual_mov_b32 v118, s8 :: v_dual_fmac_f32 v122, v124, v131
	s_or_b32 s6, vcc_lo, s6
	s_and_not1_b32 exec_lo, exec_lo, s6
	s_cbranch_execnz .LBB25_313
; %bb.314:
	s_or_b32 exec_lo, exec_lo, s6
.LBB25_315:
	s_delay_alu instid0(SALU_CYCLE_1) | instskip(SKIP_3) | instid1(VALU_DEP_1)
	s_or_b32 exec_lo, exec_lo, s1
	v_and_b32_e32 v60, 7, v119
	s_mov_b32 s2, 0
	s_mov_b32 s1, exec_lo
	v_cmpx_ne_u32_e32 0, v60
	s_cbranch_execz .LBB25_319
; %bb.316:
	v_lshl_add_u32 v61, v118, 2, 0x70
	v_mov_b32_e32 v119, 0
.LBB25_317:                             ; =>This Inner Loop Header: Depth=1
	v_cmp_eq_u32_e32 vcc_lo, 1, v118
	ds_load_b32 v63, v61
	v_dual_add_nc_u32 v60, -1, v60 :: v_dual_add_nc_u32 v61, 4, v61
	v_cndmask_b32_e32 v62, v34, v35, vcc_lo
	v_cmp_eq_u32_e32 vcc_lo, 2, v118
	s_delay_alu instid0(VALU_DEP_2) | instskip(SKIP_1) | instid1(VALU_DEP_2)
	v_cndmask_b32_e32 v62, v62, v36, vcc_lo
	v_cmp_eq_u32_e32 vcc_lo, 3, v118
	v_cndmask_b32_e32 v62, v62, v37, vcc_lo
	v_cmp_eq_u32_e32 vcc_lo, 4, v118
	s_delay_alu instid0(VALU_DEP_2) | instskip(SKIP_1) | instid1(VALU_DEP_2)
	v_cndmask_b32_e32 v62, v62, v38, vcc_lo
	v_cmp_eq_u32_e32 vcc_lo, 5, v118
	;; [unrolled: 5-line block ×11, first 2 shown]
	v_cndmask_b32_e32 v62, v62, v57, vcc_lo
	v_cmp_eq_u32_e32 vcc_lo, 24, v118
	s_delay_alu instid0(VALU_DEP_2) | instskip(SKIP_2) | instid1(VALU_DEP_3)
	v_cndmask_b32_e32 v62, v62, v58, vcc_lo
	v_cmp_eq_u32_e32 vcc_lo, 25, v118
	v_add_nc_u64_e32 v[118:119], 1, v[118:119]
	v_cndmask_b32_e32 v62, v62, v59, vcc_lo
	v_cmp_eq_u32_e32 vcc_lo, 0, v60
	s_wait_dscnt 0x0
	s_delay_alu instid0(VALU_DEP_2) | instskip(SKIP_1) | instid1(SALU_CYCLE_1)
	v_fmac_f32_e32 v122, v62, v63
	s_or_b32 s2, vcc_lo, s2
	s_and_not1_b32 exec_lo, exec_lo, s2
	s_cbranch_execnz .LBB25_317
; %bb.318:
	s_or_b32 exec_lo, exec_lo, s2
.LBB25_319:
	s_delay_alu instid0(SALU_CYCLE_1)
	s_or_b32 exec_lo, exec_lo, s1
.LBB25_320:
	s_delay_alu instid0(SALU_CYCLE_1)
	s_or_b32 exec_lo, exec_lo, s5
	v_mov_b32_e32 v38, 0
	ds_load_b32 v38, v38 offset:16
	s_wait_dscnt 0x0
	v_mul_f32_e32 v38, v122, v38
.LBB25_321:
	s_or_b32 exec_lo, exec_lo, s4
	v_cmp_lt_u32_e64 s1, 3, v0
	ds_store_b32 v121, v37
	s_wait_dscnt 0x0
	s_barrier_signal -1
	s_barrier_wait -1
	s_and_saveexec_b32 s4, s1
	s_cbranch_execz .LBB25_337
; %bb.322:
	s_and_not1_b32 vcc_lo, exec_lo, s28
	s_cbranch_vccnz .LBB25_324
; %bb.323:
	v_cmp_eq_u32_e32 vcc_lo, 1, v0
	ds_load_b32 v119, v121
	v_cndmask_b32_e32 v118, v34, v35, vcc_lo
	v_cmp_eq_u32_e32 vcc_lo, 2, v0
	s_delay_alu instid0(VALU_DEP_2) | instskip(SKIP_1) | instid1(VALU_DEP_2)
	v_cndmask_b32_e32 v118, v118, v36, vcc_lo
	v_cmp_eq_u32_e32 vcc_lo, 3, v0
	v_cndmask_b32_e32 v118, v118, v37, vcc_lo
	v_cmp_eq_u32_e32 vcc_lo, 4, v0
	s_delay_alu instid0(VALU_DEP_2) | instskip(SKIP_1) | instid1(VALU_DEP_2)
	v_cndmask_b32_e32 v118, v118, v38, vcc_lo
	v_cmp_eq_u32_e32 vcc_lo, 5, v0
	;; [unrolled: 5-line block ×12, first 2 shown]
	v_cndmask_b32_e32 v118, v118, v59, vcc_lo
	s_wait_dscnt 0x0
	s_delay_alu instid0(VALU_DEP_1)
	v_mul_f32_e32 v122, v118, v119
	s_cbranch_execz .LBB25_325
	s_branch .LBB25_326
.LBB25_324:
                                        ; implicit-def: $vgpr122
.LBB25_325:
	ds_load_b32 v122, v121
.LBB25_326:
	s_and_saveexec_b32 s5, s0
	s_cbranch_execz .LBB25_336
; %bb.327:
	v_dual_add_nc_u32 v118, -5, v0 :: v_dual_add_nc_u32 v119, -4, v0
	s_delay_alu instid0(VALU_DEP_1)
	v_cmp_lt_u32_e32 vcc_lo, 6, v118
	v_mov_b32_e32 v118, 4
	s_and_saveexec_b32 s0, vcc_lo
	s_cbranch_execz .LBB25_331
; %bb.328:
	v_and_b32_e32 v118, -8, v119
	s_mov_b32 s6, 0
	s_mov_b64 s[2:3], 5
	s_movk_i32 s7, 0x80
	s_delay_alu instid0(VALU_DEP_1)
	v_sub_nc_u32_e32 v120, 0, v118
.LBB25_329:                             ; =>This Inner Loop Header: Depth=1
	s_add_co_i32 m0, s2, -1
	v_movrels_b32_e32 v123, v34
	v_mov_b32_e32 v118, s7
	s_mov_b32 m0, s2
	s_add_co_i32 s7, s7, 32
	v_movrels_b32_e32 v132, v34
	s_add_co_i32 m0, s2, 1
	ds_load_b128 v[124:127], v118
	ds_load_b128 v[128:131], v118 offset:16
	v_movrels_b32_e32 v118, v34
	s_add_co_i32 m0, s2, 2
	s_wait_dscnt 0x1
	v_fmac_f32_e32 v122, v123, v124
	v_movrels_b32_e32 v123, v34
	s_add_co_i32 m0, s2, 3
	s_delay_alu instid0(VALU_DEP_2) | instskip(NEXT) | instid1(VALU_DEP_1)
	v_fmac_f32_e32 v122, v132, v125
	v_fmac_f32_e32 v122, v118, v126
	v_movrels_b32_e32 v118, v34
	s_add_co_i32 m0, s2, 4
	s_delay_alu instid0(VALU_DEP_2) | instskip(SKIP_3) | instid1(VALU_DEP_2)
	v_fmac_f32_e32 v122, v123, v127
	v_movrels_b32_e32 v123, v34
	s_add_co_i32 m0, s2, 5
	s_wait_dscnt 0x0
	v_fmac_f32_e32 v122, v118, v128
	v_movrels_b32_e32 v118, v34
	s_add_co_i32 m0, s2, 6
	s_add_nc_u64 s[2:3], s[2:3], 8
	v_movrels_b32_e32 v124, v34
	v_dual_fmac_f32 v122, v123, v129 :: v_dual_add_nc_u32 v123, s2, v120
	s_add_co_i32 s8, s2, -1
	s_delay_alu instid0(VALU_DEP_1) | instskip(NEXT) | instid1(VALU_DEP_2)
	v_fmac_f32_e32 v122, v118, v130
	v_cmp_eq_u32_e32 vcc_lo, 5, v123
	s_delay_alu instid0(VALU_DEP_2) | instskip(SKIP_1) | instid1(SALU_CYCLE_1)
	v_dual_mov_b32 v118, s8 :: v_dual_fmac_f32 v122, v124, v131
	s_or_b32 s6, vcc_lo, s6
	s_and_not1_b32 exec_lo, exec_lo, s6
	s_cbranch_execnz .LBB25_329
; %bb.330:
	s_or_b32 exec_lo, exec_lo, s6
.LBB25_331:
	s_delay_alu instid0(SALU_CYCLE_1) | instskip(SKIP_3) | instid1(VALU_DEP_1)
	s_or_b32 exec_lo, exec_lo, s0
	v_and_b32_e32 v60, 7, v119
	s_mov_b32 s2, 0
	s_mov_b32 s0, exec_lo
	v_cmpx_ne_u32_e32 0, v60
	s_cbranch_execz .LBB25_335
; %bb.332:
	v_lshl_add_u32 v61, v118, 2, 0x70
	v_mov_b32_e32 v119, 0
.LBB25_333:                             ; =>This Inner Loop Header: Depth=1
	v_cmp_eq_u32_e32 vcc_lo, 1, v118
	ds_load_b32 v63, v61
	v_dual_add_nc_u32 v60, -1, v60 :: v_dual_add_nc_u32 v61, 4, v61
	v_cndmask_b32_e32 v62, v34, v35, vcc_lo
	v_cmp_eq_u32_e32 vcc_lo, 2, v118
	s_delay_alu instid0(VALU_DEP_2) | instskip(SKIP_1) | instid1(VALU_DEP_2)
	v_cndmask_b32_e32 v62, v62, v36, vcc_lo
	v_cmp_eq_u32_e32 vcc_lo, 3, v118
	v_cndmask_b32_e32 v62, v62, v37, vcc_lo
	v_cmp_eq_u32_e32 vcc_lo, 4, v118
	s_delay_alu instid0(VALU_DEP_2) | instskip(SKIP_1) | instid1(VALU_DEP_2)
	v_cndmask_b32_e32 v62, v62, v38, vcc_lo
	v_cmp_eq_u32_e32 vcc_lo, 5, v118
	;; [unrolled: 5-line block ×11, first 2 shown]
	v_cndmask_b32_e32 v62, v62, v57, vcc_lo
	v_cmp_eq_u32_e32 vcc_lo, 24, v118
	s_delay_alu instid0(VALU_DEP_2) | instskip(SKIP_2) | instid1(VALU_DEP_3)
	v_cndmask_b32_e32 v62, v62, v58, vcc_lo
	v_cmp_eq_u32_e32 vcc_lo, 25, v118
	v_add_nc_u64_e32 v[118:119], 1, v[118:119]
	v_cndmask_b32_e32 v62, v62, v59, vcc_lo
	v_cmp_eq_u32_e32 vcc_lo, 0, v60
	s_wait_dscnt 0x0
	s_delay_alu instid0(VALU_DEP_2) | instskip(SKIP_1) | instid1(SALU_CYCLE_1)
	v_fmac_f32_e32 v122, v62, v63
	s_or_b32 s2, vcc_lo, s2
	s_and_not1_b32 exec_lo, exec_lo, s2
	s_cbranch_execnz .LBB25_333
; %bb.334:
	s_or_b32 exec_lo, exec_lo, s2
.LBB25_335:
	s_delay_alu instid0(SALU_CYCLE_1)
	s_or_b32 exec_lo, exec_lo, s0
.LBB25_336:
	s_delay_alu instid0(SALU_CYCLE_1)
	s_or_b32 exec_lo, exec_lo, s5
	v_mov_b32_e32 v37, 0
	ds_load_b32 v37, v37 offset:12
	s_wait_dscnt 0x0
	v_mul_f32_e32 v37, v122, v37
.LBB25_337:
	s_or_b32 exec_lo, exec_lo, s4
	v_cmp_lt_u32_e64 s0, 2, v0
	ds_store_b32 v121, v36
	s_wait_dscnt 0x0
	s_barrier_signal -1
	s_barrier_wait -1
	s_and_saveexec_b32 s4, s0
	s_cbranch_execz .LBB25_353
; %bb.338:
	s_and_not1_b32 vcc_lo, exec_lo, s28
	s_cbranch_vccnz .LBB25_340
; %bb.339:
	v_cmp_eq_u32_e32 vcc_lo, 1, v0
	ds_load_b32 v119, v121
	v_cndmask_b32_e32 v118, v34, v35, vcc_lo
	v_cmp_eq_u32_e32 vcc_lo, 2, v0
	s_delay_alu instid0(VALU_DEP_2) | instskip(SKIP_1) | instid1(VALU_DEP_2)
	v_cndmask_b32_e32 v118, v118, v36, vcc_lo
	v_cmp_eq_u32_e32 vcc_lo, 3, v0
	v_cndmask_b32_e32 v118, v118, v37, vcc_lo
	v_cmp_eq_u32_e32 vcc_lo, 4, v0
	s_delay_alu instid0(VALU_DEP_2) | instskip(SKIP_1) | instid1(VALU_DEP_2)
	v_cndmask_b32_e32 v118, v118, v38, vcc_lo
	v_cmp_eq_u32_e32 vcc_lo, 5, v0
	;; [unrolled: 5-line block ×12, first 2 shown]
	v_cndmask_b32_e32 v118, v118, v59, vcc_lo
	s_wait_dscnt 0x0
	s_delay_alu instid0(VALU_DEP_1)
	v_mul_f32_e32 v122, v118, v119
	s_cbranch_execz .LBB25_341
	s_branch .LBB25_342
.LBB25_340:
                                        ; implicit-def: $vgpr122
.LBB25_341:
	ds_load_b32 v122, v121
.LBB25_342:
	s_and_saveexec_b32 s5, s1
	s_cbranch_execz .LBB25_352
; %bb.343:
	v_dual_add_nc_u32 v118, -4, v0 :: v_dual_add_nc_u32 v119, -3, v0
	s_delay_alu instid0(VALU_DEP_1)
	v_cmp_lt_u32_e32 vcc_lo, 6, v118
	v_mov_b32_e32 v118, 3
	s_and_saveexec_b32 s1, vcc_lo
	s_cbranch_execz .LBB25_347
; %bb.344:
	v_and_b32_e32 v118, -8, v119
	s_mov_b32 s6, 0
	s_mov_b64 s[2:3], 10
	s_movk_i32 s7, 0x7c
	s_delay_alu instid0(VALU_DEP_1)
	v_sub_nc_u32_e32 v120, 0, v118
.LBB25_345:                             ; =>This Inner Loop Header: Depth=1
	s_add_co_i32 m0, s2, -7
	v_movrels_b32_e32 v123, v34
	v_mov_b32_e32 v118, s7
	s_add_co_i32 m0, s2, -6
	s_add_co_i32 s7, s7, 32
	v_movrels_b32_e32 v132, v34
	ds_load_2addr_b32 v[124:125], v118 offset1:1
	ds_load_2addr_b32 v[126:127], v118 offset0:2 offset1:3
	s_add_co_i32 m0, s2, -5
	s_wait_dscnt 0x1
	v_fmac_f32_e32 v122, v123, v124
	ds_load_2addr_b32 v[128:129], v118 offset0:4 offset1:5
	ds_load_2addr_b32 v[130:131], v118 offset0:6 offset1:7
	v_movrels_b32_e32 v118, v34
	s_add_co_i32 m0, s2, -4
	v_fmac_f32_e32 v122, v132, v125
	v_movrels_b32_e32 v123, v34
	s_add_co_i32 m0, s2, -3
	s_wait_dscnt 0x2
	s_delay_alu instid0(VALU_DEP_2) | instskip(SKIP_2) | instid1(VALU_DEP_2)
	v_fmac_f32_e32 v122, v118, v126
	v_movrels_b32_e32 v118, v34
	s_add_co_i32 m0, s2, -2
	v_fmac_f32_e32 v122, v123, v127
	v_movrels_b32_e32 v123, v34
	s_add_co_i32 m0, s2, -1
	s_wait_dscnt 0x1
	s_delay_alu instid0(VALU_DEP_2)
	v_fmac_f32_e32 v122, v118, v128
	v_movrels_b32_e32 v118, v34
	s_mov_b32 m0, s2
	s_add_nc_u64 s[2:3], s[2:3], 8
	v_movrels_b32_e32 v124, v34
	v_dual_fmac_f32 v122, v123, v129 :: v_dual_add_nc_u32 v123, s2, v120
	s_add_co_i32 s8, s2, -7
	s_wait_dscnt 0x0
	s_delay_alu instid0(VALU_DEP_1) | instskip(NEXT) | instid1(VALU_DEP_2)
	v_fmac_f32_e32 v122, v118, v130
	v_cmp_eq_u32_e32 vcc_lo, 10, v123
	s_delay_alu instid0(VALU_DEP_2) | instskip(SKIP_1) | instid1(SALU_CYCLE_1)
	v_dual_mov_b32 v118, s8 :: v_dual_fmac_f32 v122, v124, v131
	s_or_b32 s6, vcc_lo, s6
	s_and_not1_b32 exec_lo, exec_lo, s6
	s_cbranch_execnz .LBB25_345
; %bb.346:
	s_or_b32 exec_lo, exec_lo, s6
.LBB25_347:
	s_delay_alu instid0(SALU_CYCLE_1) | instskip(SKIP_3) | instid1(VALU_DEP_1)
	s_or_b32 exec_lo, exec_lo, s1
	v_and_b32_e32 v60, 7, v119
	s_mov_b32 s2, 0
	s_mov_b32 s1, exec_lo
	v_cmpx_ne_u32_e32 0, v60
	s_cbranch_execz .LBB25_351
; %bb.348:
	v_lshl_add_u32 v61, v118, 2, 0x70
	v_mov_b32_e32 v119, 0
.LBB25_349:                             ; =>This Inner Loop Header: Depth=1
	v_cmp_eq_u32_e32 vcc_lo, 1, v118
	ds_load_b32 v63, v61
	v_dual_add_nc_u32 v60, -1, v60 :: v_dual_add_nc_u32 v61, 4, v61
	v_cndmask_b32_e32 v62, v34, v35, vcc_lo
	v_cmp_eq_u32_e32 vcc_lo, 2, v118
	s_delay_alu instid0(VALU_DEP_2) | instskip(SKIP_1) | instid1(VALU_DEP_2)
	v_cndmask_b32_e32 v62, v62, v36, vcc_lo
	v_cmp_eq_u32_e32 vcc_lo, 3, v118
	v_cndmask_b32_e32 v62, v62, v37, vcc_lo
	v_cmp_eq_u32_e32 vcc_lo, 4, v118
	s_delay_alu instid0(VALU_DEP_2) | instskip(SKIP_1) | instid1(VALU_DEP_2)
	v_cndmask_b32_e32 v62, v62, v38, vcc_lo
	v_cmp_eq_u32_e32 vcc_lo, 5, v118
	;; [unrolled: 5-line block ×11, first 2 shown]
	v_cndmask_b32_e32 v62, v62, v57, vcc_lo
	v_cmp_eq_u32_e32 vcc_lo, 24, v118
	s_delay_alu instid0(VALU_DEP_2) | instskip(SKIP_2) | instid1(VALU_DEP_3)
	v_cndmask_b32_e32 v62, v62, v58, vcc_lo
	v_cmp_eq_u32_e32 vcc_lo, 25, v118
	v_add_nc_u64_e32 v[118:119], 1, v[118:119]
	v_cndmask_b32_e32 v62, v62, v59, vcc_lo
	v_cmp_eq_u32_e32 vcc_lo, 0, v60
	s_wait_dscnt 0x0
	s_delay_alu instid0(VALU_DEP_2) | instskip(SKIP_1) | instid1(SALU_CYCLE_1)
	v_fmac_f32_e32 v122, v62, v63
	s_or_b32 s2, vcc_lo, s2
	s_and_not1_b32 exec_lo, exec_lo, s2
	s_cbranch_execnz .LBB25_349
; %bb.350:
	s_or_b32 exec_lo, exec_lo, s2
.LBB25_351:
	s_delay_alu instid0(SALU_CYCLE_1)
	s_or_b32 exec_lo, exec_lo, s1
.LBB25_352:
	s_delay_alu instid0(SALU_CYCLE_1)
	s_or_b32 exec_lo, exec_lo, s5
	v_mov_b32_e32 v36, 0
	ds_load_b32 v36, v36 offset:8
	s_wait_dscnt 0x0
	v_mul_f32_e32 v36, v122, v36
.LBB25_353:
	s_or_b32 exec_lo, exec_lo, s4
	v_cmp_lt_u32_e64 s1, 1, v0
	ds_store_b32 v121, v35
	s_wait_dscnt 0x0
	s_barrier_signal -1
	s_barrier_wait -1
	s_and_saveexec_b32 s4, s1
	s_cbranch_execz .LBB25_369
; %bb.354:
	s_and_not1_b32 vcc_lo, exec_lo, s28
	s_cbranch_vccnz .LBB25_356
; %bb.355:
	v_cmp_eq_u32_e32 vcc_lo, 1, v0
	ds_load_b32 v119, v121
	v_cndmask_b32_e32 v118, v34, v35, vcc_lo
	v_cmp_eq_u32_e32 vcc_lo, 2, v0
	s_delay_alu instid0(VALU_DEP_2) | instskip(SKIP_1) | instid1(VALU_DEP_2)
	v_cndmask_b32_e32 v118, v118, v36, vcc_lo
	v_cmp_eq_u32_e32 vcc_lo, 3, v0
	v_cndmask_b32_e32 v118, v118, v37, vcc_lo
	v_cmp_eq_u32_e32 vcc_lo, 4, v0
	s_delay_alu instid0(VALU_DEP_2) | instskip(SKIP_1) | instid1(VALU_DEP_2)
	v_cndmask_b32_e32 v118, v118, v38, vcc_lo
	v_cmp_eq_u32_e32 vcc_lo, 5, v0
	;; [unrolled: 5-line block ×12, first 2 shown]
	v_cndmask_b32_e32 v118, v118, v59, vcc_lo
	s_wait_dscnt 0x0
	s_delay_alu instid0(VALU_DEP_1)
	v_mul_f32_e32 v122, v118, v119
	s_cbranch_execz .LBB25_357
	s_branch .LBB25_358
.LBB25_356:
                                        ; implicit-def: $vgpr122
.LBB25_357:
	ds_load_b32 v122, v121
.LBB25_358:
	s_and_saveexec_b32 s5, s0
	s_cbranch_execz .LBB25_368
; %bb.359:
	v_dual_add_nc_u32 v118, -3, v0 :: v_dual_add_nc_u32 v119, -2, v0
	s_delay_alu instid0(VALU_DEP_1)
	v_cmp_lt_u32_e32 vcc_lo, 6, v118
	v_mov_b32_e32 v118, 2
	s_and_saveexec_b32 s0, vcc_lo
	s_cbranch_execz .LBB25_363
; %bb.360:
	v_and_b32_e32 v118, -8, v119
	s_mov_b32 s6, 0
	s_mov_b64 s[2:3], 9
	s_movk_i32 s7, 0x78
	s_delay_alu instid0(VALU_DEP_1)
	v_sub_nc_u32_e32 v120, 0, v118
.LBB25_361:                             ; =>This Inner Loop Header: Depth=1
	s_add_co_i32 m0, s2, -7
	v_movrels_b32_e32 v123, v34
	v_mov_b32_e32 v118, s7
	s_add_co_i32 m0, s2, -6
	s_add_co_i32 s7, s7, 32
	v_movrels_b32_e32 v132, v34
	s_add_co_i32 m0, s2, -5
	ds_load_2addr_b64 v[124:127], v118 offset1:1
	ds_load_2addr_b64 v[128:131], v118 offset0:2 offset1:3
	v_movrels_b32_e32 v118, v34
	s_add_co_i32 m0, s2, -4
	s_wait_dscnt 0x1
	v_fmac_f32_e32 v122, v123, v124
	v_movrels_b32_e32 v123, v34
	s_add_co_i32 m0, s2, -3
	s_delay_alu instid0(VALU_DEP_2) | instskip(NEXT) | instid1(VALU_DEP_1)
	v_fmac_f32_e32 v122, v132, v125
	v_fmac_f32_e32 v122, v118, v126
	v_movrels_b32_e32 v118, v34
	s_add_co_i32 m0, s2, -2
	s_delay_alu instid0(VALU_DEP_2) | instskip(SKIP_3) | instid1(VALU_DEP_2)
	v_fmac_f32_e32 v122, v123, v127
	v_movrels_b32_e32 v123, v34
	s_add_co_i32 m0, s2, -1
	s_wait_dscnt 0x0
	v_fmac_f32_e32 v122, v118, v128
	v_movrels_b32_e32 v118, v34
	s_mov_b32 m0, s2
	s_add_nc_u64 s[2:3], s[2:3], 8
	v_movrels_b32_e32 v124, v34
	v_dual_fmac_f32 v122, v123, v129 :: v_dual_add_nc_u32 v123, s2, v120
	s_add_co_i32 s8, s2, -7
	s_delay_alu instid0(VALU_DEP_1) | instskip(NEXT) | instid1(VALU_DEP_2)
	v_fmac_f32_e32 v122, v118, v130
	v_cmp_eq_u32_e32 vcc_lo, 9, v123
	s_delay_alu instid0(VALU_DEP_2) | instskip(SKIP_1) | instid1(SALU_CYCLE_1)
	v_dual_mov_b32 v118, s8 :: v_dual_fmac_f32 v122, v124, v131
	s_or_b32 s6, vcc_lo, s6
	s_and_not1_b32 exec_lo, exec_lo, s6
	s_cbranch_execnz .LBB25_361
; %bb.362:
	s_or_b32 exec_lo, exec_lo, s6
.LBB25_363:
	s_delay_alu instid0(SALU_CYCLE_1) | instskip(SKIP_3) | instid1(VALU_DEP_1)
	s_or_b32 exec_lo, exec_lo, s0
	v_and_b32_e32 v60, 7, v119
	s_mov_b32 s2, 0
	s_mov_b32 s0, exec_lo
	v_cmpx_ne_u32_e32 0, v60
	s_cbranch_execz .LBB25_367
; %bb.364:
	v_lshl_add_u32 v61, v118, 2, 0x70
	v_mov_b32_e32 v119, 0
.LBB25_365:                             ; =>This Inner Loop Header: Depth=1
	v_cmp_eq_u32_e32 vcc_lo, 1, v118
	ds_load_b32 v63, v61
	v_dual_add_nc_u32 v60, -1, v60 :: v_dual_add_nc_u32 v61, 4, v61
	v_cndmask_b32_e32 v62, v34, v35, vcc_lo
	v_cmp_eq_u32_e32 vcc_lo, 2, v118
	s_delay_alu instid0(VALU_DEP_2) | instskip(SKIP_1) | instid1(VALU_DEP_2)
	v_cndmask_b32_e32 v62, v62, v36, vcc_lo
	v_cmp_eq_u32_e32 vcc_lo, 3, v118
	v_cndmask_b32_e32 v62, v62, v37, vcc_lo
	v_cmp_eq_u32_e32 vcc_lo, 4, v118
	s_delay_alu instid0(VALU_DEP_2) | instskip(SKIP_1) | instid1(VALU_DEP_2)
	v_cndmask_b32_e32 v62, v62, v38, vcc_lo
	v_cmp_eq_u32_e32 vcc_lo, 5, v118
	;; [unrolled: 5-line block ×11, first 2 shown]
	v_cndmask_b32_e32 v62, v62, v57, vcc_lo
	v_cmp_eq_u32_e32 vcc_lo, 24, v118
	s_delay_alu instid0(VALU_DEP_2) | instskip(SKIP_2) | instid1(VALU_DEP_3)
	v_cndmask_b32_e32 v62, v62, v58, vcc_lo
	v_cmp_eq_u32_e32 vcc_lo, 25, v118
	v_add_nc_u64_e32 v[118:119], 1, v[118:119]
	v_cndmask_b32_e32 v62, v62, v59, vcc_lo
	v_cmp_eq_u32_e32 vcc_lo, 0, v60
	s_wait_dscnt 0x0
	s_delay_alu instid0(VALU_DEP_2) | instskip(SKIP_1) | instid1(SALU_CYCLE_1)
	v_fmac_f32_e32 v122, v62, v63
	s_or_b32 s2, vcc_lo, s2
	s_and_not1_b32 exec_lo, exec_lo, s2
	s_cbranch_execnz .LBB25_365
; %bb.366:
	s_or_b32 exec_lo, exec_lo, s2
.LBB25_367:
	s_delay_alu instid0(SALU_CYCLE_1)
	s_or_b32 exec_lo, exec_lo, s0
.LBB25_368:
	s_delay_alu instid0(SALU_CYCLE_1)
	s_or_b32 exec_lo, exec_lo, s5
	v_mov_b32_e32 v35, 0
	ds_load_b32 v35, v35 offset:4
	s_wait_dscnt 0x0
	v_mul_f32_e32 v35, v122, v35
.LBB25_369:
	s_or_b32 exec_lo, exec_lo, s4
	s_mov_b32 s2, 0
	s_mov_b32 s3, exec_lo
	ds_store_b32 v121, v34
	s_wait_dscnt 0x0
	s_barrier_signal -1
	s_barrier_wait -1
	v_cmpx_ne_u32_e32 0, v0
	s_cbranch_execz .LBB25_385
; %bb.370:
	s_and_not1_b32 vcc_lo, exec_lo, s28
	s_cbranch_vccnz .LBB25_372
; %bb.371:
	v_cmp_eq_u32_e32 vcc_lo, 1, v0
	ds_load_b32 v119, v121
	v_cndmask_b32_e32 v118, v34, v35, vcc_lo
	v_cmp_eq_u32_e32 vcc_lo, 2, v0
	s_delay_alu instid0(VALU_DEP_2) | instskip(SKIP_1) | instid1(VALU_DEP_2)
	v_cndmask_b32_e32 v118, v118, v36, vcc_lo
	v_cmp_eq_u32_e32 vcc_lo, 3, v0
	v_cndmask_b32_e32 v118, v118, v37, vcc_lo
	v_cmp_eq_u32_e32 vcc_lo, 4, v0
	s_delay_alu instid0(VALU_DEP_2) | instskip(SKIP_1) | instid1(VALU_DEP_2)
	v_cndmask_b32_e32 v118, v118, v38, vcc_lo
	v_cmp_eq_u32_e32 vcc_lo, 5, v0
	;; [unrolled: 5-line block ×12, first 2 shown]
	v_cndmask_b32_e32 v118, v118, v59, vcc_lo
	s_wait_dscnt 0x0
	s_delay_alu instid0(VALU_DEP_1)
	v_mul_f32_e32 v122, v118, v119
	s_cbranch_execz .LBB25_373
	s_branch .LBB25_374
.LBB25_372:
                                        ; implicit-def: $vgpr122
.LBB25_373:
	ds_load_b32 v122, v121
.LBB25_374:
	s_and_saveexec_b32 s4, s1
	s_cbranch_execz .LBB25_384
; %bb.375:
	v_dual_add_nc_u32 v118, -2, v0 :: v_dual_add_nc_u32 v119, -1, v0
	s_delay_alu instid0(VALU_DEP_1)
	v_cmp_lt_u32_e32 vcc_lo, 6, v118
	v_mov_b32_e32 v118, 1
	s_and_saveexec_b32 s5, vcc_lo
	s_cbranch_execz .LBB25_379
; %bb.376:
	v_and_b32_e32 v118, -8, v119
	s_mov_b32 s6, 0
	s_mov_b64 s[0:1], 8
	s_movk_i32 s7, 0x74
	s_delay_alu instid0(VALU_DEP_1)
	v_sub_nc_u32_e32 v120, 0, v118
.LBB25_377:                             ; =>This Inner Loop Header: Depth=1
	s_add_co_i32 m0, s0, -7
	v_movrels_b32_e32 v123, v34
	v_mov_b32_e32 v118, s7
	s_add_co_i32 m0, s0, -6
	s_add_co_i32 s7, s7, 32
	v_movrels_b32_e32 v132, v34
	ds_load_2addr_b32 v[124:125], v118 offset1:1
	ds_load_2addr_b32 v[126:127], v118 offset0:2 offset1:3
	s_add_co_i32 m0, s0, -5
	s_wait_dscnt 0x1
	v_fmac_f32_e32 v122, v123, v124
	ds_load_2addr_b32 v[128:129], v118 offset0:4 offset1:5
	ds_load_2addr_b32 v[130:131], v118 offset0:6 offset1:7
	v_movrels_b32_e32 v118, v34
	s_add_co_i32 m0, s0, -4
	v_fmac_f32_e32 v122, v132, v125
	v_movrels_b32_e32 v123, v34
	s_add_co_i32 m0, s0, -3
	s_wait_dscnt 0x2
	s_delay_alu instid0(VALU_DEP_2) | instskip(SKIP_2) | instid1(VALU_DEP_2)
	v_fmac_f32_e32 v122, v118, v126
	v_movrels_b32_e32 v118, v34
	s_add_co_i32 m0, s0, -2
	v_fmac_f32_e32 v122, v123, v127
	v_movrels_b32_e32 v123, v34
	s_add_co_i32 m0, s0, -1
	s_wait_dscnt 0x1
	s_delay_alu instid0(VALU_DEP_2)
	v_fmac_f32_e32 v122, v118, v128
	v_movrels_b32_e32 v118, v34
	s_mov_b32 m0, s0
	s_add_nc_u64 s[0:1], s[0:1], 8
	v_movrels_b32_e32 v124, v34
	v_dual_fmac_f32 v122, v123, v129 :: v_dual_add_nc_u32 v123, s0, v120
	s_add_co_i32 s8, s0, -7
	s_wait_dscnt 0x0
	s_delay_alu instid0(VALU_DEP_1) | instskip(NEXT) | instid1(VALU_DEP_2)
	v_fmac_f32_e32 v122, v118, v130
	v_cmp_eq_u32_e32 vcc_lo, 8, v123
	s_delay_alu instid0(VALU_DEP_2) | instskip(SKIP_1) | instid1(SALU_CYCLE_1)
	v_dual_mov_b32 v118, s8 :: v_dual_fmac_f32 v122, v124, v131
	s_or_b32 s6, vcc_lo, s6
	s_and_not1_b32 exec_lo, exec_lo, s6
	s_cbranch_execnz .LBB25_377
; %bb.378:
	s_or_b32 exec_lo, exec_lo, s6
.LBB25_379:
	s_delay_alu instid0(SALU_CYCLE_1) | instskip(SKIP_3) | instid1(VALU_DEP_1)
	s_or_b32 exec_lo, exec_lo, s5
	v_and_b32_e32 v60, 7, v119
	s_mov_b32 s1, 0
	s_mov_b32 s0, exec_lo
	v_cmpx_ne_u32_e32 0, v60
	s_cbranch_execz .LBB25_383
; %bb.380:
	v_lshl_add_u32 v61, v118, 2, 0x70
	v_mov_b32_e32 v119, 0
.LBB25_381:                             ; =>This Inner Loop Header: Depth=1
	v_cmp_eq_u32_e32 vcc_lo, 1, v118
	ds_load_b32 v63, v61
	v_dual_add_nc_u32 v60, -1, v60 :: v_dual_add_nc_u32 v61, 4, v61
	v_cndmask_b32_e32 v62, v34, v35, vcc_lo
	v_cmp_eq_u32_e32 vcc_lo, 2, v118
	s_delay_alu instid0(VALU_DEP_2) | instskip(SKIP_1) | instid1(VALU_DEP_2)
	v_cndmask_b32_e32 v62, v62, v36, vcc_lo
	v_cmp_eq_u32_e32 vcc_lo, 3, v118
	v_cndmask_b32_e32 v62, v62, v37, vcc_lo
	v_cmp_eq_u32_e32 vcc_lo, 4, v118
	s_delay_alu instid0(VALU_DEP_2) | instskip(SKIP_1) | instid1(VALU_DEP_2)
	v_cndmask_b32_e32 v62, v62, v38, vcc_lo
	v_cmp_eq_u32_e32 vcc_lo, 5, v118
	;; [unrolled: 5-line block ×11, first 2 shown]
	v_cndmask_b32_e32 v62, v62, v57, vcc_lo
	v_cmp_eq_u32_e32 vcc_lo, 24, v118
	s_delay_alu instid0(VALU_DEP_2) | instskip(SKIP_2) | instid1(VALU_DEP_3)
	v_cndmask_b32_e32 v62, v62, v58, vcc_lo
	v_cmp_eq_u32_e32 vcc_lo, 25, v118
	v_add_nc_u64_e32 v[118:119], 1, v[118:119]
	v_cndmask_b32_e32 v62, v62, v59, vcc_lo
	v_cmp_eq_u32_e32 vcc_lo, 0, v60
	s_wait_dscnt 0x0
	s_delay_alu instid0(VALU_DEP_2) | instskip(SKIP_1) | instid1(SALU_CYCLE_1)
	v_fmac_f32_e32 v122, v62, v63
	s_or_b32 s1, vcc_lo, s1
	s_and_not1_b32 exec_lo, exec_lo, s1
	s_cbranch_execnz .LBB25_381
; %bb.382:
	s_or_b32 exec_lo, exec_lo, s1
.LBB25_383:
	s_delay_alu instid0(SALU_CYCLE_1)
	s_or_b32 exec_lo, exec_lo, s0
.LBB25_384:
	s_delay_alu instid0(SALU_CYCLE_1)
	s_or_b32 exec_lo, exec_lo, s4
	v_mov_b32_e32 v34, 0
	ds_load_b32 v34, v34
	s_wait_dscnt 0x0
	v_mul_f32_e32 v34, v122, v34
.LBB25_385:
	s_or_b32 exec_lo, exec_lo, s3
	s_delay_alu instid0(SALU_CYCLE_1)
	s_and_b32 vcc_lo, exec_lo, s2
	s_cbranch_vccz .LBB25_639
.LBB25_386:
	v_cmp_eq_u32_e64 s0, 0, v0
	s_wait_loadcnt 0x19
	ds_store_b32 v121, v3
	s_wait_loadcnt_dscnt 0x0
	s_barrier_signal -1
	s_barrier_wait -1
	s_and_saveexec_b32 s1, s0
	s_cbranch_execz .LBB25_392
; %bb.387:
	s_and_b32 vcc_lo, exec_lo, s28
	s_cbranch_vccz .LBB25_389
; %bb.388:
	v_cmp_eq_u32_e32 vcc_lo, 1, v0
	ds_load_b32 v28, v121
	v_cndmask_b32_e32 v3, v2, v3, vcc_lo
	v_cmp_eq_u32_e32 vcc_lo, 2, v0
	s_delay_alu instid0(VALU_DEP_2) | instskip(SKIP_1) | instid1(VALU_DEP_2)
	v_cndmask_b32_e32 v3, v3, v4, vcc_lo
	v_cmp_eq_u32_e32 vcc_lo, 3, v0
	v_cndmask_b32_e32 v3, v3, v5, vcc_lo
	v_cmp_eq_u32_e32 vcc_lo, 4, v0
	s_delay_alu instid0(VALU_DEP_2) | instskip(SKIP_1) | instid1(VALU_DEP_2)
	v_cndmask_b32_e32 v3, v3, v6, vcc_lo
	v_cmp_eq_u32_e32 vcc_lo, 5, v0
	;; [unrolled: 5-line block ×12, first 2 shown]
	v_cndmask_b32_e32 v3, v3, v27, vcc_lo
	s_wait_dscnt 0x0
	s_delay_alu instid0(VALU_DEP_1)
	v_mul_f32_e32 v3, v3, v28
	s_cbranch_execz .LBB25_390
	s_branch .LBB25_391
.LBB25_389:
                                        ; implicit-def: $vgpr3
.LBB25_390:
	ds_load_b32 v3, v121
.LBB25_391:
	v_mov_b32_e32 v28, 0
	ds_load_b32 v28, v28 offset:4
	s_wait_dscnt 0x0
	v_mul_f32_e32 v3, v3, v28
.LBB25_392:
	s_or_b32 exec_lo, exec_lo, s1
	v_cndmask_b32_e64 v34, 0, 1, s28
	s_mov_b32 s1, exec_lo
	ds_store_b32 v121, v4
	s_wait_dscnt 0x0
	s_barrier_signal -1
	s_barrier_wait -1
	v_cmpx_gt_u32_e32 2, v0
	s_cbranch_execz .LBB25_398
; %bb.393:
	s_and_not1_b32 vcc_lo, exec_lo, s28
	s_cbranch_vccnz .LBB25_395
; %bb.394:
	v_cmp_eq_u32_e32 vcc_lo, 1, v0
	v_cndmask_b32_e32 v28, v2, v3, vcc_lo
	v_cmp_eq_u32_e32 vcc_lo, 2, v0
	s_delay_alu instid0(VALU_DEP_2) | instskip(SKIP_4) | instid1(VALU_DEP_2)
	v_cndmask_b32_e32 v4, v28, v4, vcc_lo
	v_cmp_eq_u32_e32 vcc_lo, 3, v0
	ds_load_b32 v28, v121
	v_cndmask_b32_e32 v4, v4, v5, vcc_lo
	v_cmp_eq_u32_e32 vcc_lo, 4, v0
	v_cndmask_b32_e32 v4, v4, v6, vcc_lo
	v_cmp_eq_u32_e32 vcc_lo, 5, v0
	s_delay_alu instid0(VALU_DEP_2) | instskip(SKIP_1) | instid1(VALU_DEP_2)
	v_cndmask_b32_e32 v4, v4, v7, vcc_lo
	v_cmp_eq_u32_e32 vcc_lo, 6, v0
	v_cndmask_b32_e32 v4, v4, v8, vcc_lo
	v_cmp_eq_u32_e32 vcc_lo, 7, v0
	s_delay_alu instid0(VALU_DEP_2) | instskip(SKIP_1) | instid1(VALU_DEP_2)
	;; [unrolled: 5-line block ×10, first 2 shown]
	v_cndmask_b32_e32 v4, v4, v25, vcc_lo
	v_cmp_eq_u32_e32 vcc_lo, 24, v0
	v_cndmask_b32_e32 v4, v4, v26, vcc_lo
	v_cmp_eq_u32_e32 vcc_lo, 25, v0
	s_delay_alu instid0(VALU_DEP_2) | instskip(SKIP_1) | instid1(VALU_DEP_1)
	v_cndmask_b32_e32 v4, v4, v27, vcc_lo
	s_wait_dscnt 0x0
	v_mul_f32_e32 v4, v4, v28
	s_cbranch_execz .LBB25_396
	s_branch .LBB25_397
.LBB25_395:
                                        ; implicit-def: $vgpr4
.LBB25_396:
	ds_load_b32 v4, v121
.LBB25_397:
	v_mov_b32_e32 v28, 0
	ds_load_2addr_b32 v[28:29], v28 offset0:2 offset1:29
	s_wait_dscnt 0x0
	v_fma_f32 v29, v3, v29, v4
	s_delay_alu instid0(VALU_DEP_1) | instskip(NEXT) | instid1(VALU_DEP_1)
	v_cndmask_b32_e64 v4, v4, v29, s0
	v_mul_f32_e32 v4, v4, v28
.LBB25_398:
	s_or_b32 exec_lo, exec_lo, s1
	v_add_nc_u32_e32 v35, 1, v0
	v_cmp_gt_u32_e64 s1, 3, v0
	ds_store_b32 v121, v5
	s_wait_dscnt 0x0
	s_barrier_signal -1
	s_barrier_wait -1
	s_and_saveexec_b32 s2, s1
	s_cbranch_execz .LBB25_406
; %bb.399:
	v_cmp_ne_u32_e32 vcc_lo, 1, v34
	s_cbranch_vccnz .LBB25_401
; %bb.400:
	v_cmp_eq_u32_e32 vcc_lo, 1, v0
	ds_load_b32 v29, v121
	v_cndmask_b32_e32 v28, v2, v3, vcc_lo
	v_cmp_eq_u32_e32 vcc_lo, 2, v0
	s_delay_alu instid0(VALU_DEP_2) | instskip(SKIP_1) | instid1(VALU_DEP_2)
	v_cndmask_b32_e32 v28, v28, v4, vcc_lo
	v_cmp_eq_u32_e32 vcc_lo, 3, v0
	v_cndmask_b32_e32 v28, v28, v5, vcc_lo
	v_cmp_eq_u32_e32 vcc_lo, 4, v0
	s_delay_alu instid0(VALU_DEP_2) | instskip(SKIP_1) | instid1(VALU_DEP_2)
	v_cndmask_b32_e32 v28, v28, v6, vcc_lo
	v_cmp_eq_u32_e32 vcc_lo, 5, v0
	;; [unrolled: 5-line block ×12, first 2 shown]
	v_cndmask_b32_e32 v28, v28, v27, vcc_lo
	s_wait_dscnt 0x0
	s_delay_alu instid0(VALU_DEP_1)
	v_mul_f32_e32 v28, v28, v29
	s_cbranch_execz .LBB25_402
	s_branch .LBB25_403
.LBB25_401:
                                        ; implicit-def: $vgpr28
.LBB25_402:
	ds_load_b32 v28, v121
.LBB25_403:
	s_mov_b32 s3, exec_lo
	v_cmpx_ne_u32_e32 2, v0
	s_cbranch_execz .LBB25_405
; %bb.404:
	v_cmp_eq_u32_e32 vcc_lo, 1, v35
	v_dual_mov_b32 v30, 0 :: v_dual_cndmask_b32 v29, v2, v3
	v_cmp_eq_u32_e32 vcc_lo, 2, v35
	ds_load_b32 v30, v30 offset:120
	v_cndmask_b32_e32 v29, v29, v4, vcc_lo
	v_cmp_eq_u32_e32 vcc_lo, 3, v35
	s_delay_alu instid0(VALU_DEP_2) | instskip(SKIP_4) | instid1(VALU_DEP_2)
	v_cndmask_b32_e32 v5, v29, v5, vcc_lo
	v_cmp_eq_u32_e32 vcc_lo, 4, v35
	ds_load_b32 v29, v121 offset:4
	v_cndmask_b32_e32 v5, v5, v6, vcc_lo
	v_cmp_eq_u32_e32 vcc_lo, 5, v35
	v_cndmask_b32_e32 v5, v5, v7, vcc_lo
	v_cmp_eq_u32_e32 vcc_lo, 6, v35
	s_delay_alu instid0(VALU_DEP_2) | instskip(SKIP_1) | instid1(VALU_DEP_2)
	v_cndmask_b32_e32 v5, v5, v8, vcc_lo
	v_cmp_eq_u32_e32 vcc_lo, 7, v35
	v_cndmask_b32_e32 v5, v5, v9, vcc_lo
	v_cmp_eq_u32_e32 vcc_lo, 8, v35
	s_delay_alu instid0(VALU_DEP_2) | instskip(SKIP_1) | instid1(VALU_DEP_2)
	;; [unrolled: 5-line block ×10, first 2 shown]
	v_cndmask_b32_e32 v5, v5, v26, vcc_lo
	v_cmp_eq_u32_e32 vcc_lo, 25, v35
	v_cndmask_b32_e32 v5, v5, v27, vcc_lo
	s_wait_dscnt 0x0
	s_delay_alu instid0(VALU_DEP_1) | instskip(NEXT) | instid1(VALU_DEP_1)
	v_fmac_f32_e32 v28, v5, v29
	v_fma_f32 v5, v4, v30, v28
	s_delay_alu instid0(VALU_DEP_1)
	v_cndmask_b32_e64 v28, v28, v5, s0
.LBB25_405:
	s_or_b32 exec_lo, exec_lo, s3
	v_mov_b32_e32 v5, 0
	ds_load_b32 v5, v5 offset:12
	s_wait_dscnt 0x0
	v_mul_f32_e32 v5, v28, v5
.LBB25_406:
	s_or_b32 exec_lo, exec_lo, s2
	s_delay_alu instid0(SALU_CYCLE_1)
	s_mov_b32 s2, exec_lo
	ds_store_b32 v121, v6
	s_wait_dscnt 0x0
	s_barrier_signal -1
	s_barrier_wait -1
	v_cmpx_gt_u32_e32 4, v0
	s_cbranch_execz .LBB25_416
; %bb.407:
	v_cmp_ne_u32_e32 vcc_lo, 1, v34
	s_cbranch_vccnz .LBB25_409
; %bb.408:
	v_cmp_eq_u32_e32 vcc_lo, 1, v0
	ds_load_b32 v29, v121
	v_cndmask_b32_e32 v28, v2, v3, vcc_lo
	v_cmp_eq_u32_e32 vcc_lo, 2, v0
	s_delay_alu instid0(VALU_DEP_2) | instskip(SKIP_1) | instid1(VALU_DEP_2)
	v_cndmask_b32_e32 v28, v28, v4, vcc_lo
	v_cmp_eq_u32_e32 vcc_lo, 3, v0
	v_cndmask_b32_e32 v28, v28, v5, vcc_lo
	v_cmp_eq_u32_e32 vcc_lo, 4, v0
	s_delay_alu instid0(VALU_DEP_2) | instskip(SKIP_1) | instid1(VALU_DEP_2)
	v_cndmask_b32_e32 v28, v28, v6, vcc_lo
	v_cmp_eq_u32_e32 vcc_lo, 5, v0
	;; [unrolled: 5-line block ×12, first 2 shown]
	v_cndmask_b32_e32 v28, v28, v27, vcc_lo
	s_wait_dscnt 0x0
	s_delay_alu instid0(VALU_DEP_1)
	v_mul_f32_e32 v30, v28, v29
	s_cbranch_execz .LBB25_410
	s_branch .LBB25_411
.LBB25_409:
                                        ; implicit-def: $vgpr30
.LBB25_410:
	ds_load_b32 v30, v121
.LBB25_411:
	s_mov_b32 s3, exec_lo
	v_cmpx_ne_u32_e32 3, v0
	s_cbranch_execz .LBB25_415
; %bb.412:
	v_mov_b64_e32 v[28:29], v[0:1]
	v_lshl_add_u32 v31, v0, 2, 0x74
	s_mov_b32 s4, 0
.LBB25_413:                             ; =>This Inner Loop Header: Depth=1
	s_delay_alu instid0(VALU_DEP_2)
	v_add_nc_u64_e32 v[28:29], 1, v[28:29]
	ds_load_b32 v33, v31
	v_add_nc_u32_e32 v31, 4, v31
	v_cmp_eq_u32_e32 vcc_lo, 1, v28
	v_cndmask_b32_e32 v32, v2, v3, vcc_lo
	v_cmp_eq_u32_e32 vcc_lo, 2, v28
	s_delay_alu instid0(VALU_DEP_2) | instskip(SKIP_1) | instid1(VALU_DEP_2)
	v_cndmask_b32_e32 v32, v32, v4, vcc_lo
	v_cmp_eq_u32_e32 vcc_lo, 3, v28
	v_cndmask_b32_e32 v32, v32, v5, vcc_lo
	v_cmp_eq_u32_e32 vcc_lo, 4, v28
	s_delay_alu instid0(VALU_DEP_2) | instskip(SKIP_1) | instid1(VALU_DEP_2)
	v_cndmask_b32_e32 v32, v32, v6, vcc_lo
	;; [unrolled: 5-line block ×12, first 2 shown]
	v_cmp_eq_u32_e32 vcc_lo, 25, v28
	v_cndmask_b32_e32 v32, v32, v27, vcc_lo
	v_cmp_lt_u32_e32 vcc_lo, 2, v28
	s_wait_dscnt 0x0
	s_delay_alu instid0(VALU_DEP_2) | instskip(SKIP_1) | instid1(SALU_CYCLE_1)
	v_fmac_f32_e32 v30, v32, v33
	s_or_b32 s4, vcc_lo, s4
	s_and_not1_b32 exec_lo, exec_lo, s4
	s_cbranch_execnz .LBB25_413
; %bb.414:
	s_or_b32 exec_lo, exec_lo, s4
.LBB25_415:
	s_delay_alu instid0(SALU_CYCLE_1)
	s_or_b32 exec_lo, exec_lo, s3
	v_mov_b32_e32 v6, 0
	ds_load_b32 v6, v6 offset:16
	s_wait_dscnt 0x0
	v_mul_f32_e32 v6, v30, v6
.LBB25_416:
	s_or_b32 exec_lo, exec_lo, s2
	v_cmp_gt_u32_e64 s2, 5, v0
	ds_store_b32 v121, v7
	s_wait_dscnt 0x0
	s_barrier_signal -1
	s_barrier_wait -1
	s_and_saveexec_b32 s3, s2
	s_cbranch_execz .LBB25_426
; %bb.417:
	v_cmp_ne_u32_e32 vcc_lo, 1, v34
	s_cbranch_vccnz .LBB25_419
; %bb.418:
	v_cmp_eq_u32_e32 vcc_lo, 1, v0
	ds_load_b32 v29, v121
	v_cndmask_b32_e32 v28, v2, v3, vcc_lo
	v_cmp_eq_u32_e32 vcc_lo, 2, v0
	s_delay_alu instid0(VALU_DEP_2) | instskip(SKIP_1) | instid1(VALU_DEP_2)
	v_cndmask_b32_e32 v28, v28, v4, vcc_lo
	v_cmp_eq_u32_e32 vcc_lo, 3, v0
	v_cndmask_b32_e32 v28, v28, v5, vcc_lo
	v_cmp_eq_u32_e32 vcc_lo, 4, v0
	s_delay_alu instid0(VALU_DEP_2) | instskip(SKIP_1) | instid1(VALU_DEP_2)
	v_cndmask_b32_e32 v28, v28, v6, vcc_lo
	v_cmp_eq_u32_e32 vcc_lo, 5, v0
	;; [unrolled: 5-line block ×12, first 2 shown]
	v_cndmask_b32_e32 v28, v28, v27, vcc_lo
	s_wait_dscnt 0x0
	s_delay_alu instid0(VALU_DEP_1)
	v_mul_f32_e32 v30, v28, v29
	s_cbranch_execz .LBB25_420
	s_branch .LBB25_421
.LBB25_419:
                                        ; implicit-def: $vgpr30
.LBB25_420:
	ds_load_b32 v30, v121
.LBB25_421:
	s_mov_b32 s4, exec_lo
	v_cmpx_ne_u32_e32 4, v0
	s_cbranch_execz .LBB25_425
; %bb.422:
	v_mov_b64_e32 v[28:29], v[0:1]
	v_lshl_add_u32 v31, v0, 2, 0x74
	s_mov_b32 s5, 0
.LBB25_423:                             ; =>This Inner Loop Header: Depth=1
	s_delay_alu instid0(VALU_DEP_2)
	v_add_nc_u64_e32 v[28:29], 1, v[28:29]
	ds_load_b32 v33, v31
	v_add_nc_u32_e32 v31, 4, v31
	v_cmp_eq_u32_e32 vcc_lo, 1, v28
	v_cndmask_b32_e32 v32, v2, v3, vcc_lo
	v_cmp_eq_u32_e32 vcc_lo, 2, v28
	s_delay_alu instid0(VALU_DEP_2) | instskip(SKIP_1) | instid1(VALU_DEP_2)
	v_cndmask_b32_e32 v32, v32, v4, vcc_lo
	v_cmp_eq_u32_e32 vcc_lo, 3, v28
	v_cndmask_b32_e32 v32, v32, v5, vcc_lo
	v_cmp_eq_u32_e32 vcc_lo, 4, v28
	s_delay_alu instid0(VALU_DEP_2) | instskip(SKIP_1) | instid1(VALU_DEP_2)
	v_cndmask_b32_e32 v32, v32, v6, vcc_lo
	;; [unrolled: 5-line block ×12, first 2 shown]
	v_cmp_eq_u32_e32 vcc_lo, 25, v28
	v_cndmask_b32_e32 v32, v32, v27, vcc_lo
	v_cmp_lt_u32_e32 vcc_lo, 3, v28
	s_wait_dscnt 0x0
	s_delay_alu instid0(VALU_DEP_2) | instskip(SKIP_1) | instid1(SALU_CYCLE_1)
	v_fmac_f32_e32 v30, v32, v33
	s_or_b32 s5, vcc_lo, s5
	s_and_not1_b32 exec_lo, exec_lo, s5
	s_cbranch_execnz .LBB25_423
; %bb.424:
	s_or_b32 exec_lo, exec_lo, s5
.LBB25_425:
	s_delay_alu instid0(SALU_CYCLE_1)
	s_or_b32 exec_lo, exec_lo, s4
	v_mov_b32_e32 v7, 0
	ds_load_b32 v7, v7 offset:20
	s_wait_dscnt 0x0
	v_mul_f32_e32 v7, v30, v7
.LBB25_426:
	s_or_b32 exec_lo, exec_lo, s3
	s_delay_alu instid0(SALU_CYCLE_1)
	s_mov_b32 s3, exec_lo
	ds_store_b32 v121, v8
	s_wait_dscnt 0x0
	s_barrier_signal -1
	s_barrier_wait -1
	v_cmpx_gt_u32_e32 6, v0
	s_cbranch_execz .LBB25_436
; %bb.427:
	v_cmp_ne_u32_e32 vcc_lo, 1, v34
	s_cbranch_vccnz .LBB25_429
; %bb.428:
	v_cmp_eq_u32_e32 vcc_lo, 1, v0
	ds_load_b32 v29, v121
	v_cndmask_b32_e32 v28, v2, v3, vcc_lo
	v_cmp_eq_u32_e32 vcc_lo, 2, v0
	s_delay_alu instid0(VALU_DEP_2) | instskip(SKIP_1) | instid1(VALU_DEP_2)
	v_cndmask_b32_e32 v28, v28, v4, vcc_lo
	v_cmp_eq_u32_e32 vcc_lo, 3, v0
	v_cndmask_b32_e32 v28, v28, v5, vcc_lo
	v_cmp_eq_u32_e32 vcc_lo, 4, v0
	s_delay_alu instid0(VALU_DEP_2) | instskip(SKIP_1) | instid1(VALU_DEP_2)
	v_cndmask_b32_e32 v28, v28, v6, vcc_lo
	v_cmp_eq_u32_e32 vcc_lo, 5, v0
	;; [unrolled: 5-line block ×12, first 2 shown]
	v_cndmask_b32_e32 v28, v28, v27, vcc_lo
	s_wait_dscnt 0x0
	s_delay_alu instid0(VALU_DEP_1)
	v_mul_f32_e32 v30, v28, v29
	s_cbranch_execz .LBB25_430
	s_branch .LBB25_431
.LBB25_429:
                                        ; implicit-def: $vgpr30
.LBB25_430:
	ds_load_b32 v30, v121
.LBB25_431:
	s_mov_b32 s4, exec_lo
	v_cmpx_ne_u32_e32 5, v0
	s_cbranch_execz .LBB25_435
; %bb.432:
	v_mov_b64_e32 v[28:29], v[0:1]
	v_lshl_add_u32 v31, v0, 2, 0x74
	s_mov_b32 s5, 0
.LBB25_433:                             ; =>This Inner Loop Header: Depth=1
	s_delay_alu instid0(VALU_DEP_2)
	v_add_nc_u64_e32 v[28:29], 1, v[28:29]
	ds_load_b32 v33, v31
	v_add_nc_u32_e32 v31, 4, v31
	v_cmp_eq_u32_e32 vcc_lo, 1, v28
	v_cndmask_b32_e32 v32, v2, v3, vcc_lo
	v_cmp_eq_u32_e32 vcc_lo, 2, v28
	s_delay_alu instid0(VALU_DEP_2) | instskip(SKIP_1) | instid1(VALU_DEP_2)
	v_cndmask_b32_e32 v32, v32, v4, vcc_lo
	v_cmp_eq_u32_e32 vcc_lo, 3, v28
	v_cndmask_b32_e32 v32, v32, v5, vcc_lo
	v_cmp_eq_u32_e32 vcc_lo, 4, v28
	s_delay_alu instid0(VALU_DEP_2) | instskip(SKIP_1) | instid1(VALU_DEP_2)
	v_cndmask_b32_e32 v32, v32, v6, vcc_lo
	;; [unrolled: 5-line block ×12, first 2 shown]
	v_cmp_eq_u32_e32 vcc_lo, 25, v28
	v_cndmask_b32_e32 v32, v32, v27, vcc_lo
	v_cmp_lt_u32_e32 vcc_lo, 4, v28
	s_wait_dscnt 0x0
	s_delay_alu instid0(VALU_DEP_2) | instskip(SKIP_1) | instid1(SALU_CYCLE_1)
	v_fmac_f32_e32 v30, v32, v33
	s_or_b32 s5, vcc_lo, s5
	s_and_not1_b32 exec_lo, exec_lo, s5
	s_cbranch_execnz .LBB25_433
; %bb.434:
	s_or_b32 exec_lo, exec_lo, s5
.LBB25_435:
	s_delay_alu instid0(SALU_CYCLE_1)
	s_or_b32 exec_lo, exec_lo, s4
	v_mov_b32_e32 v8, 0
	ds_load_b32 v8, v8 offset:24
	s_wait_dscnt 0x0
	v_mul_f32_e32 v8, v30, v8
.LBB25_436:
	s_or_b32 exec_lo, exec_lo, s3
	v_cmp_gt_u32_e64 s3, 7, v0
	ds_store_b32 v121, v9
	s_wait_dscnt 0x0
	s_barrier_signal -1
	s_barrier_wait -1
	s_and_saveexec_b32 s4, s3
	s_cbranch_execz .LBB25_446
; %bb.437:
	v_cmp_ne_u32_e32 vcc_lo, 1, v34
	s_cbranch_vccnz .LBB25_439
; %bb.438:
	v_cmp_eq_u32_e32 vcc_lo, 1, v0
	ds_load_b32 v29, v121
	v_cndmask_b32_e32 v28, v2, v3, vcc_lo
	v_cmp_eq_u32_e32 vcc_lo, 2, v0
	s_delay_alu instid0(VALU_DEP_2) | instskip(SKIP_1) | instid1(VALU_DEP_2)
	v_cndmask_b32_e32 v28, v28, v4, vcc_lo
	v_cmp_eq_u32_e32 vcc_lo, 3, v0
	v_cndmask_b32_e32 v28, v28, v5, vcc_lo
	v_cmp_eq_u32_e32 vcc_lo, 4, v0
	s_delay_alu instid0(VALU_DEP_2) | instskip(SKIP_1) | instid1(VALU_DEP_2)
	v_cndmask_b32_e32 v28, v28, v6, vcc_lo
	v_cmp_eq_u32_e32 vcc_lo, 5, v0
	;; [unrolled: 5-line block ×12, first 2 shown]
	v_cndmask_b32_e32 v28, v28, v27, vcc_lo
	s_wait_dscnt 0x0
	s_delay_alu instid0(VALU_DEP_1)
	v_mul_f32_e32 v30, v28, v29
	s_cbranch_execz .LBB25_440
	s_branch .LBB25_441
.LBB25_439:
                                        ; implicit-def: $vgpr30
.LBB25_440:
	ds_load_b32 v30, v121
.LBB25_441:
	s_mov_b32 s5, exec_lo
	v_cmpx_ne_u32_e32 6, v0
	s_cbranch_execz .LBB25_445
; %bb.442:
	v_mov_b64_e32 v[28:29], v[0:1]
	v_lshl_add_u32 v31, v0, 2, 0x74
	s_mov_b32 s6, 0
.LBB25_443:                             ; =>This Inner Loop Header: Depth=1
	s_delay_alu instid0(VALU_DEP_2)
	v_add_nc_u64_e32 v[28:29], 1, v[28:29]
	ds_load_b32 v33, v31
	v_add_nc_u32_e32 v31, 4, v31
	v_cmp_eq_u32_e32 vcc_lo, 1, v28
	v_cndmask_b32_e32 v32, v2, v3, vcc_lo
	v_cmp_eq_u32_e32 vcc_lo, 2, v28
	s_delay_alu instid0(VALU_DEP_2) | instskip(SKIP_1) | instid1(VALU_DEP_2)
	v_cndmask_b32_e32 v32, v32, v4, vcc_lo
	v_cmp_eq_u32_e32 vcc_lo, 3, v28
	v_cndmask_b32_e32 v32, v32, v5, vcc_lo
	v_cmp_eq_u32_e32 vcc_lo, 4, v28
	s_delay_alu instid0(VALU_DEP_2) | instskip(SKIP_1) | instid1(VALU_DEP_2)
	v_cndmask_b32_e32 v32, v32, v6, vcc_lo
	;; [unrolled: 5-line block ×12, first 2 shown]
	v_cmp_eq_u32_e32 vcc_lo, 25, v28
	v_cndmask_b32_e32 v32, v32, v27, vcc_lo
	v_cmp_lt_u32_e32 vcc_lo, 5, v28
	s_wait_dscnt 0x0
	s_delay_alu instid0(VALU_DEP_2) | instskip(SKIP_1) | instid1(SALU_CYCLE_1)
	v_fmac_f32_e32 v30, v32, v33
	s_or_b32 s6, vcc_lo, s6
	s_and_not1_b32 exec_lo, exec_lo, s6
	s_cbranch_execnz .LBB25_443
; %bb.444:
	s_or_b32 exec_lo, exec_lo, s6
.LBB25_445:
	s_delay_alu instid0(SALU_CYCLE_1)
	s_or_b32 exec_lo, exec_lo, s5
	v_mov_b32_e32 v9, 0
	ds_load_b32 v9, v9 offset:28
	s_wait_dscnt 0x0
	v_mul_f32_e32 v9, v30, v9
.LBB25_446:
	s_or_b32 exec_lo, exec_lo, s4
	s_delay_alu instid0(SALU_CYCLE_1)
	s_mov_b32 s4, exec_lo
	ds_store_b32 v121, v10
	s_wait_dscnt 0x0
	s_barrier_signal -1
	s_barrier_wait -1
	v_cmpx_gt_u32_e32 8, v0
	s_cbranch_execz .LBB25_456
; %bb.447:
	v_cmp_ne_u32_e32 vcc_lo, 1, v34
	s_cbranch_vccnz .LBB25_449
; %bb.448:
	v_cmp_eq_u32_e32 vcc_lo, 1, v0
	ds_load_b32 v29, v121
	v_cndmask_b32_e32 v28, v2, v3, vcc_lo
	v_cmp_eq_u32_e32 vcc_lo, 2, v0
	s_delay_alu instid0(VALU_DEP_2) | instskip(SKIP_1) | instid1(VALU_DEP_2)
	v_cndmask_b32_e32 v28, v28, v4, vcc_lo
	v_cmp_eq_u32_e32 vcc_lo, 3, v0
	v_cndmask_b32_e32 v28, v28, v5, vcc_lo
	v_cmp_eq_u32_e32 vcc_lo, 4, v0
	s_delay_alu instid0(VALU_DEP_2) | instskip(SKIP_1) | instid1(VALU_DEP_2)
	v_cndmask_b32_e32 v28, v28, v6, vcc_lo
	v_cmp_eq_u32_e32 vcc_lo, 5, v0
	v_cndmask_b32_e32 v28, v28, v7, vcc_lo
	v_cmp_eq_u32_e32 vcc_lo, 6, v0
	s_delay_alu instid0(VALU_DEP_2) | instskip(SKIP_1) | instid1(VALU_DEP_2)
	v_cndmask_b32_e32 v28, v28, v8, vcc_lo
	v_cmp_eq_u32_e32 vcc_lo, 7, v0
	v_cndmask_b32_e32 v28, v28, v9, vcc_lo
	v_cmp_eq_u32_e32 vcc_lo, 8, v0
	s_delay_alu instid0(VALU_DEP_2) | instskip(SKIP_1) | instid1(VALU_DEP_2)
	v_cndmask_b32_e32 v28, v28, v10, vcc_lo
	v_cmp_eq_u32_e32 vcc_lo, 9, v0
	v_cndmask_b32_e32 v28, v28, v11, vcc_lo
	v_cmp_eq_u32_e32 vcc_lo, 10, v0
	s_delay_alu instid0(VALU_DEP_2) | instskip(SKIP_1) | instid1(VALU_DEP_2)
	v_cndmask_b32_e32 v28, v28, v12, vcc_lo
	v_cmp_eq_u32_e32 vcc_lo, 11, v0
	v_cndmask_b32_e32 v28, v28, v13, vcc_lo
	v_cmp_eq_u32_e32 vcc_lo, 12, v0
	s_delay_alu instid0(VALU_DEP_2) | instskip(SKIP_1) | instid1(VALU_DEP_2)
	v_cndmask_b32_e32 v28, v28, v14, vcc_lo
	v_cmp_eq_u32_e32 vcc_lo, 13, v0
	v_cndmask_b32_e32 v28, v28, v15, vcc_lo
	v_cmp_eq_u32_e32 vcc_lo, 14, v0
	s_delay_alu instid0(VALU_DEP_2) | instskip(SKIP_1) | instid1(VALU_DEP_2)
	v_cndmask_b32_e32 v28, v28, v16, vcc_lo
	v_cmp_eq_u32_e32 vcc_lo, 15, v0
	v_cndmask_b32_e32 v28, v28, v17, vcc_lo
	v_cmp_eq_u32_e32 vcc_lo, 16, v0
	s_delay_alu instid0(VALU_DEP_2) | instskip(SKIP_1) | instid1(VALU_DEP_2)
	v_cndmask_b32_e32 v28, v28, v18, vcc_lo
	v_cmp_eq_u32_e32 vcc_lo, 17, v0
	v_cndmask_b32_e32 v28, v28, v19, vcc_lo
	v_cmp_eq_u32_e32 vcc_lo, 18, v0
	s_delay_alu instid0(VALU_DEP_2) | instskip(SKIP_1) | instid1(VALU_DEP_2)
	v_cndmask_b32_e32 v28, v28, v20, vcc_lo
	v_cmp_eq_u32_e32 vcc_lo, 19, v0
	v_cndmask_b32_e32 v28, v28, v21, vcc_lo
	v_cmp_eq_u32_e32 vcc_lo, 20, v0
	s_delay_alu instid0(VALU_DEP_2) | instskip(SKIP_1) | instid1(VALU_DEP_2)
	v_cndmask_b32_e32 v28, v28, v22, vcc_lo
	v_cmp_eq_u32_e32 vcc_lo, 21, v0
	v_cndmask_b32_e32 v28, v28, v23, vcc_lo
	v_cmp_eq_u32_e32 vcc_lo, 22, v0
	s_delay_alu instid0(VALU_DEP_2) | instskip(SKIP_1) | instid1(VALU_DEP_2)
	v_cndmask_b32_e32 v28, v28, v24, vcc_lo
	v_cmp_eq_u32_e32 vcc_lo, 23, v0
	v_cndmask_b32_e32 v28, v28, v25, vcc_lo
	v_cmp_eq_u32_e32 vcc_lo, 24, v0
	s_delay_alu instid0(VALU_DEP_2) | instskip(SKIP_1) | instid1(VALU_DEP_2)
	v_cndmask_b32_e32 v28, v28, v26, vcc_lo
	v_cmp_eq_u32_e32 vcc_lo, 25, v0
	v_cndmask_b32_e32 v28, v28, v27, vcc_lo
	s_wait_dscnt 0x0
	s_delay_alu instid0(VALU_DEP_1)
	v_mul_f32_e32 v30, v28, v29
	s_cbranch_execz .LBB25_450
	s_branch .LBB25_451
.LBB25_449:
                                        ; implicit-def: $vgpr30
.LBB25_450:
	ds_load_b32 v30, v121
.LBB25_451:
	s_mov_b32 s5, exec_lo
	v_cmpx_ne_u32_e32 7, v0
	s_cbranch_execz .LBB25_455
; %bb.452:
	v_mov_b64_e32 v[28:29], v[0:1]
	v_lshl_add_u32 v31, v0, 2, 0x74
	s_mov_b32 s6, 0
.LBB25_453:                             ; =>This Inner Loop Header: Depth=1
	s_delay_alu instid0(VALU_DEP_2)
	v_add_nc_u64_e32 v[28:29], 1, v[28:29]
	ds_load_b32 v33, v31
	v_add_nc_u32_e32 v31, 4, v31
	v_cmp_eq_u32_e32 vcc_lo, 1, v28
	v_cndmask_b32_e32 v32, v2, v3, vcc_lo
	v_cmp_eq_u32_e32 vcc_lo, 2, v28
	s_delay_alu instid0(VALU_DEP_2) | instskip(SKIP_1) | instid1(VALU_DEP_2)
	v_cndmask_b32_e32 v32, v32, v4, vcc_lo
	v_cmp_eq_u32_e32 vcc_lo, 3, v28
	v_cndmask_b32_e32 v32, v32, v5, vcc_lo
	v_cmp_eq_u32_e32 vcc_lo, 4, v28
	s_delay_alu instid0(VALU_DEP_2) | instskip(SKIP_1) | instid1(VALU_DEP_2)
	v_cndmask_b32_e32 v32, v32, v6, vcc_lo
	;; [unrolled: 5-line block ×12, first 2 shown]
	v_cmp_eq_u32_e32 vcc_lo, 25, v28
	v_cndmask_b32_e32 v32, v32, v27, vcc_lo
	v_cmp_lt_u32_e32 vcc_lo, 6, v28
	s_wait_dscnt 0x0
	s_delay_alu instid0(VALU_DEP_2) | instskip(SKIP_1) | instid1(SALU_CYCLE_1)
	v_fmac_f32_e32 v30, v32, v33
	s_or_b32 s6, vcc_lo, s6
	s_and_not1_b32 exec_lo, exec_lo, s6
	s_cbranch_execnz .LBB25_453
; %bb.454:
	s_or_b32 exec_lo, exec_lo, s6
.LBB25_455:
	s_delay_alu instid0(SALU_CYCLE_1)
	s_or_b32 exec_lo, exec_lo, s5
	v_mov_b32_e32 v10, 0
	ds_load_b32 v10, v10 offset:32
	s_wait_dscnt 0x0
	v_mul_f32_e32 v10, v30, v10
.LBB25_456:
	s_or_b32 exec_lo, exec_lo, s4
	s_delay_alu instid0(SALU_CYCLE_1)
	s_mov_b32 s4, exec_lo
	ds_store_b32 v121, v11
	s_wait_dscnt 0x0
	s_barrier_signal -1
	s_barrier_wait -1
	v_cmpx_gt_u32_e32 9, v0
	s_cbranch_execz .LBB25_478
; %bb.457:
	v_cmp_ne_u32_e32 vcc_lo, 1, v34
	s_cbranch_vccnz .LBB25_459
; %bb.458:
	v_cmp_eq_u32_e32 vcc_lo, 1, v0
	ds_load_b32 v29, v121
	v_cndmask_b32_e32 v28, v2, v3, vcc_lo
	v_cmp_eq_u32_e32 vcc_lo, 2, v0
	s_delay_alu instid0(VALU_DEP_2) | instskip(SKIP_1) | instid1(VALU_DEP_2)
	v_cndmask_b32_e32 v28, v28, v4, vcc_lo
	v_cmp_eq_u32_e32 vcc_lo, 3, v0
	v_cndmask_b32_e32 v28, v28, v5, vcc_lo
	v_cmp_eq_u32_e32 vcc_lo, 4, v0
	s_delay_alu instid0(VALU_DEP_2) | instskip(SKIP_1) | instid1(VALU_DEP_2)
	v_cndmask_b32_e32 v28, v28, v6, vcc_lo
	v_cmp_eq_u32_e32 vcc_lo, 5, v0
	;; [unrolled: 5-line block ×12, first 2 shown]
	v_cndmask_b32_e32 v28, v28, v27, vcc_lo
	s_wait_dscnt 0x0
	s_delay_alu instid0(VALU_DEP_1)
	v_mul_f32_e32 v28, v28, v29
	s_cbranch_execz .LBB25_460
	s_branch .LBB25_461
.LBB25_459:
                                        ; implicit-def: $vgpr28
.LBB25_460:
	ds_load_b32 v28, v121
.LBB25_461:
	s_mov_b32 s5, exec_lo
	v_cmpx_ne_u32_e32 8, v0
	s_cbranch_execz .LBB25_477
; %bb.462:
	v_cmp_eq_u32_e32 vcc_lo, 1, v35
	ds_load_b32 v30, v121 offset:4
	v_cndmask_b32_e32 v29, v2, v3, vcc_lo
	v_cmp_eq_u32_e32 vcc_lo, 2, v35
	s_delay_alu instid0(VALU_DEP_2) | instskip(SKIP_1) | instid1(VALU_DEP_2)
	v_cndmask_b32_e32 v29, v29, v4, vcc_lo
	v_cmp_eq_u32_e32 vcc_lo, 3, v35
	v_cndmask_b32_e32 v29, v29, v5, vcc_lo
	v_cmp_eq_u32_e32 vcc_lo, 4, v35
	s_delay_alu instid0(VALU_DEP_2) | instskip(SKIP_1) | instid1(VALU_DEP_2)
	v_cndmask_b32_e32 v29, v29, v6, vcc_lo
	v_cmp_eq_u32_e32 vcc_lo, 5, v35
	v_cndmask_b32_e32 v29, v29, v7, vcc_lo
	v_cmp_eq_u32_e32 vcc_lo, 6, v35
	s_delay_alu instid0(VALU_DEP_2) | instskip(SKIP_1) | instid1(VALU_DEP_2)
	v_cndmask_b32_e32 v29, v29, v8, vcc_lo
	v_cmp_eq_u32_e32 vcc_lo, 7, v35
	v_cndmask_b32_e32 v29, v29, v9, vcc_lo
	v_cmp_eq_u32_e32 vcc_lo, 8, v35
	s_delay_alu instid0(VALU_DEP_2) | instskip(SKIP_1) | instid1(VALU_DEP_2)
	v_cndmask_b32_e32 v29, v29, v10, vcc_lo
	v_cmp_eq_u32_e32 vcc_lo, 9, v35
	v_cndmask_b32_e32 v29, v29, v11, vcc_lo
	v_cmp_eq_u32_e32 vcc_lo, 10, v35
	s_delay_alu instid0(VALU_DEP_2) | instskip(SKIP_1) | instid1(VALU_DEP_2)
	v_cndmask_b32_e32 v29, v29, v12, vcc_lo
	v_cmp_eq_u32_e32 vcc_lo, 11, v35
	v_cndmask_b32_e32 v29, v29, v13, vcc_lo
	v_cmp_eq_u32_e32 vcc_lo, 12, v35
	s_delay_alu instid0(VALU_DEP_2) | instskip(SKIP_1) | instid1(VALU_DEP_2)
	v_cndmask_b32_e32 v29, v29, v14, vcc_lo
	v_cmp_eq_u32_e32 vcc_lo, 13, v35
	v_cndmask_b32_e32 v29, v29, v15, vcc_lo
	v_cmp_eq_u32_e32 vcc_lo, 14, v35
	s_delay_alu instid0(VALU_DEP_2) | instskip(SKIP_1) | instid1(VALU_DEP_2)
	v_cndmask_b32_e32 v29, v29, v16, vcc_lo
	v_cmp_eq_u32_e32 vcc_lo, 15, v35
	v_cndmask_b32_e32 v29, v29, v17, vcc_lo
	v_cmp_eq_u32_e32 vcc_lo, 16, v35
	s_delay_alu instid0(VALU_DEP_2) | instskip(SKIP_1) | instid1(VALU_DEP_2)
	v_cndmask_b32_e32 v29, v29, v18, vcc_lo
	v_cmp_eq_u32_e32 vcc_lo, 17, v35
	v_cndmask_b32_e32 v29, v29, v19, vcc_lo
	v_cmp_eq_u32_e32 vcc_lo, 18, v35
	s_delay_alu instid0(VALU_DEP_2) | instskip(SKIP_1) | instid1(VALU_DEP_2)
	v_cndmask_b32_e32 v29, v29, v20, vcc_lo
	v_cmp_eq_u32_e32 vcc_lo, 19, v35
	v_cndmask_b32_e32 v29, v29, v21, vcc_lo
	v_cmp_eq_u32_e32 vcc_lo, 20, v35
	s_delay_alu instid0(VALU_DEP_2) | instskip(SKIP_1) | instid1(VALU_DEP_2)
	v_cndmask_b32_e32 v29, v29, v22, vcc_lo
	v_cmp_eq_u32_e32 vcc_lo, 21, v35
	v_cndmask_b32_e32 v29, v29, v23, vcc_lo
	v_cmp_eq_u32_e32 vcc_lo, 22, v35
	s_delay_alu instid0(VALU_DEP_2) | instskip(SKIP_1) | instid1(VALU_DEP_2)
	v_cndmask_b32_e32 v29, v29, v24, vcc_lo
	v_cmp_eq_u32_e32 vcc_lo, 23, v35
	v_cndmask_b32_e32 v29, v29, v25, vcc_lo
	v_cmp_eq_u32_e32 vcc_lo, 24, v35
	s_delay_alu instid0(VALU_DEP_2) | instskip(SKIP_1) | instid1(VALU_DEP_2)
	v_cndmask_b32_e32 v29, v29, v26, vcc_lo
	v_cmp_eq_u32_e32 vcc_lo, 25, v35
	v_cndmask_b32_e32 v29, v29, v27, vcc_lo
	s_wait_dscnt 0x0
	s_delay_alu instid0(VALU_DEP_1)
	v_fmac_f32_e32 v28, v29, v30
	s_and_saveexec_b32 s6, s3
	s_cbranch_execz .LBB25_476
; %bb.463:
	v_add_nc_u32_e32 v29, 2, v0
	ds_load_b32 v31, v121 offset:8
	s_mov_b32 s3, exec_lo
	v_cmp_eq_u32_e32 vcc_lo, 1, v29
	v_cndmask_b32_e32 v30, v2, v3, vcc_lo
	v_cmp_eq_u32_e32 vcc_lo, 2, v29
	s_delay_alu instid0(VALU_DEP_2) | instskip(SKIP_1) | instid1(VALU_DEP_2)
	v_cndmask_b32_e32 v30, v30, v4, vcc_lo
	v_cmp_eq_u32_e32 vcc_lo, 3, v29
	v_cndmask_b32_e32 v30, v30, v5, vcc_lo
	v_cmp_eq_u32_e32 vcc_lo, 4, v29
	s_delay_alu instid0(VALU_DEP_2) | instskip(SKIP_1) | instid1(VALU_DEP_2)
	v_cndmask_b32_e32 v30, v30, v6, vcc_lo
	;; [unrolled: 5-line block ×12, first 2 shown]
	v_cmp_eq_u32_e32 vcc_lo, 25, v29
	v_cndmask_b32_e32 v29, v30, v27, vcc_lo
	s_wait_dscnt 0x0
	s_delay_alu instid0(VALU_DEP_1)
	v_fmac_f32_e32 v28, v29, v31
	v_cmpx_ne_u32_e32 6, v0
	s_cbranch_execz .LBB25_475
; %bb.464:
	v_add_nc_u32_e32 v29, 3, v0
	ds_load_b32 v31, v121 offset:12
	v_cmp_eq_u32_e32 vcc_lo, 1, v29
	v_cndmask_b32_e32 v30, v2, v3, vcc_lo
	v_cmp_eq_u32_e32 vcc_lo, 2, v29
	s_delay_alu instid0(VALU_DEP_2) | instskip(SKIP_1) | instid1(VALU_DEP_2)
	v_cndmask_b32_e32 v30, v30, v4, vcc_lo
	v_cmp_eq_u32_e32 vcc_lo, 3, v29
	v_cndmask_b32_e32 v30, v30, v5, vcc_lo
	v_cmp_eq_u32_e32 vcc_lo, 4, v29
	s_delay_alu instid0(VALU_DEP_2) | instskip(SKIP_1) | instid1(VALU_DEP_2)
	v_cndmask_b32_e32 v30, v30, v6, vcc_lo
	v_cmp_eq_u32_e32 vcc_lo, 5, v29
	v_cndmask_b32_e32 v30, v30, v7, vcc_lo
	v_cmp_eq_u32_e32 vcc_lo, 6, v29
	s_delay_alu instid0(VALU_DEP_2) | instskip(SKIP_1) | instid1(VALU_DEP_2)
	v_cndmask_b32_e32 v30, v30, v8, vcc_lo
	v_cmp_eq_u32_e32 vcc_lo, 7, v29
	v_cndmask_b32_e32 v30, v30, v9, vcc_lo
	v_cmp_eq_u32_e32 vcc_lo, 8, v29
	s_delay_alu instid0(VALU_DEP_2) | instskip(SKIP_1) | instid1(VALU_DEP_2)
	v_cndmask_b32_e32 v30, v30, v10, vcc_lo
	v_cmp_eq_u32_e32 vcc_lo, 9, v29
	v_cndmask_b32_e32 v30, v30, v11, vcc_lo
	v_cmp_eq_u32_e32 vcc_lo, 10, v29
	s_delay_alu instid0(VALU_DEP_2) | instskip(SKIP_1) | instid1(VALU_DEP_2)
	v_cndmask_b32_e32 v30, v30, v12, vcc_lo
	v_cmp_eq_u32_e32 vcc_lo, 11, v29
	v_cndmask_b32_e32 v30, v30, v13, vcc_lo
	v_cmp_eq_u32_e32 vcc_lo, 12, v29
	s_delay_alu instid0(VALU_DEP_2) | instskip(SKIP_1) | instid1(VALU_DEP_2)
	v_cndmask_b32_e32 v30, v30, v14, vcc_lo
	v_cmp_eq_u32_e32 vcc_lo, 13, v29
	v_cndmask_b32_e32 v30, v30, v15, vcc_lo
	v_cmp_eq_u32_e32 vcc_lo, 14, v29
	s_delay_alu instid0(VALU_DEP_2) | instskip(SKIP_1) | instid1(VALU_DEP_2)
	v_cndmask_b32_e32 v30, v30, v16, vcc_lo
	v_cmp_eq_u32_e32 vcc_lo, 15, v29
	v_cndmask_b32_e32 v30, v30, v17, vcc_lo
	v_cmp_eq_u32_e32 vcc_lo, 16, v29
	s_delay_alu instid0(VALU_DEP_2) | instskip(SKIP_1) | instid1(VALU_DEP_2)
	v_cndmask_b32_e32 v30, v30, v18, vcc_lo
	v_cmp_eq_u32_e32 vcc_lo, 17, v29
	v_cndmask_b32_e32 v30, v30, v19, vcc_lo
	v_cmp_eq_u32_e32 vcc_lo, 18, v29
	s_delay_alu instid0(VALU_DEP_2) | instskip(SKIP_1) | instid1(VALU_DEP_2)
	v_cndmask_b32_e32 v30, v30, v20, vcc_lo
	v_cmp_eq_u32_e32 vcc_lo, 19, v29
	v_cndmask_b32_e32 v30, v30, v21, vcc_lo
	v_cmp_eq_u32_e32 vcc_lo, 20, v29
	s_delay_alu instid0(VALU_DEP_2) | instskip(SKIP_1) | instid1(VALU_DEP_2)
	v_cndmask_b32_e32 v30, v30, v22, vcc_lo
	v_cmp_eq_u32_e32 vcc_lo, 21, v29
	v_cndmask_b32_e32 v30, v30, v23, vcc_lo
	v_cmp_eq_u32_e32 vcc_lo, 22, v29
	s_delay_alu instid0(VALU_DEP_2) | instskip(SKIP_1) | instid1(VALU_DEP_2)
	v_cndmask_b32_e32 v30, v30, v24, vcc_lo
	v_cmp_eq_u32_e32 vcc_lo, 23, v29
	v_cndmask_b32_e32 v30, v30, v25, vcc_lo
	v_cmp_eq_u32_e32 vcc_lo, 24, v29
	s_delay_alu instid0(VALU_DEP_2) | instskip(SKIP_1) | instid1(VALU_DEP_2)
	v_cndmask_b32_e32 v30, v30, v26, vcc_lo
	v_cmp_eq_u32_e32 vcc_lo, 25, v29
	v_cndmask_b32_e32 v29, v30, v27, vcc_lo
	s_wait_dscnt 0x0
	s_delay_alu instid0(VALU_DEP_1)
	v_fmac_f32_e32 v28, v29, v31
	s_and_saveexec_b32 s7, s2
	s_cbranch_execz .LBB25_474
; %bb.465:
	v_add_nc_u32_e32 v29, 4, v0
	ds_load_b32 v31, v121 offset:16
	s_mov_b32 s2, exec_lo
	v_cmp_eq_u32_e32 vcc_lo, 1, v29
	v_cndmask_b32_e32 v30, v2, v3, vcc_lo
	v_cmp_eq_u32_e32 vcc_lo, 2, v29
	s_delay_alu instid0(VALU_DEP_2) | instskip(SKIP_1) | instid1(VALU_DEP_2)
	v_cndmask_b32_e32 v30, v30, v4, vcc_lo
	v_cmp_eq_u32_e32 vcc_lo, 3, v29
	v_cndmask_b32_e32 v30, v30, v5, vcc_lo
	v_cmp_eq_u32_e32 vcc_lo, 4, v29
	s_delay_alu instid0(VALU_DEP_2) | instskip(SKIP_1) | instid1(VALU_DEP_2)
	v_cndmask_b32_e32 v30, v30, v6, vcc_lo
	;; [unrolled: 5-line block ×12, first 2 shown]
	v_cmp_eq_u32_e32 vcc_lo, 25, v29
	v_cndmask_b32_e32 v29, v30, v27, vcc_lo
	s_wait_dscnt 0x0
	s_delay_alu instid0(VALU_DEP_1)
	v_fmac_f32_e32 v28, v29, v31
	v_cmpx_ne_u32_e32 4, v0
	s_cbranch_execz .LBB25_473
; %bb.466:
	v_add_nc_u32_e32 v29, 5, v0
	ds_load_b32 v31, v121 offset:20
	v_cmp_eq_u32_e32 vcc_lo, 1, v29
	v_cndmask_b32_e32 v30, v2, v3, vcc_lo
	v_cmp_eq_u32_e32 vcc_lo, 2, v29
	s_delay_alu instid0(VALU_DEP_2) | instskip(SKIP_1) | instid1(VALU_DEP_2)
	v_cndmask_b32_e32 v30, v30, v4, vcc_lo
	v_cmp_eq_u32_e32 vcc_lo, 3, v29
	v_cndmask_b32_e32 v30, v30, v5, vcc_lo
	v_cmp_eq_u32_e32 vcc_lo, 4, v29
	s_delay_alu instid0(VALU_DEP_2) | instskip(SKIP_1) | instid1(VALU_DEP_2)
	v_cndmask_b32_e32 v30, v30, v6, vcc_lo
	;; [unrolled: 5-line block ×12, first 2 shown]
	v_cmp_eq_u32_e32 vcc_lo, 25, v29
	v_cndmask_b32_e32 v29, v30, v27, vcc_lo
	s_wait_dscnt 0x0
	s_delay_alu instid0(VALU_DEP_1)
	v_fmac_f32_e32 v28, v29, v31
	s_and_saveexec_b32 s8, s1
	s_cbranch_execz .LBB25_472
; %bb.467:
	v_add_nc_u32_e32 v29, 6, v0
	ds_load_b32 v31, v121 offset:24
	s_mov_b32 s1, exec_lo
	v_cmp_eq_u32_e32 vcc_lo, 1, v29
	v_cndmask_b32_e32 v30, v2, v3, vcc_lo
	v_cmp_eq_u32_e32 vcc_lo, 2, v29
	s_delay_alu instid0(VALU_DEP_2) | instskip(SKIP_1) | instid1(VALU_DEP_2)
	v_cndmask_b32_e32 v30, v30, v4, vcc_lo
	v_cmp_eq_u32_e32 vcc_lo, 3, v29
	v_cndmask_b32_e32 v30, v30, v5, vcc_lo
	v_cmp_eq_u32_e32 vcc_lo, 4, v29
	s_delay_alu instid0(VALU_DEP_2) | instskip(SKIP_1) | instid1(VALU_DEP_2)
	v_cndmask_b32_e32 v30, v30, v6, vcc_lo
	;; [unrolled: 5-line block ×12, first 2 shown]
	v_cmp_eq_u32_e32 vcc_lo, 25, v29
	v_cndmask_b32_e32 v29, v30, v27, vcc_lo
	s_wait_dscnt 0x0
	s_delay_alu instid0(VALU_DEP_1)
	v_fmac_f32_e32 v28, v29, v31
	v_cmpx_ne_u32_e32 2, v0
	s_cbranch_execz .LBB25_471
; %bb.468:
	v_add_nc_u32_e32 v29, 7, v0
	s_delay_alu instid0(VALU_DEP_1) | instskip(SKIP_2) | instid1(VALU_DEP_2)
	v_cmp_eq_u32_e32 vcc_lo, 1, v29
	v_cndmask_b32_e32 v30, v2, v3, vcc_lo
	v_cmp_eq_u32_e32 vcc_lo, 2, v29
	v_cndmask_b32_e32 v30, v30, v4, vcc_lo
	v_cmp_eq_u32_e32 vcc_lo, 3, v29
	s_delay_alu instid0(VALU_DEP_2) | instskip(SKIP_1) | instid1(VALU_DEP_2)
	v_cndmask_b32_e32 v30, v30, v5, vcc_lo
	v_cmp_eq_u32_e32 vcc_lo, 4, v29
	v_cndmask_b32_e32 v30, v30, v6, vcc_lo
	v_cmp_eq_u32_e32 vcc_lo, 5, v29
	s_delay_alu instid0(VALU_DEP_2) | instskip(SKIP_1) | instid1(VALU_DEP_2)
	;; [unrolled: 5-line block ×3, first 2 shown]
	v_cndmask_b32_e32 v30, v30, v9, vcc_lo
	v_cmp_eq_u32_e32 vcc_lo, 8, v29
	v_cndmask_b32_e32 v30, v30, v10, vcc_lo
	v_cmp_eq_u32_e32 vcc_lo, 9, v29
	s_delay_alu instid0(VALU_DEP_2) | instskip(SKIP_4) | instid1(VALU_DEP_2)
	v_cndmask_b32_e32 v11, v30, v11, vcc_lo
	v_cmp_eq_u32_e32 vcc_lo, 10, v29
	ds_load_b32 v30, v121 offset:28
	v_cndmask_b32_e32 v11, v11, v12, vcc_lo
	v_cmp_eq_u32_e32 vcc_lo, 11, v29
	v_cndmask_b32_e32 v11, v11, v13, vcc_lo
	v_cmp_eq_u32_e32 vcc_lo, 12, v29
	s_delay_alu instid0(VALU_DEP_2) | instskip(SKIP_1) | instid1(VALU_DEP_2)
	v_cndmask_b32_e32 v11, v11, v14, vcc_lo
	v_cmp_eq_u32_e32 vcc_lo, 13, v29
	v_cndmask_b32_e32 v11, v11, v15, vcc_lo
	v_cmp_eq_u32_e32 vcc_lo, 14, v29
	s_delay_alu instid0(VALU_DEP_2) | instskip(SKIP_1) | instid1(VALU_DEP_2)
	;; [unrolled: 5-line block ×7, first 2 shown]
	v_cndmask_b32_e32 v11, v11, v26, vcc_lo
	v_cmp_eq_u32_e32 vcc_lo, 25, v29
	v_cndmask_b32_e32 v11, v11, v27, vcc_lo
	s_wait_dscnt 0x0
	s_delay_alu instid0(VALU_DEP_1)
	v_fmac_f32_e32 v28, v11, v30
	s_and_saveexec_b32 s9, s0
	s_cbranch_execz .LBB25_470
; %bb.469:
	ds_load_b32 v11, v121 offset:32
	s_wait_dscnt 0x0
	v_fmac_f32_e32 v28, v10, v11
.LBB25_470:
	s_or_b32 exec_lo, exec_lo, s9
.LBB25_471:
	s_delay_alu instid0(SALU_CYCLE_1)
	s_or_b32 exec_lo, exec_lo, s1
.LBB25_472:
	s_delay_alu instid0(SALU_CYCLE_1)
	s_or_b32 exec_lo, exec_lo, s8
.LBB25_473:
	s_delay_alu instid0(SALU_CYCLE_1)
	s_or_b32 exec_lo, exec_lo, s2
.LBB25_474:
	s_delay_alu instid0(SALU_CYCLE_1)
	s_or_b32 exec_lo, exec_lo, s7
.LBB25_475:
	s_delay_alu instid0(SALU_CYCLE_1)
	s_or_b32 exec_lo, exec_lo, s3
.LBB25_476:
	s_delay_alu instid0(SALU_CYCLE_1)
	s_or_b32 exec_lo, exec_lo, s6
.LBB25_477:
	s_delay_alu instid0(SALU_CYCLE_1)
	s_or_b32 exec_lo, exec_lo, s5
	v_mov_b32_e32 v11, 0
	ds_load_b32 v11, v11 offset:36
	s_wait_dscnt 0x0
	v_mul_f32_e32 v11, v28, v11
.LBB25_478:
	s_or_b32 exec_lo, exec_lo, s4
	s_delay_alu instid0(SALU_CYCLE_1)
	s_mov_b32 s0, exec_lo
	ds_store_b32 v121, v12
	s_wait_dscnt 0x0
	s_barrier_signal -1
	s_barrier_wait -1
	v_cmpx_gt_u32_e32 10, v0
	s_cbranch_execz .LBB25_488
; %bb.479:
	v_cmp_ne_u32_e32 vcc_lo, 1, v34
	s_cbranch_vccnz .LBB25_481
; %bb.480:
	v_cmp_eq_u32_e32 vcc_lo, 1, v0
	ds_load_b32 v29, v121
	v_cndmask_b32_e32 v28, v2, v3, vcc_lo
	v_cmp_eq_u32_e32 vcc_lo, 2, v0
	s_delay_alu instid0(VALU_DEP_2) | instskip(SKIP_1) | instid1(VALU_DEP_2)
	v_cndmask_b32_e32 v28, v28, v4, vcc_lo
	v_cmp_eq_u32_e32 vcc_lo, 3, v0
	v_cndmask_b32_e32 v28, v28, v5, vcc_lo
	v_cmp_eq_u32_e32 vcc_lo, 4, v0
	s_delay_alu instid0(VALU_DEP_2) | instskip(SKIP_1) | instid1(VALU_DEP_2)
	v_cndmask_b32_e32 v28, v28, v6, vcc_lo
	v_cmp_eq_u32_e32 vcc_lo, 5, v0
	;; [unrolled: 5-line block ×12, first 2 shown]
	v_cndmask_b32_e32 v28, v28, v27, vcc_lo
	s_wait_dscnt 0x0
	s_delay_alu instid0(VALU_DEP_1)
	v_mul_f32_e32 v30, v28, v29
	s_cbranch_execz .LBB25_482
	s_branch .LBB25_483
.LBB25_481:
                                        ; implicit-def: $vgpr30
.LBB25_482:
	ds_load_b32 v30, v121
.LBB25_483:
	s_mov_b32 s1, exec_lo
	v_cmpx_ne_u32_e32 9, v0
	s_cbranch_execz .LBB25_487
; %bb.484:
	v_mov_b64_e32 v[28:29], v[0:1]
	v_lshl_add_u32 v31, v0, 2, 0x74
	s_mov_b32 s2, 0
.LBB25_485:                             ; =>This Inner Loop Header: Depth=1
	s_delay_alu instid0(VALU_DEP_2)
	v_add_nc_u64_e32 v[28:29], 1, v[28:29]
	ds_load_b32 v33, v31
	v_add_nc_u32_e32 v31, 4, v31
	v_cmp_eq_u32_e32 vcc_lo, 1, v28
	v_cndmask_b32_e32 v32, v2, v3, vcc_lo
	v_cmp_eq_u32_e32 vcc_lo, 2, v28
	s_delay_alu instid0(VALU_DEP_2) | instskip(SKIP_1) | instid1(VALU_DEP_2)
	v_cndmask_b32_e32 v32, v32, v4, vcc_lo
	v_cmp_eq_u32_e32 vcc_lo, 3, v28
	v_cndmask_b32_e32 v32, v32, v5, vcc_lo
	v_cmp_eq_u32_e32 vcc_lo, 4, v28
	s_delay_alu instid0(VALU_DEP_2) | instskip(SKIP_1) | instid1(VALU_DEP_2)
	v_cndmask_b32_e32 v32, v32, v6, vcc_lo
	;; [unrolled: 5-line block ×12, first 2 shown]
	v_cmp_eq_u32_e32 vcc_lo, 25, v28
	v_cndmask_b32_e32 v32, v32, v27, vcc_lo
	v_cmp_lt_u32_e32 vcc_lo, 8, v28
	s_wait_dscnt 0x0
	s_delay_alu instid0(VALU_DEP_2) | instskip(SKIP_1) | instid1(SALU_CYCLE_1)
	v_fmac_f32_e32 v30, v32, v33
	s_or_b32 s2, vcc_lo, s2
	s_and_not1_b32 exec_lo, exec_lo, s2
	s_cbranch_execnz .LBB25_485
; %bb.486:
	s_or_b32 exec_lo, exec_lo, s2
.LBB25_487:
	s_delay_alu instid0(SALU_CYCLE_1)
	s_or_b32 exec_lo, exec_lo, s1
	v_mov_b32_e32 v12, 0
	ds_load_b32 v12, v12 offset:40
	s_wait_dscnt 0x0
	v_mul_f32_e32 v12, v30, v12
.LBB25_488:
	s_or_b32 exec_lo, exec_lo, s0
	s_delay_alu instid0(SALU_CYCLE_1)
	s_mov_b32 s0, exec_lo
	ds_store_b32 v121, v13
	s_wait_dscnt 0x0
	s_barrier_signal -1
	s_barrier_wait -1
	v_cmpx_gt_u32_e32 11, v0
	s_cbranch_execz .LBB25_498
; %bb.489:
	v_cmp_ne_u32_e32 vcc_lo, 1, v34
	s_cbranch_vccnz .LBB25_491
; %bb.490:
	v_cmp_eq_u32_e32 vcc_lo, 1, v0
	ds_load_b32 v29, v121
	v_cndmask_b32_e32 v28, v2, v3, vcc_lo
	v_cmp_eq_u32_e32 vcc_lo, 2, v0
	s_delay_alu instid0(VALU_DEP_2) | instskip(SKIP_1) | instid1(VALU_DEP_2)
	v_cndmask_b32_e32 v28, v28, v4, vcc_lo
	v_cmp_eq_u32_e32 vcc_lo, 3, v0
	v_cndmask_b32_e32 v28, v28, v5, vcc_lo
	v_cmp_eq_u32_e32 vcc_lo, 4, v0
	s_delay_alu instid0(VALU_DEP_2) | instskip(SKIP_1) | instid1(VALU_DEP_2)
	v_cndmask_b32_e32 v28, v28, v6, vcc_lo
	v_cmp_eq_u32_e32 vcc_lo, 5, v0
	;; [unrolled: 5-line block ×12, first 2 shown]
	v_cndmask_b32_e32 v28, v28, v27, vcc_lo
	s_wait_dscnt 0x0
	s_delay_alu instid0(VALU_DEP_1)
	v_mul_f32_e32 v30, v28, v29
	s_cbranch_execz .LBB25_492
	s_branch .LBB25_493
.LBB25_491:
                                        ; implicit-def: $vgpr30
.LBB25_492:
	ds_load_b32 v30, v121
.LBB25_493:
	s_mov_b32 s1, exec_lo
	v_cmpx_ne_u32_e32 10, v0
	s_cbranch_execz .LBB25_497
; %bb.494:
	v_mov_b64_e32 v[28:29], v[0:1]
	v_lshl_add_u32 v31, v0, 2, 0x74
	s_mov_b32 s2, 0
.LBB25_495:                             ; =>This Inner Loop Header: Depth=1
	s_delay_alu instid0(VALU_DEP_2)
	v_add_nc_u64_e32 v[28:29], 1, v[28:29]
	ds_load_b32 v33, v31
	v_add_nc_u32_e32 v31, 4, v31
	v_cmp_eq_u32_e32 vcc_lo, 1, v28
	v_cndmask_b32_e32 v32, v2, v3, vcc_lo
	v_cmp_eq_u32_e32 vcc_lo, 2, v28
	s_delay_alu instid0(VALU_DEP_2) | instskip(SKIP_1) | instid1(VALU_DEP_2)
	v_cndmask_b32_e32 v32, v32, v4, vcc_lo
	v_cmp_eq_u32_e32 vcc_lo, 3, v28
	v_cndmask_b32_e32 v32, v32, v5, vcc_lo
	v_cmp_eq_u32_e32 vcc_lo, 4, v28
	s_delay_alu instid0(VALU_DEP_2) | instskip(SKIP_1) | instid1(VALU_DEP_2)
	v_cndmask_b32_e32 v32, v32, v6, vcc_lo
	;; [unrolled: 5-line block ×12, first 2 shown]
	v_cmp_eq_u32_e32 vcc_lo, 25, v28
	v_cndmask_b32_e32 v32, v32, v27, vcc_lo
	v_cmp_lt_u32_e32 vcc_lo, 9, v28
	s_wait_dscnt 0x0
	s_delay_alu instid0(VALU_DEP_2) | instskip(SKIP_1) | instid1(SALU_CYCLE_1)
	v_fmac_f32_e32 v30, v32, v33
	s_or_b32 s2, vcc_lo, s2
	s_and_not1_b32 exec_lo, exec_lo, s2
	s_cbranch_execnz .LBB25_495
; %bb.496:
	s_or_b32 exec_lo, exec_lo, s2
.LBB25_497:
	s_delay_alu instid0(SALU_CYCLE_1)
	s_or_b32 exec_lo, exec_lo, s1
	v_mov_b32_e32 v13, 0
	ds_load_b32 v13, v13 offset:44
	s_wait_dscnt 0x0
	v_mul_f32_e32 v13, v30, v13
.LBB25_498:
	s_or_b32 exec_lo, exec_lo, s0
	s_delay_alu instid0(SALU_CYCLE_1)
	s_mov_b32 s0, exec_lo
	ds_store_b32 v121, v14
	s_wait_dscnt 0x0
	s_barrier_signal -1
	s_barrier_wait -1
	v_cmpx_gt_u32_e32 12, v0
	s_cbranch_execz .LBB25_508
; %bb.499:
	v_cmp_ne_u32_e32 vcc_lo, 1, v34
	s_cbranch_vccnz .LBB25_501
; %bb.500:
	v_cmp_eq_u32_e32 vcc_lo, 1, v0
	ds_load_b32 v29, v121
	v_cndmask_b32_e32 v28, v2, v3, vcc_lo
	v_cmp_eq_u32_e32 vcc_lo, 2, v0
	s_delay_alu instid0(VALU_DEP_2) | instskip(SKIP_1) | instid1(VALU_DEP_2)
	v_cndmask_b32_e32 v28, v28, v4, vcc_lo
	v_cmp_eq_u32_e32 vcc_lo, 3, v0
	v_cndmask_b32_e32 v28, v28, v5, vcc_lo
	v_cmp_eq_u32_e32 vcc_lo, 4, v0
	s_delay_alu instid0(VALU_DEP_2) | instskip(SKIP_1) | instid1(VALU_DEP_2)
	v_cndmask_b32_e32 v28, v28, v6, vcc_lo
	v_cmp_eq_u32_e32 vcc_lo, 5, v0
	;; [unrolled: 5-line block ×12, first 2 shown]
	v_cndmask_b32_e32 v28, v28, v27, vcc_lo
	s_wait_dscnt 0x0
	s_delay_alu instid0(VALU_DEP_1)
	v_mul_f32_e32 v30, v28, v29
	s_cbranch_execz .LBB25_502
	s_branch .LBB25_503
.LBB25_501:
                                        ; implicit-def: $vgpr30
.LBB25_502:
	ds_load_b32 v30, v121
.LBB25_503:
	s_mov_b32 s1, exec_lo
	v_cmpx_ne_u32_e32 11, v0
	s_cbranch_execz .LBB25_507
; %bb.504:
	v_mov_b64_e32 v[28:29], v[0:1]
	v_lshl_add_u32 v31, v0, 2, 0x74
	s_mov_b32 s2, 0
.LBB25_505:                             ; =>This Inner Loop Header: Depth=1
	s_delay_alu instid0(VALU_DEP_2)
	v_add_nc_u64_e32 v[28:29], 1, v[28:29]
	ds_load_b32 v33, v31
	v_add_nc_u32_e32 v31, 4, v31
	v_cmp_eq_u32_e32 vcc_lo, 1, v28
	v_cndmask_b32_e32 v32, v2, v3, vcc_lo
	v_cmp_eq_u32_e32 vcc_lo, 2, v28
	s_delay_alu instid0(VALU_DEP_2) | instskip(SKIP_1) | instid1(VALU_DEP_2)
	v_cndmask_b32_e32 v32, v32, v4, vcc_lo
	v_cmp_eq_u32_e32 vcc_lo, 3, v28
	v_cndmask_b32_e32 v32, v32, v5, vcc_lo
	v_cmp_eq_u32_e32 vcc_lo, 4, v28
	s_delay_alu instid0(VALU_DEP_2) | instskip(SKIP_1) | instid1(VALU_DEP_2)
	v_cndmask_b32_e32 v32, v32, v6, vcc_lo
	;; [unrolled: 5-line block ×12, first 2 shown]
	v_cmp_eq_u32_e32 vcc_lo, 25, v28
	v_cndmask_b32_e32 v32, v32, v27, vcc_lo
	v_cmp_lt_u32_e32 vcc_lo, 10, v28
	s_wait_dscnt 0x0
	s_delay_alu instid0(VALU_DEP_2) | instskip(SKIP_1) | instid1(SALU_CYCLE_1)
	v_fmac_f32_e32 v30, v32, v33
	s_or_b32 s2, vcc_lo, s2
	s_and_not1_b32 exec_lo, exec_lo, s2
	s_cbranch_execnz .LBB25_505
; %bb.506:
	s_or_b32 exec_lo, exec_lo, s2
.LBB25_507:
	s_delay_alu instid0(SALU_CYCLE_1)
	s_or_b32 exec_lo, exec_lo, s1
	v_mov_b32_e32 v14, 0
	ds_load_b32 v14, v14 offset:48
	s_wait_dscnt 0x0
	v_mul_f32_e32 v14, v30, v14
.LBB25_508:
	s_or_b32 exec_lo, exec_lo, s0
	s_delay_alu instid0(SALU_CYCLE_1)
	s_mov_b32 s0, exec_lo
	ds_store_b32 v121, v15
	s_wait_dscnt 0x0
	s_barrier_signal -1
	s_barrier_wait -1
	v_cmpx_gt_u32_e32 13, v0
	s_cbranch_execz .LBB25_518
; %bb.509:
	v_cmp_ne_u32_e32 vcc_lo, 1, v34
	s_cbranch_vccnz .LBB25_511
; %bb.510:
	v_cmp_eq_u32_e32 vcc_lo, 1, v0
	ds_load_b32 v29, v121
	v_cndmask_b32_e32 v28, v2, v3, vcc_lo
	v_cmp_eq_u32_e32 vcc_lo, 2, v0
	s_delay_alu instid0(VALU_DEP_2) | instskip(SKIP_1) | instid1(VALU_DEP_2)
	v_cndmask_b32_e32 v28, v28, v4, vcc_lo
	v_cmp_eq_u32_e32 vcc_lo, 3, v0
	v_cndmask_b32_e32 v28, v28, v5, vcc_lo
	v_cmp_eq_u32_e32 vcc_lo, 4, v0
	s_delay_alu instid0(VALU_DEP_2) | instskip(SKIP_1) | instid1(VALU_DEP_2)
	v_cndmask_b32_e32 v28, v28, v6, vcc_lo
	v_cmp_eq_u32_e32 vcc_lo, 5, v0
	;; [unrolled: 5-line block ×12, first 2 shown]
	v_cndmask_b32_e32 v28, v28, v27, vcc_lo
	s_wait_dscnt 0x0
	s_delay_alu instid0(VALU_DEP_1)
	v_mul_f32_e32 v30, v28, v29
	s_cbranch_execz .LBB25_512
	s_branch .LBB25_513
.LBB25_511:
                                        ; implicit-def: $vgpr30
.LBB25_512:
	ds_load_b32 v30, v121
.LBB25_513:
	s_mov_b32 s1, exec_lo
	v_cmpx_ne_u32_e32 12, v0
	s_cbranch_execz .LBB25_517
; %bb.514:
	v_mov_b64_e32 v[28:29], v[0:1]
	v_lshl_add_u32 v31, v0, 2, 0x74
	s_mov_b32 s2, 0
.LBB25_515:                             ; =>This Inner Loop Header: Depth=1
	s_delay_alu instid0(VALU_DEP_2)
	v_add_nc_u64_e32 v[28:29], 1, v[28:29]
	ds_load_b32 v33, v31
	v_add_nc_u32_e32 v31, 4, v31
	v_cmp_eq_u32_e32 vcc_lo, 1, v28
	v_cndmask_b32_e32 v32, v2, v3, vcc_lo
	v_cmp_eq_u32_e32 vcc_lo, 2, v28
	s_delay_alu instid0(VALU_DEP_2) | instskip(SKIP_1) | instid1(VALU_DEP_2)
	v_cndmask_b32_e32 v32, v32, v4, vcc_lo
	v_cmp_eq_u32_e32 vcc_lo, 3, v28
	v_cndmask_b32_e32 v32, v32, v5, vcc_lo
	v_cmp_eq_u32_e32 vcc_lo, 4, v28
	s_delay_alu instid0(VALU_DEP_2) | instskip(SKIP_1) | instid1(VALU_DEP_2)
	v_cndmask_b32_e32 v32, v32, v6, vcc_lo
	;; [unrolled: 5-line block ×12, first 2 shown]
	v_cmp_eq_u32_e32 vcc_lo, 25, v28
	v_cndmask_b32_e32 v32, v32, v27, vcc_lo
	v_cmp_lt_u32_e32 vcc_lo, 11, v28
	s_wait_dscnt 0x0
	s_delay_alu instid0(VALU_DEP_2) | instskip(SKIP_1) | instid1(SALU_CYCLE_1)
	v_fmac_f32_e32 v30, v32, v33
	s_or_b32 s2, vcc_lo, s2
	s_and_not1_b32 exec_lo, exec_lo, s2
	s_cbranch_execnz .LBB25_515
; %bb.516:
	s_or_b32 exec_lo, exec_lo, s2
.LBB25_517:
	s_delay_alu instid0(SALU_CYCLE_1)
	s_or_b32 exec_lo, exec_lo, s1
	v_mov_b32_e32 v15, 0
	ds_load_b32 v15, v15 offset:52
	s_wait_dscnt 0x0
	v_mul_f32_e32 v15, v30, v15
.LBB25_518:
	s_or_b32 exec_lo, exec_lo, s0
	s_delay_alu instid0(SALU_CYCLE_1)
	s_mov_b32 s0, exec_lo
	ds_store_b32 v121, v16
	s_wait_dscnt 0x0
	s_barrier_signal -1
	s_barrier_wait -1
	v_cmpx_gt_u32_e32 14, v0
	s_cbranch_execz .LBB25_528
; %bb.519:
	v_cmp_ne_u32_e32 vcc_lo, 1, v34
	s_cbranch_vccnz .LBB25_521
; %bb.520:
	v_cmp_eq_u32_e32 vcc_lo, 1, v0
	ds_load_b32 v29, v121
	v_cndmask_b32_e32 v28, v2, v3, vcc_lo
	v_cmp_eq_u32_e32 vcc_lo, 2, v0
	s_delay_alu instid0(VALU_DEP_2) | instskip(SKIP_1) | instid1(VALU_DEP_2)
	v_cndmask_b32_e32 v28, v28, v4, vcc_lo
	v_cmp_eq_u32_e32 vcc_lo, 3, v0
	v_cndmask_b32_e32 v28, v28, v5, vcc_lo
	v_cmp_eq_u32_e32 vcc_lo, 4, v0
	s_delay_alu instid0(VALU_DEP_2) | instskip(SKIP_1) | instid1(VALU_DEP_2)
	v_cndmask_b32_e32 v28, v28, v6, vcc_lo
	v_cmp_eq_u32_e32 vcc_lo, 5, v0
	v_cndmask_b32_e32 v28, v28, v7, vcc_lo
	v_cmp_eq_u32_e32 vcc_lo, 6, v0
	s_delay_alu instid0(VALU_DEP_2) | instskip(SKIP_1) | instid1(VALU_DEP_2)
	v_cndmask_b32_e32 v28, v28, v8, vcc_lo
	v_cmp_eq_u32_e32 vcc_lo, 7, v0
	v_cndmask_b32_e32 v28, v28, v9, vcc_lo
	v_cmp_eq_u32_e32 vcc_lo, 8, v0
	s_delay_alu instid0(VALU_DEP_2) | instskip(SKIP_1) | instid1(VALU_DEP_2)
	v_cndmask_b32_e32 v28, v28, v10, vcc_lo
	v_cmp_eq_u32_e32 vcc_lo, 9, v0
	v_cndmask_b32_e32 v28, v28, v11, vcc_lo
	v_cmp_eq_u32_e32 vcc_lo, 10, v0
	s_delay_alu instid0(VALU_DEP_2) | instskip(SKIP_1) | instid1(VALU_DEP_2)
	v_cndmask_b32_e32 v28, v28, v12, vcc_lo
	v_cmp_eq_u32_e32 vcc_lo, 11, v0
	v_cndmask_b32_e32 v28, v28, v13, vcc_lo
	v_cmp_eq_u32_e32 vcc_lo, 12, v0
	s_delay_alu instid0(VALU_DEP_2) | instskip(SKIP_1) | instid1(VALU_DEP_2)
	v_cndmask_b32_e32 v28, v28, v14, vcc_lo
	v_cmp_eq_u32_e32 vcc_lo, 13, v0
	v_cndmask_b32_e32 v28, v28, v15, vcc_lo
	v_cmp_eq_u32_e32 vcc_lo, 14, v0
	s_delay_alu instid0(VALU_DEP_2) | instskip(SKIP_1) | instid1(VALU_DEP_2)
	v_cndmask_b32_e32 v28, v28, v16, vcc_lo
	v_cmp_eq_u32_e32 vcc_lo, 15, v0
	v_cndmask_b32_e32 v28, v28, v17, vcc_lo
	v_cmp_eq_u32_e32 vcc_lo, 16, v0
	s_delay_alu instid0(VALU_DEP_2) | instskip(SKIP_1) | instid1(VALU_DEP_2)
	v_cndmask_b32_e32 v28, v28, v18, vcc_lo
	v_cmp_eq_u32_e32 vcc_lo, 17, v0
	v_cndmask_b32_e32 v28, v28, v19, vcc_lo
	v_cmp_eq_u32_e32 vcc_lo, 18, v0
	s_delay_alu instid0(VALU_DEP_2) | instskip(SKIP_1) | instid1(VALU_DEP_2)
	v_cndmask_b32_e32 v28, v28, v20, vcc_lo
	v_cmp_eq_u32_e32 vcc_lo, 19, v0
	v_cndmask_b32_e32 v28, v28, v21, vcc_lo
	v_cmp_eq_u32_e32 vcc_lo, 20, v0
	s_delay_alu instid0(VALU_DEP_2) | instskip(SKIP_1) | instid1(VALU_DEP_2)
	v_cndmask_b32_e32 v28, v28, v22, vcc_lo
	v_cmp_eq_u32_e32 vcc_lo, 21, v0
	v_cndmask_b32_e32 v28, v28, v23, vcc_lo
	v_cmp_eq_u32_e32 vcc_lo, 22, v0
	s_delay_alu instid0(VALU_DEP_2) | instskip(SKIP_1) | instid1(VALU_DEP_2)
	v_cndmask_b32_e32 v28, v28, v24, vcc_lo
	v_cmp_eq_u32_e32 vcc_lo, 23, v0
	v_cndmask_b32_e32 v28, v28, v25, vcc_lo
	v_cmp_eq_u32_e32 vcc_lo, 24, v0
	s_delay_alu instid0(VALU_DEP_2) | instskip(SKIP_1) | instid1(VALU_DEP_2)
	v_cndmask_b32_e32 v28, v28, v26, vcc_lo
	v_cmp_eq_u32_e32 vcc_lo, 25, v0
	v_cndmask_b32_e32 v28, v28, v27, vcc_lo
	s_wait_dscnt 0x0
	s_delay_alu instid0(VALU_DEP_1)
	v_mul_f32_e32 v30, v28, v29
	s_cbranch_execz .LBB25_522
	s_branch .LBB25_523
.LBB25_521:
                                        ; implicit-def: $vgpr30
.LBB25_522:
	ds_load_b32 v30, v121
.LBB25_523:
	s_mov_b32 s1, exec_lo
	v_cmpx_ne_u32_e32 13, v0
	s_cbranch_execz .LBB25_527
; %bb.524:
	v_mov_b64_e32 v[28:29], v[0:1]
	v_lshl_add_u32 v31, v0, 2, 0x74
	s_mov_b32 s2, 0
.LBB25_525:                             ; =>This Inner Loop Header: Depth=1
	s_delay_alu instid0(VALU_DEP_2)
	v_add_nc_u64_e32 v[28:29], 1, v[28:29]
	ds_load_b32 v33, v31
	v_add_nc_u32_e32 v31, 4, v31
	v_cmp_eq_u32_e32 vcc_lo, 1, v28
	v_cndmask_b32_e32 v32, v2, v3, vcc_lo
	v_cmp_eq_u32_e32 vcc_lo, 2, v28
	s_delay_alu instid0(VALU_DEP_2) | instskip(SKIP_1) | instid1(VALU_DEP_2)
	v_cndmask_b32_e32 v32, v32, v4, vcc_lo
	v_cmp_eq_u32_e32 vcc_lo, 3, v28
	v_cndmask_b32_e32 v32, v32, v5, vcc_lo
	v_cmp_eq_u32_e32 vcc_lo, 4, v28
	s_delay_alu instid0(VALU_DEP_2) | instskip(SKIP_1) | instid1(VALU_DEP_2)
	v_cndmask_b32_e32 v32, v32, v6, vcc_lo
	;; [unrolled: 5-line block ×12, first 2 shown]
	v_cmp_eq_u32_e32 vcc_lo, 25, v28
	v_cndmask_b32_e32 v32, v32, v27, vcc_lo
	v_cmp_lt_u32_e32 vcc_lo, 12, v28
	s_wait_dscnt 0x0
	s_delay_alu instid0(VALU_DEP_2) | instskip(SKIP_1) | instid1(SALU_CYCLE_1)
	v_fmac_f32_e32 v30, v32, v33
	s_or_b32 s2, vcc_lo, s2
	s_and_not1_b32 exec_lo, exec_lo, s2
	s_cbranch_execnz .LBB25_525
; %bb.526:
	s_or_b32 exec_lo, exec_lo, s2
.LBB25_527:
	s_delay_alu instid0(SALU_CYCLE_1)
	s_or_b32 exec_lo, exec_lo, s1
	v_mov_b32_e32 v16, 0
	ds_load_b32 v16, v16 offset:56
	s_wait_dscnt 0x0
	v_mul_f32_e32 v16, v30, v16
.LBB25_528:
	s_or_b32 exec_lo, exec_lo, s0
	s_delay_alu instid0(SALU_CYCLE_1)
	s_mov_b32 s0, exec_lo
	ds_store_b32 v121, v17
	s_wait_dscnt 0x0
	s_barrier_signal -1
	s_barrier_wait -1
	v_cmpx_gt_u32_e32 15, v0
	s_cbranch_execz .LBB25_538
; %bb.529:
	v_cmp_ne_u32_e32 vcc_lo, 1, v34
	s_cbranch_vccnz .LBB25_531
; %bb.530:
	v_cmp_eq_u32_e32 vcc_lo, 1, v0
	ds_load_b32 v29, v121
	v_cndmask_b32_e32 v28, v2, v3, vcc_lo
	v_cmp_eq_u32_e32 vcc_lo, 2, v0
	s_delay_alu instid0(VALU_DEP_2) | instskip(SKIP_1) | instid1(VALU_DEP_2)
	v_cndmask_b32_e32 v28, v28, v4, vcc_lo
	v_cmp_eq_u32_e32 vcc_lo, 3, v0
	v_cndmask_b32_e32 v28, v28, v5, vcc_lo
	v_cmp_eq_u32_e32 vcc_lo, 4, v0
	s_delay_alu instid0(VALU_DEP_2) | instskip(SKIP_1) | instid1(VALU_DEP_2)
	v_cndmask_b32_e32 v28, v28, v6, vcc_lo
	v_cmp_eq_u32_e32 vcc_lo, 5, v0
	;; [unrolled: 5-line block ×12, first 2 shown]
	v_cndmask_b32_e32 v28, v28, v27, vcc_lo
	s_wait_dscnt 0x0
	s_delay_alu instid0(VALU_DEP_1)
	v_mul_f32_e32 v30, v28, v29
	s_cbranch_execz .LBB25_532
	s_branch .LBB25_533
.LBB25_531:
                                        ; implicit-def: $vgpr30
.LBB25_532:
	ds_load_b32 v30, v121
.LBB25_533:
	s_mov_b32 s1, exec_lo
	v_cmpx_ne_u32_e32 14, v0
	s_cbranch_execz .LBB25_537
; %bb.534:
	v_mov_b64_e32 v[28:29], v[0:1]
	v_lshl_add_u32 v31, v0, 2, 0x74
	s_mov_b32 s2, 0
.LBB25_535:                             ; =>This Inner Loop Header: Depth=1
	s_delay_alu instid0(VALU_DEP_2)
	v_add_nc_u64_e32 v[28:29], 1, v[28:29]
	ds_load_b32 v33, v31
	v_add_nc_u32_e32 v31, 4, v31
	v_cmp_eq_u32_e32 vcc_lo, 1, v28
	v_cndmask_b32_e32 v32, v2, v3, vcc_lo
	v_cmp_eq_u32_e32 vcc_lo, 2, v28
	s_delay_alu instid0(VALU_DEP_2) | instskip(SKIP_1) | instid1(VALU_DEP_2)
	v_cndmask_b32_e32 v32, v32, v4, vcc_lo
	v_cmp_eq_u32_e32 vcc_lo, 3, v28
	v_cndmask_b32_e32 v32, v32, v5, vcc_lo
	v_cmp_eq_u32_e32 vcc_lo, 4, v28
	s_delay_alu instid0(VALU_DEP_2) | instskip(SKIP_1) | instid1(VALU_DEP_2)
	v_cndmask_b32_e32 v32, v32, v6, vcc_lo
	;; [unrolled: 5-line block ×12, first 2 shown]
	v_cmp_eq_u32_e32 vcc_lo, 25, v28
	v_cndmask_b32_e32 v32, v32, v27, vcc_lo
	v_cmp_lt_u32_e32 vcc_lo, 13, v28
	s_wait_dscnt 0x0
	s_delay_alu instid0(VALU_DEP_2) | instskip(SKIP_1) | instid1(SALU_CYCLE_1)
	v_fmac_f32_e32 v30, v32, v33
	s_or_b32 s2, vcc_lo, s2
	s_and_not1_b32 exec_lo, exec_lo, s2
	s_cbranch_execnz .LBB25_535
; %bb.536:
	s_or_b32 exec_lo, exec_lo, s2
.LBB25_537:
	s_delay_alu instid0(SALU_CYCLE_1)
	s_or_b32 exec_lo, exec_lo, s1
	v_mov_b32_e32 v17, 0
	ds_load_b32 v17, v17 offset:60
	s_wait_dscnt 0x0
	v_mul_f32_e32 v17, v30, v17
.LBB25_538:
	s_or_b32 exec_lo, exec_lo, s0
	s_delay_alu instid0(SALU_CYCLE_1)
	s_mov_b32 s0, exec_lo
	ds_store_b32 v121, v18
	s_wait_dscnt 0x0
	s_barrier_signal -1
	s_barrier_wait -1
	v_cmpx_gt_u32_e32 16, v0
	s_cbranch_execz .LBB25_548
; %bb.539:
	v_cmp_ne_u32_e32 vcc_lo, 1, v34
	s_cbranch_vccnz .LBB25_541
; %bb.540:
	v_cmp_eq_u32_e32 vcc_lo, 1, v0
	ds_load_b32 v29, v121
	v_cndmask_b32_e32 v28, v2, v3, vcc_lo
	v_cmp_eq_u32_e32 vcc_lo, 2, v0
	s_delay_alu instid0(VALU_DEP_2) | instskip(SKIP_1) | instid1(VALU_DEP_2)
	v_cndmask_b32_e32 v28, v28, v4, vcc_lo
	v_cmp_eq_u32_e32 vcc_lo, 3, v0
	v_cndmask_b32_e32 v28, v28, v5, vcc_lo
	v_cmp_eq_u32_e32 vcc_lo, 4, v0
	s_delay_alu instid0(VALU_DEP_2) | instskip(SKIP_1) | instid1(VALU_DEP_2)
	v_cndmask_b32_e32 v28, v28, v6, vcc_lo
	v_cmp_eq_u32_e32 vcc_lo, 5, v0
	;; [unrolled: 5-line block ×12, first 2 shown]
	v_cndmask_b32_e32 v28, v28, v27, vcc_lo
	s_wait_dscnt 0x0
	s_delay_alu instid0(VALU_DEP_1)
	v_mul_f32_e32 v30, v28, v29
	s_cbranch_execz .LBB25_542
	s_branch .LBB25_543
.LBB25_541:
                                        ; implicit-def: $vgpr30
.LBB25_542:
	ds_load_b32 v30, v121
.LBB25_543:
	s_mov_b32 s1, exec_lo
	v_cmpx_ne_u32_e32 15, v0
	s_cbranch_execz .LBB25_547
; %bb.544:
	v_mov_b64_e32 v[28:29], v[0:1]
	v_lshl_add_u32 v31, v0, 2, 0x74
	s_mov_b32 s2, 0
.LBB25_545:                             ; =>This Inner Loop Header: Depth=1
	s_delay_alu instid0(VALU_DEP_2)
	v_add_nc_u64_e32 v[28:29], 1, v[28:29]
	ds_load_b32 v33, v31
	v_add_nc_u32_e32 v31, 4, v31
	v_cmp_eq_u32_e32 vcc_lo, 1, v28
	v_cndmask_b32_e32 v32, v2, v3, vcc_lo
	v_cmp_eq_u32_e32 vcc_lo, 2, v28
	s_delay_alu instid0(VALU_DEP_2) | instskip(SKIP_1) | instid1(VALU_DEP_2)
	v_cndmask_b32_e32 v32, v32, v4, vcc_lo
	v_cmp_eq_u32_e32 vcc_lo, 3, v28
	v_cndmask_b32_e32 v32, v32, v5, vcc_lo
	v_cmp_eq_u32_e32 vcc_lo, 4, v28
	s_delay_alu instid0(VALU_DEP_2) | instskip(SKIP_1) | instid1(VALU_DEP_2)
	v_cndmask_b32_e32 v32, v32, v6, vcc_lo
	;; [unrolled: 5-line block ×12, first 2 shown]
	v_cmp_eq_u32_e32 vcc_lo, 25, v28
	v_cndmask_b32_e32 v32, v32, v27, vcc_lo
	v_cmp_lt_u32_e32 vcc_lo, 14, v28
	s_wait_dscnt 0x0
	s_delay_alu instid0(VALU_DEP_2) | instskip(SKIP_1) | instid1(SALU_CYCLE_1)
	v_fmac_f32_e32 v30, v32, v33
	s_or_b32 s2, vcc_lo, s2
	s_and_not1_b32 exec_lo, exec_lo, s2
	s_cbranch_execnz .LBB25_545
; %bb.546:
	s_or_b32 exec_lo, exec_lo, s2
.LBB25_547:
	s_delay_alu instid0(SALU_CYCLE_1)
	s_or_b32 exec_lo, exec_lo, s1
	v_mov_b32_e32 v18, 0
	ds_load_b32 v18, v18 offset:64
	s_wait_dscnt 0x0
	v_mul_f32_e32 v18, v30, v18
.LBB25_548:
	s_or_b32 exec_lo, exec_lo, s0
	s_delay_alu instid0(SALU_CYCLE_1)
	s_mov_b32 s0, exec_lo
	ds_store_b32 v121, v19
	s_wait_dscnt 0x0
	s_barrier_signal -1
	s_barrier_wait -1
	v_cmpx_gt_u32_e32 17, v0
	s_cbranch_execz .LBB25_558
; %bb.549:
	v_cmp_ne_u32_e32 vcc_lo, 1, v34
	s_cbranch_vccnz .LBB25_551
; %bb.550:
	v_cmp_eq_u32_e32 vcc_lo, 1, v0
	ds_load_b32 v29, v121
	v_cndmask_b32_e32 v28, v2, v3, vcc_lo
	v_cmp_eq_u32_e32 vcc_lo, 2, v0
	s_delay_alu instid0(VALU_DEP_2) | instskip(SKIP_1) | instid1(VALU_DEP_2)
	v_cndmask_b32_e32 v28, v28, v4, vcc_lo
	v_cmp_eq_u32_e32 vcc_lo, 3, v0
	v_cndmask_b32_e32 v28, v28, v5, vcc_lo
	v_cmp_eq_u32_e32 vcc_lo, 4, v0
	s_delay_alu instid0(VALU_DEP_2) | instskip(SKIP_1) | instid1(VALU_DEP_2)
	v_cndmask_b32_e32 v28, v28, v6, vcc_lo
	v_cmp_eq_u32_e32 vcc_lo, 5, v0
	;; [unrolled: 5-line block ×12, first 2 shown]
	v_cndmask_b32_e32 v28, v28, v27, vcc_lo
	s_wait_dscnt 0x0
	s_delay_alu instid0(VALU_DEP_1)
	v_mul_f32_e32 v30, v28, v29
	s_cbranch_execz .LBB25_552
	s_branch .LBB25_553
.LBB25_551:
                                        ; implicit-def: $vgpr30
.LBB25_552:
	ds_load_b32 v30, v121
.LBB25_553:
	s_mov_b32 s1, exec_lo
	v_cmpx_ne_u32_e32 16, v0
	s_cbranch_execz .LBB25_557
; %bb.554:
	v_mov_b64_e32 v[28:29], v[0:1]
	v_lshl_add_u32 v31, v0, 2, 0x74
	s_mov_b32 s2, 0
.LBB25_555:                             ; =>This Inner Loop Header: Depth=1
	s_delay_alu instid0(VALU_DEP_2)
	v_add_nc_u64_e32 v[28:29], 1, v[28:29]
	ds_load_b32 v33, v31
	v_add_nc_u32_e32 v31, 4, v31
	v_cmp_eq_u32_e32 vcc_lo, 1, v28
	v_cndmask_b32_e32 v32, v2, v3, vcc_lo
	v_cmp_eq_u32_e32 vcc_lo, 2, v28
	s_delay_alu instid0(VALU_DEP_2) | instskip(SKIP_1) | instid1(VALU_DEP_2)
	v_cndmask_b32_e32 v32, v32, v4, vcc_lo
	v_cmp_eq_u32_e32 vcc_lo, 3, v28
	v_cndmask_b32_e32 v32, v32, v5, vcc_lo
	v_cmp_eq_u32_e32 vcc_lo, 4, v28
	s_delay_alu instid0(VALU_DEP_2) | instskip(SKIP_1) | instid1(VALU_DEP_2)
	v_cndmask_b32_e32 v32, v32, v6, vcc_lo
	;; [unrolled: 5-line block ×12, first 2 shown]
	v_cmp_eq_u32_e32 vcc_lo, 25, v28
	v_cndmask_b32_e32 v32, v32, v27, vcc_lo
	v_cmp_lt_u32_e32 vcc_lo, 15, v28
	s_wait_dscnt 0x0
	s_delay_alu instid0(VALU_DEP_2) | instskip(SKIP_1) | instid1(SALU_CYCLE_1)
	v_fmac_f32_e32 v30, v32, v33
	s_or_b32 s2, vcc_lo, s2
	s_and_not1_b32 exec_lo, exec_lo, s2
	s_cbranch_execnz .LBB25_555
; %bb.556:
	s_or_b32 exec_lo, exec_lo, s2
.LBB25_557:
	s_delay_alu instid0(SALU_CYCLE_1)
	s_or_b32 exec_lo, exec_lo, s1
	v_mov_b32_e32 v19, 0
	ds_load_b32 v19, v19 offset:68
	s_wait_dscnt 0x0
	v_mul_f32_e32 v19, v30, v19
.LBB25_558:
	s_or_b32 exec_lo, exec_lo, s0
	s_delay_alu instid0(SALU_CYCLE_1)
	s_mov_b32 s0, exec_lo
	ds_store_b32 v121, v20
	s_wait_dscnt 0x0
	s_barrier_signal -1
	s_barrier_wait -1
	v_cmpx_gt_u32_e32 18, v0
	s_cbranch_execz .LBB25_568
; %bb.559:
	v_cmp_ne_u32_e32 vcc_lo, 1, v34
	s_cbranch_vccnz .LBB25_561
; %bb.560:
	v_cmp_eq_u32_e32 vcc_lo, 1, v0
	ds_load_b32 v29, v121
	v_cndmask_b32_e32 v28, v2, v3, vcc_lo
	v_cmp_eq_u32_e32 vcc_lo, 2, v0
	s_delay_alu instid0(VALU_DEP_2) | instskip(SKIP_1) | instid1(VALU_DEP_2)
	v_cndmask_b32_e32 v28, v28, v4, vcc_lo
	v_cmp_eq_u32_e32 vcc_lo, 3, v0
	v_cndmask_b32_e32 v28, v28, v5, vcc_lo
	v_cmp_eq_u32_e32 vcc_lo, 4, v0
	s_delay_alu instid0(VALU_DEP_2) | instskip(SKIP_1) | instid1(VALU_DEP_2)
	v_cndmask_b32_e32 v28, v28, v6, vcc_lo
	v_cmp_eq_u32_e32 vcc_lo, 5, v0
	;; [unrolled: 5-line block ×12, first 2 shown]
	v_cndmask_b32_e32 v28, v28, v27, vcc_lo
	s_wait_dscnt 0x0
	s_delay_alu instid0(VALU_DEP_1)
	v_mul_f32_e32 v30, v28, v29
	s_cbranch_execz .LBB25_562
	s_branch .LBB25_563
.LBB25_561:
                                        ; implicit-def: $vgpr30
.LBB25_562:
	ds_load_b32 v30, v121
.LBB25_563:
	s_mov_b32 s1, exec_lo
	v_cmpx_ne_u32_e32 17, v0
	s_cbranch_execz .LBB25_567
; %bb.564:
	v_mov_b64_e32 v[28:29], v[0:1]
	v_lshl_add_u32 v31, v0, 2, 0x74
	s_mov_b32 s2, 0
.LBB25_565:                             ; =>This Inner Loop Header: Depth=1
	s_delay_alu instid0(VALU_DEP_2)
	v_add_nc_u64_e32 v[28:29], 1, v[28:29]
	ds_load_b32 v33, v31
	v_add_nc_u32_e32 v31, 4, v31
	v_cmp_eq_u32_e32 vcc_lo, 1, v28
	v_cndmask_b32_e32 v32, v2, v3, vcc_lo
	v_cmp_eq_u32_e32 vcc_lo, 2, v28
	s_delay_alu instid0(VALU_DEP_2) | instskip(SKIP_1) | instid1(VALU_DEP_2)
	v_cndmask_b32_e32 v32, v32, v4, vcc_lo
	v_cmp_eq_u32_e32 vcc_lo, 3, v28
	v_cndmask_b32_e32 v32, v32, v5, vcc_lo
	v_cmp_eq_u32_e32 vcc_lo, 4, v28
	s_delay_alu instid0(VALU_DEP_2) | instskip(SKIP_1) | instid1(VALU_DEP_2)
	v_cndmask_b32_e32 v32, v32, v6, vcc_lo
	;; [unrolled: 5-line block ×12, first 2 shown]
	v_cmp_eq_u32_e32 vcc_lo, 25, v28
	v_cndmask_b32_e32 v32, v32, v27, vcc_lo
	v_cmp_lt_u32_e32 vcc_lo, 16, v28
	s_wait_dscnt 0x0
	s_delay_alu instid0(VALU_DEP_2) | instskip(SKIP_1) | instid1(SALU_CYCLE_1)
	v_fmac_f32_e32 v30, v32, v33
	s_or_b32 s2, vcc_lo, s2
	s_and_not1_b32 exec_lo, exec_lo, s2
	s_cbranch_execnz .LBB25_565
; %bb.566:
	s_or_b32 exec_lo, exec_lo, s2
.LBB25_567:
	s_delay_alu instid0(SALU_CYCLE_1)
	s_or_b32 exec_lo, exec_lo, s1
	v_mov_b32_e32 v20, 0
	ds_load_b32 v20, v20 offset:72
	s_wait_dscnt 0x0
	v_mul_f32_e32 v20, v30, v20
.LBB25_568:
	s_or_b32 exec_lo, exec_lo, s0
	s_delay_alu instid0(SALU_CYCLE_1)
	s_mov_b32 s0, exec_lo
	ds_store_b32 v121, v21
	s_wait_dscnt 0x0
	s_barrier_signal -1
	s_barrier_wait -1
	v_cmpx_gt_u32_e32 19, v0
	s_cbranch_execz .LBB25_578
; %bb.569:
	v_cmp_ne_u32_e32 vcc_lo, 1, v34
	s_cbranch_vccnz .LBB25_571
; %bb.570:
	v_cmp_eq_u32_e32 vcc_lo, 1, v0
	ds_load_b32 v29, v121
	v_cndmask_b32_e32 v28, v2, v3, vcc_lo
	v_cmp_eq_u32_e32 vcc_lo, 2, v0
	s_delay_alu instid0(VALU_DEP_2) | instskip(SKIP_1) | instid1(VALU_DEP_2)
	v_cndmask_b32_e32 v28, v28, v4, vcc_lo
	v_cmp_eq_u32_e32 vcc_lo, 3, v0
	v_cndmask_b32_e32 v28, v28, v5, vcc_lo
	v_cmp_eq_u32_e32 vcc_lo, 4, v0
	s_delay_alu instid0(VALU_DEP_2) | instskip(SKIP_1) | instid1(VALU_DEP_2)
	v_cndmask_b32_e32 v28, v28, v6, vcc_lo
	v_cmp_eq_u32_e32 vcc_lo, 5, v0
	;; [unrolled: 5-line block ×12, first 2 shown]
	v_cndmask_b32_e32 v28, v28, v27, vcc_lo
	s_wait_dscnt 0x0
	s_delay_alu instid0(VALU_DEP_1)
	v_mul_f32_e32 v30, v28, v29
	s_cbranch_execz .LBB25_572
	s_branch .LBB25_573
.LBB25_571:
                                        ; implicit-def: $vgpr30
.LBB25_572:
	ds_load_b32 v30, v121
.LBB25_573:
	s_mov_b32 s1, exec_lo
	v_cmpx_ne_u32_e32 18, v0
	s_cbranch_execz .LBB25_577
; %bb.574:
	v_mov_b64_e32 v[28:29], v[0:1]
	v_lshl_add_u32 v31, v0, 2, 0x74
	s_mov_b32 s2, 0
.LBB25_575:                             ; =>This Inner Loop Header: Depth=1
	s_delay_alu instid0(VALU_DEP_2)
	v_add_nc_u64_e32 v[28:29], 1, v[28:29]
	ds_load_b32 v33, v31
	v_add_nc_u32_e32 v31, 4, v31
	v_cmp_eq_u32_e32 vcc_lo, 1, v28
	v_cndmask_b32_e32 v32, v2, v3, vcc_lo
	v_cmp_eq_u32_e32 vcc_lo, 2, v28
	s_delay_alu instid0(VALU_DEP_2) | instskip(SKIP_1) | instid1(VALU_DEP_2)
	v_cndmask_b32_e32 v32, v32, v4, vcc_lo
	v_cmp_eq_u32_e32 vcc_lo, 3, v28
	v_cndmask_b32_e32 v32, v32, v5, vcc_lo
	v_cmp_eq_u32_e32 vcc_lo, 4, v28
	s_delay_alu instid0(VALU_DEP_2) | instskip(SKIP_1) | instid1(VALU_DEP_2)
	v_cndmask_b32_e32 v32, v32, v6, vcc_lo
	v_cmp_eq_u32_e32 vcc_lo, 5, v28
	v_cndmask_b32_e32 v32, v32, v7, vcc_lo
	v_cmp_eq_u32_e32 vcc_lo, 6, v28
	s_delay_alu instid0(VALU_DEP_2) | instskip(SKIP_1) | instid1(VALU_DEP_2)
	v_cndmask_b32_e32 v32, v32, v8, vcc_lo
	v_cmp_eq_u32_e32 vcc_lo, 7, v28
	v_cndmask_b32_e32 v32, v32, v9, vcc_lo
	v_cmp_eq_u32_e32 vcc_lo, 8, v28
	s_delay_alu instid0(VALU_DEP_2) | instskip(SKIP_1) | instid1(VALU_DEP_2)
	v_cndmask_b32_e32 v32, v32, v10, vcc_lo
	v_cmp_eq_u32_e32 vcc_lo, 9, v28
	v_cndmask_b32_e32 v32, v32, v11, vcc_lo
	v_cmp_eq_u32_e32 vcc_lo, 10, v28
	s_delay_alu instid0(VALU_DEP_2) | instskip(SKIP_1) | instid1(VALU_DEP_2)
	v_cndmask_b32_e32 v32, v32, v12, vcc_lo
	v_cmp_eq_u32_e32 vcc_lo, 11, v28
	v_cndmask_b32_e32 v32, v32, v13, vcc_lo
	v_cmp_eq_u32_e32 vcc_lo, 12, v28
	s_delay_alu instid0(VALU_DEP_2) | instskip(SKIP_1) | instid1(VALU_DEP_2)
	v_cndmask_b32_e32 v32, v32, v14, vcc_lo
	v_cmp_eq_u32_e32 vcc_lo, 13, v28
	v_cndmask_b32_e32 v32, v32, v15, vcc_lo
	v_cmp_eq_u32_e32 vcc_lo, 14, v28
	s_delay_alu instid0(VALU_DEP_2) | instskip(SKIP_1) | instid1(VALU_DEP_2)
	v_cndmask_b32_e32 v32, v32, v16, vcc_lo
	v_cmp_eq_u32_e32 vcc_lo, 15, v28
	v_cndmask_b32_e32 v32, v32, v17, vcc_lo
	v_cmp_eq_u32_e32 vcc_lo, 16, v28
	s_delay_alu instid0(VALU_DEP_2) | instskip(SKIP_1) | instid1(VALU_DEP_2)
	v_cndmask_b32_e32 v32, v32, v18, vcc_lo
	v_cmp_eq_u32_e32 vcc_lo, 17, v28
	v_cndmask_b32_e32 v32, v32, v19, vcc_lo
	v_cmp_eq_u32_e32 vcc_lo, 18, v28
	s_delay_alu instid0(VALU_DEP_2) | instskip(SKIP_1) | instid1(VALU_DEP_2)
	v_cndmask_b32_e32 v32, v32, v20, vcc_lo
	v_cmp_eq_u32_e32 vcc_lo, 19, v28
	v_cndmask_b32_e32 v32, v32, v21, vcc_lo
	v_cmp_eq_u32_e32 vcc_lo, 20, v28
	s_delay_alu instid0(VALU_DEP_2) | instskip(SKIP_1) | instid1(VALU_DEP_2)
	v_cndmask_b32_e32 v32, v32, v22, vcc_lo
	v_cmp_eq_u32_e32 vcc_lo, 21, v28
	v_cndmask_b32_e32 v32, v32, v23, vcc_lo
	v_cmp_eq_u32_e32 vcc_lo, 22, v28
	s_delay_alu instid0(VALU_DEP_2) | instskip(SKIP_1) | instid1(VALU_DEP_2)
	v_cndmask_b32_e32 v32, v32, v24, vcc_lo
	v_cmp_eq_u32_e32 vcc_lo, 23, v28
	v_cndmask_b32_e32 v32, v32, v25, vcc_lo
	v_cmp_eq_u32_e32 vcc_lo, 24, v28
	s_delay_alu instid0(VALU_DEP_2) | instskip(SKIP_1) | instid1(VALU_DEP_2)
	v_cndmask_b32_e32 v32, v32, v26, vcc_lo
	v_cmp_eq_u32_e32 vcc_lo, 25, v28
	v_cndmask_b32_e32 v32, v32, v27, vcc_lo
	v_cmp_lt_u32_e32 vcc_lo, 17, v28
	s_wait_dscnt 0x0
	s_delay_alu instid0(VALU_DEP_2) | instskip(SKIP_1) | instid1(SALU_CYCLE_1)
	v_fmac_f32_e32 v30, v32, v33
	s_or_b32 s2, vcc_lo, s2
	s_and_not1_b32 exec_lo, exec_lo, s2
	s_cbranch_execnz .LBB25_575
; %bb.576:
	s_or_b32 exec_lo, exec_lo, s2
.LBB25_577:
	s_delay_alu instid0(SALU_CYCLE_1)
	s_or_b32 exec_lo, exec_lo, s1
	v_mov_b32_e32 v21, 0
	ds_load_b32 v21, v21 offset:76
	s_wait_dscnt 0x0
	v_mul_f32_e32 v21, v30, v21
.LBB25_578:
	s_or_b32 exec_lo, exec_lo, s0
	s_delay_alu instid0(SALU_CYCLE_1)
	s_mov_b32 s0, exec_lo
	ds_store_b32 v121, v22
	s_wait_dscnt 0x0
	s_barrier_signal -1
	s_barrier_wait -1
	v_cmpx_gt_u32_e32 20, v0
	s_cbranch_execz .LBB25_588
; %bb.579:
	v_cmp_ne_u32_e32 vcc_lo, 1, v34
	s_cbranch_vccnz .LBB25_581
; %bb.580:
	v_cmp_eq_u32_e32 vcc_lo, 1, v0
	ds_load_b32 v29, v121
	v_cndmask_b32_e32 v28, v2, v3, vcc_lo
	v_cmp_eq_u32_e32 vcc_lo, 2, v0
	s_delay_alu instid0(VALU_DEP_2) | instskip(SKIP_1) | instid1(VALU_DEP_2)
	v_cndmask_b32_e32 v28, v28, v4, vcc_lo
	v_cmp_eq_u32_e32 vcc_lo, 3, v0
	v_cndmask_b32_e32 v28, v28, v5, vcc_lo
	v_cmp_eq_u32_e32 vcc_lo, 4, v0
	s_delay_alu instid0(VALU_DEP_2) | instskip(SKIP_1) | instid1(VALU_DEP_2)
	v_cndmask_b32_e32 v28, v28, v6, vcc_lo
	v_cmp_eq_u32_e32 vcc_lo, 5, v0
	;; [unrolled: 5-line block ×12, first 2 shown]
	v_cndmask_b32_e32 v28, v28, v27, vcc_lo
	s_wait_dscnt 0x0
	s_delay_alu instid0(VALU_DEP_1)
	v_mul_f32_e32 v30, v28, v29
	s_cbranch_execz .LBB25_582
	s_branch .LBB25_583
.LBB25_581:
                                        ; implicit-def: $vgpr30
.LBB25_582:
	ds_load_b32 v30, v121
.LBB25_583:
	s_mov_b32 s1, exec_lo
	v_cmpx_ne_u32_e32 19, v0
	s_cbranch_execz .LBB25_587
; %bb.584:
	v_mov_b64_e32 v[28:29], v[0:1]
	v_lshl_add_u32 v31, v0, 2, 0x74
	s_mov_b32 s2, 0
.LBB25_585:                             ; =>This Inner Loop Header: Depth=1
	s_delay_alu instid0(VALU_DEP_2)
	v_add_nc_u64_e32 v[28:29], 1, v[28:29]
	ds_load_b32 v33, v31
	v_add_nc_u32_e32 v31, 4, v31
	v_cmp_eq_u32_e32 vcc_lo, 1, v28
	v_cndmask_b32_e32 v32, v2, v3, vcc_lo
	v_cmp_eq_u32_e32 vcc_lo, 2, v28
	s_delay_alu instid0(VALU_DEP_2) | instskip(SKIP_1) | instid1(VALU_DEP_2)
	v_cndmask_b32_e32 v32, v32, v4, vcc_lo
	v_cmp_eq_u32_e32 vcc_lo, 3, v28
	v_cndmask_b32_e32 v32, v32, v5, vcc_lo
	v_cmp_eq_u32_e32 vcc_lo, 4, v28
	s_delay_alu instid0(VALU_DEP_2) | instskip(SKIP_1) | instid1(VALU_DEP_2)
	v_cndmask_b32_e32 v32, v32, v6, vcc_lo
	;; [unrolled: 5-line block ×12, first 2 shown]
	v_cmp_eq_u32_e32 vcc_lo, 25, v28
	v_cndmask_b32_e32 v32, v32, v27, vcc_lo
	v_cmp_lt_u32_e32 vcc_lo, 18, v28
	s_wait_dscnt 0x0
	s_delay_alu instid0(VALU_DEP_2) | instskip(SKIP_1) | instid1(SALU_CYCLE_1)
	v_fmac_f32_e32 v30, v32, v33
	s_or_b32 s2, vcc_lo, s2
	s_and_not1_b32 exec_lo, exec_lo, s2
	s_cbranch_execnz .LBB25_585
; %bb.586:
	s_or_b32 exec_lo, exec_lo, s2
.LBB25_587:
	s_delay_alu instid0(SALU_CYCLE_1)
	s_or_b32 exec_lo, exec_lo, s1
	v_mov_b32_e32 v22, 0
	ds_load_b32 v22, v22 offset:80
	s_wait_dscnt 0x0
	v_mul_f32_e32 v22, v30, v22
.LBB25_588:
	s_or_b32 exec_lo, exec_lo, s0
	s_delay_alu instid0(SALU_CYCLE_1)
	s_mov_b32 s0, exec_lo
	ds_store_b32 v121, v23
	s_wait_dscnt 0x0
	s_barrier_signal -1
	s_barrier_wait -1
	v_cmpx_gt_u32_e32 21, v0
	s_cbranch_execz .LBB25_598
; %bb.589:
	v_cmp_ne_u32_e32 vcc_lo, 1, v34
	s_cbranch_vccnz .LBB25_591
; %bb.590:
	v_cmp_eq_u32_e32 vcc_lo, 1, v0
	ds_load_b32 v29, v121
	v_cndmask_b32_e32 v28, v2, v3, vcc_lo
	v_cmp_eq_u32_e32 vcc_lo, 2, v0
	s_delay_alu instid0(VALU_DEP_2) | instskip(SKIP_1) | instid1(VALU_DEP_2)
	v_cndmask_b32_e32 v28, v28, v4, vcc_lo
	v_cmp_eq_u32_e32 vcc_lo, 3, v0
	v_cndmask_b32_e32 v28, v28, v5, vcc_lo
	v_cmp_eq_u32_e32 vcc_lo, 4, v0
	s_delay_alu instid0(VALU_DEP_2) | instskip(SKIP_1) | instid1(VALU_DEP_2)
	v_cndmask_b32_e32 v28, v28, v6, vcc_lo
	v_cmp_eq_u32_e32 vcc_lo, 5, v0
	;; [unrolled: 5-line block ×12, first 2 shown]
	v_cndmask_b32_e32 v28, v28, v27, vcc_lo
	s_wait_dscnt 0x0
	s_delay_alu instid0(VALU_DEP_1)
	v_mul_f32_e32 v30, v28, v29
	s_cbranch_execz .LBB25_592
	s_branch .LBB25_593
.LBB25_591:
                                        ; implicit-def: $vgpr30
.LBB25_592:
	ds_load_b32 v30, v121
.LBB25_593:
	s_mov_b32 s1, exec_lo
	v_cmpx_ne_u32_e32 20, v0
	s_cbranch_execz .LBB25_597
; %bb.594:
	v_mov_b64_e32 v[28:29], v[0:1]
	v_lshl_add_u32 v31, v0, 2, 0x74
	s_mov_b32 s2, 0
.LBB25_595:                             ; =>This Inner Loop Header: Depth=1
	s_delay_alu instid0(VALU_DEP_2)
	v_add_nc_u64_e32 v[28:29], 1, v[28:29]
	ds_load_b32 v33, v31
	v_add_nc_u32_e32 v31, 4, v31
	v_cmp_eq_u32_e32 vcc_lo, 1, v28
	v_cndmask_b32_e32 v32, v2, v3, vcc_lo
	v_cmp_eq_u32_e32 vcc_lo, 2, v28
	s_delay_alu instid0(VALU_DEP_2) | instskip(SKIP_1) | instid1(VALU_DEP_2)
	v_cndmask_b32_e32 v32, v32, v4, vcc_lo
	v_cmp_eq_u32_e32 vcc_lo, 3, v28
	v_cndmask_b32_e32 v32, v32, v5, vcc_lo
	v_cmp_eq_u32_e32 vcc_lo, 4, v28
	s_delay_alu instid0(VALU_DEP_2) | instskip(SKIP_1) | instid1(VALU_DEP_2)
	v_cndmask_b32_e32 v32, v32, v6, vcc_lo
	;; [unrolled: 5-line block ×12, first 2 shown]
	v_cmp_eq_u32_e32 vcc_lo, 25, v28
	v_cndmask_b32_e32 v32, v32, v27, vcc_lo
	v_cmp_lt_u32_e32 vcc_lo, 19, v28
	s_wait_dscnt 0x0
	s_delay_alu instid0(VALU_DEP_2) | instskip(SKIP_1) | instid1(SALU_CYCLE_1)
	v_fmac_f32_e32 v30, v32, v33
	s_or_b32 s2, vcc_lo, s2
	s_and_not1_b32 exec_lo, exec_lo, s2
	s_cbranch_execnz .LBB25_595
; %bb.596:
	s_or_b32 exec_lo, exec_lo, s2
.LBB25_597:
	s_delay_alu instid0(SALU_CYCLE_1)
	s_or_b32 exec_lo, exec_lo, s1
	v_mov_b32_e32 v23, 0
	ds_load_b32 v23, v23 offset:84
	s_wait_dscnt 0x0
	v_mul_f32_e32 v23, v30, v23
.LBB25_598:
	s_or_b32 exec_lo, exec_lo, s0
	s_delay_alu instid0(SALU_CYCLE_1)
	s_mov_b32 s0, exec_lo
	ds_store_b32 v121, v24
	s_wait_dscnt 0x0
	s_barrier_signal -1
	s_barrier_wait -1
	v_cmpx_gt_u32_e32 22, v0
	s_cbranch_execz .LBB25_608
; %bb.599:
	v_cmp_ne_u32_e32 vcc_lo, 1, v34
	s_cbranch_vccnz .LBB25_601
; %bb.600:
	v_cmp_eq_u32_e32 vcc_lo, 1, v0
	ds_load_b32 v29, v121
	v_cndmask_b32_e32 v28, v2, v3, vcc_lo
	v_cmp_eq_u32_e32 vcc_lo, 2, v0
	s_delay_alu instid0(VALU_DEP_2) | instskip(SKIP_1) | instid1(VALU_DEP_2)
	v_cndmask_b32_e32 v28, v28, v4, vcc_lo
	v_cmp_eq_u32_e32 vcc_lo, 3, v0
	v_cndmask_b32_e32 v28, v28, v5, vcc_lo
	v_cmp_eq_u32_e32 vcc_lo, 4, v0
	s_delay_alu instid0(VALU_DEP_2) | instskip(SKIP_1) | instid1(VALU_DEP_2)
	v_cndmask_b32_e32 v28, v28, v6, vcc_lo
	v_cmp_eq_u32_e32 vcc_lo, 5, v0
	;; [unrolled: 5-line block ×12, first 2 shown]
	v_cndmask_b32_e32 v28, v28, v27, vcc_lo
	s_wait_dscnt 0x0
	s_delay_alu instid0(VALU_DEP_1)
	v_mul_f32_e32 v30, v28, v29
	s_cbranch_execz .LBB25_602
	s_branch .LBB25_603
.LBB25_601:
                                        ; implicit-def: $vgpr30
.LBB25_602:
	ds_load_b32 v30, v121
.LBB25_603:
	s_mov_b32 s1, exec_lo
	v_cmpx_ne_u32_e32 21, v0
	s_cbranch_execz .LBB25_607
; %bb.604:
	v_mov_b64_e32 v[28:29], v[0:1]
	v_lshl_add_u32 v31, v0, 2, 0x74
	s_mov_b32 s2, 0
.LBB25_605:                             ; =>This Inner Loop Header: Depth=1
	s_delay_alu instid0(VALU_DEP_2)
	v_add_nc_u64_e32 v[28:29], 1, v[28:29]
	ds_load_b32 v33, v31
	v_add_nc_u32_e32 v31, 4, v31
	v_cmp_eq_u32_e32 vcc_lo, 1, v28
	v_cndmask_b32_e32 v32, v2, v3, vcc_lo
	v_cmp_eq_u32_e32 vcc_lo, 2, v28
	s_delay_alu instid0(VALU_DEP_2) | instskip(SKIP_1) | instid1(VALU_DEP_2)
	v_cndmask_b32_e32 v32, v32, v4, vcc_lo
	v_cmp_eq_u32_e32 vcc_lo, 3, v28
	v_cndmask_b32_e32 v32, v32, v5, vcc_lo
	v_cmp_eq_u32_e32 vcc_lo, 4, v28
	s_delay_alu instid0(VALU_DEP_2) | instskip(SKIP_1) | instid1(VALU_DEP_2)
	v_cndmask_b32_e32 v32, v32, v6, vcc_lo
	;; [unrolled: 5-line block ×12, first 2 shown]
	v_cmp_eq_u32_e32 vcc_lo, 25, v28
	v_cndmask_b32_e32 v32, v32, v27, vcc_lo
	v_cmp_lt_u32_e32 vcc_lo, 20, v28
	s_wait_dscnt 0x0
	s_delay_alu instid0(VALU_DEP_2) | instskip(SKIP_1) | instid1(SALU_CYCLE_1)
	v_fmac_f32_e32 v30, v32, v33
	s_or_b32 s2, vcc_lo, s2
	s_and_not1_b32 exec_lo, exec_lo, s2
	s_cbranch_execnz .LBB25_605
; %bb.606:
	s_or_b32 exec_lo, exec_lo, s2
.LBB25_607:
	s_delay_alu instid0(SALU_CYCLE_1)
	s_or_b32 exec_lo, exec_lo, s1
	v_mov_b32_e32 v24, 0
	ds_load_b32 v24, v24 offset:88
	s_wait_dscnt 0x0
	v_mul_f32_e32 v24, v30, v24
.LBB25_608:
	s_or_b32 exec_lo, exec_lo, s0
	s_delay_alu instid0(SALU_CYCLE_1)
	s_mov_b32 s0, exec_lo
	ds_store_b32 v121, v25
	s_wait_dscnt 0x0
	s_barrier_signal -1
	s_barrier_wait -1
	v_cmpx_gt_u32_e32 23, v0
	s_cbranch_execz .LBB25_618
; %bb.609:
	v_cmp_ne_u32_e32 vcc_lo, 1, v34
	s_cbranch_vccnz .LBB25_611
; %bb.610:
	v_cmp_eq_u32_e32 vcc_lo, 1, v0
	ds_load_b32 v29, v121
	v_cndmask_b32_e32 v28, v2, v3, vcc_lo
	v_cmp_eq_u32_e32 vcc_lo, 2, v0
	s_delay_alu instid0(VALU_DEP_2) | instskip(SKIP_1) | instid1(VALU_DEP_2)
	v_cndmask_b32_e32 v28, v28, v4, vcc_lo
	v_cmp_eq_u32_e32 vcc_lo, 3, v0
	v_cndmask_b32_e32 v28, v28, v5, vcc_lo
	v_cmp_eq_u32_e32 vcc_lo, 4, v0
	s_delay_alu instid0(VALU_DEP_2) | instskip(SKIP_1) | instid1(VALU_DEP_2)
	v_cndmask_b32_e32 v28, v28, v6, vcc_lo
	v_cmp_eq_u32_e32 vcc_lo, 5, v0
	;; [unrolled: 5-line block ×12, first 2 shown]
	v_cndmask_b32_e32 v28, v28, v27, vcc_lo
	s_wait_dscnt 0x0
	s_delay_alu instid0(VALU_DEP_1)
	v_mul_f32_e32 v30, v28, v29
	s_cbranch_execz .LBB25_612
	s_branch .LBB25_613
.LBB25_611:
                                        ; implicit-def: $vgpr30
.LBB25_612:
	ds_load_b32 v30, v121
.LBB25_613:
	s_mov_b32 s1, exec_lo
	v_cmpx_ne_u32_e32 22, v0
	s_cbranch_execz .LBB25_617
; %bb.614:
	v_mov_b64_e32 v[28:29], v[0:1]
	v_lshl_add_u32 v31, v0, 2, 0x74
	s_mov_b32 s2, 0
.LBB25_615:                             ; =>This Inner Loop Header: Depth=1
	s_delay_alu instid0(VALU_DEP_2)
	v_add_nc_u64_e32 v[28:29], 1, v[28:29]
	ds_load_b32 v33, v31
	v_add_nc_u32_e32 v31, 4, v31
	v_cmp_eq_u32_e32 vcc_lo, 1, v28
	v_cndmask_b32_e32 v32, v2, v3, vcc_lo
	v_cmp_eq_u32_e32 vcc_lo, 2, v28
	s_delay_alu instid0(VALU_DEP_2) | instskip(SKIP_1) | instid1(VALU_DEP_2)
	v_cndmask_b32_e32 v32, v32, v4, vcc_lo
	v_cmp_eq_u32_e32 vcc_lo, 3, v28
	v_cndmask_b32_e32 v32, v32, v5, vcc_lo
	v_cmp_eq_u32_e32 vcc_lo, 4, v28
	s_delay_alu instid0(VALU_DEP_2) | instskip(SKIP_1) | instid1(VALU_DEP_2)
	v_cndmask_b32_e32 v32, v32, v6, vcc_lo
	;; [unrolled: 5-line block ×12, first 2 shown]
	v_cmp_eq_u32_e32 vcc_lo, 25, v28
	v_cndmask_b32_e32 v32, v32, v27, vcc_lo
	v_cmp_lt_u32_e32 vcc_lo, 21, v28
	s_wait_dscnt 0x0
	s_delay_alu instid0(VALU_DEP_2) | instskip(SKIP_1) | instid1(SALU_CYCLE_1)
	v_fmac_f32_e32 v30, v32, v33
	s_or_b32 s2, vcc_lo, s2
	s_and_not1_b32 exec_lo, exec_lo, s2
	s_cbranch_execnz .LBB25_615
; %bb.616:
	s_or_b32 exec_lo, exec_lo, s2
.LBB25_617:
	s_delay_alu instid0(SALU_CYCLE_1)
	s_or_b32 exec_lo, exec_lo, s1
	v_mov_b32_e32 v25, 0
	ds_load_b32 v25, v25 offset:92
	s_wait_dscnt 0x0
	v_mul_f32_e32 v25, v30, v25
.LBB25_618:
	s_or_b32 exec_lo, exec_lo, s0
	v_cmp_gt_u32_e64 s0, 24, v0
	ds_store_b32 v121, v26
	s_wait_dscnt 0x0
	s_barrier_signal -1
	s_barrier_wait -1
	s_and_saveexec_b32 s1, s0
	s_cbranch_execz .LBB25_628
; %bb.619:
	v_cmp_ne_u32_e32 vcc_lo, 1, v34
	s_cbranch_vccnz .LBB25_621
; %bb.620:
	v_cmp_eq_u32_e32 vcc_lo, 1, v0
	ds_load_b32 v29, v121
	v_cndmask_b32_e32 v28, v2, v3, vcc_lo
	v_cmp_eq_u32_e32 vcc_lo, 2, v0
	s_delay_alu instid0(VALU_DEP_2) | instskip(SKIP_1) | instid1(VALU_DEP_2)
	v_cndmask_b32_e32 v28, v28, v4, vcc_lo
	v_cmp_eq_u32_e32 vcc_lo, 3, v0
	v_cndmask_b32_e32 v28, v28, v5, vcc_lo
	v_cmp_eq_u32_e32 vcc_lo, 4, v0
	s_delay_alu instid0(VALU_DEP_2) | instskip(SKIP_1) | instid1(VALU_DEP_2)
	v_cndmask_b32_e32 v28, v28, v6, vcc_lo
	v_cmp_eq_u32_e32 vcc_lo, 5, v0
	;; [unrolled: 5-line block ×12, first 2 shown]
	v_cndmask_b32_e32 v28, v28, v27, vcc_lo
	s_wait_dscnt 0x0
	s_delay_alu instid0(VALU_DEP_1)
	v_mul_f32_e32 v30, v28, v29
	s_cbranch_execz .LBB25_622
	s_branch .LBB25_623
.LBB25_621:
                                        ; implicit-def: $vgpr30
.LBB25_622:
	ds_load_b32 v30, v121
.LBB25_623:
	s_mov_b32 s2, exec_lo
	v_cmpx_ne_u32_e32 23, v0
	s_cbranch_execz .LBB25_627
; %bb.624:
	v_mov_b64_e32 v[28:29], v[0:1]
	v_lshl_add_u32 v31, v0, 2, 0x74
	s_mov_b32 s3, 0
.LBB25_625:                             ; =>This Inner Loop Header: Depth=1
	s_delay_alu instid0(VALU_DEP_2)
	v_add_nc_u64_e32 v[28:29], 1, v[28:29]
	ds_load_b32 v33, v31
	v_add_nc_u32_e32 v31, 4, v31
	v_cmp_eq_u32_e32 vcc_lo, 1, v28
	v_cndmask_b32_e32 v32, v2, v3, vcc_lo
	v_cmp_eq_u32_e32 vcc_lo, 2, v28
	s_delay_alu instid0(VALU_DEP_2) | instskip(SKIP_1) | instid1(VALU_DEP_2)
	v_cndmask_b32_e32 v32, v32, v4, vcc_lo
	v_cmp_eq_u32_e32 vcc_lo, 3, v28
	v_cndmask_b32_e32 v32, v32, v5, vcc_lo
	v_cmp_eq_u32_e32 vcc_lo, 4, v28
	s_delay_alu instid0(VALU_DEP_2) | instskip(SKIP_1) | instid1(VALU_DEP_2)
	v_cndmask_b32_e32 v32, v32, v6, vcc_lo
	;; [unrolled: 5-line block ×12, first 2 shown]
	v_cmp_eq_u32_e32 vcc_lo, 25, v28
	v_cndmask_b32_e32 v32, v32, v27, vcc_lo
	v_cmp_lt_u32_e32 vcc_lo, 22, v28
	s_wait_dscnt 0x0
	s_delay_alu instid0(VALU_DEP_2) | instskip(SKIP_1) | instid1(SALU_CYCLE_1)
	v_fmac_f32_e32 v30, v32, v33
	s_or_b32 s3, vcc_lo, s3
	s_and_not1_b32 exec_lo, exec_lo, s3
	s_cbranch_execnz .LBB25_625
; %bb.626:
	s_or_b32 exec_lo, exec_lo, s3
.LBB25_627:
	s_delay_alu instid0(SALU_CYCLE_1)
	s_or_b32 exec_lo, exec_lo, s2
	v_mov_b32_e32 v26, 0
	ds_load_b32 v26, v26 offset:96
	s_wait_dscnt 0x0
	v_mul_f32_e32 v26, v30, v26
.LBB25_628:
	s_or_b32 exec_lo, exec_lo, s1
	s_delay_alu instid0(SALU_CYCLE_1)
	s_mov_b32 s1, exec_lo
	ds_store_b32 v121, v27
	s_wait_dscnt 0x0
	s_barrier_signal -1
	s_barrier_wait -1
	v_cmpx_ne_u32_e32 25, v0
	s_cbranch_execz .LBB25_638
; %bb.629:
	v_cmp_ne_u32_e32 vcc_lo, 1, v34
	s_cbranch_vccnz .LBB25_631
; %bb.630:
	v_cmp_eq_u32_e32 vcc_lo, 1, v0
	ds_load_b32 v29, v121
	v_cndmask_b32_e32 v28, v2, v3, vcc_lo
	v_cmp_eq_u32_e32 vcc_lo, 2, v0
	s_delay_alu instid0(VALU_DEP_2) | instskip(SKIP_1) | instid1(VALU_DEP_2)
	v_cndmask_b32_e32 v28, v28, v4, vcc_lo
	v_cmp_eq_u32_e32 vcc_lo, 3, v0
	v_cndmask_b32_e32 v28, v28, v5, vcc_lo
	v_cmp_eq_u32_e32 vcc_lo, 4, v0
	s_delay_alu instid0(VALU_DEP_2) | instskip(SKIP_1) | instid1(VALU_DEP_2)
	v_cndmask_b32_e32 v28, v28, v6, vcc_lo
	v_cmp_eq_u32_e32 vcc_lo, 5, v0
	;; [unrolled: 5-line block ×12, first 2 shown]
	v_cndmask_b32_e32 v28, v28, v27, vcc_lo
	s_wait_dscnt 0x0
	s_delay_alu instid0(VALU_DEP_1)
	v_mul_f32_e32 v28, v28, v29
	s_cbranch_execz .LBB25_632
	s_branch .LBB25_633
.LBB25_631:
                                        ; implicit-def: $vgpr28
.LBB25_632:
	ds_load_b32 v28, v121
.LBB25_633:
	s_and_saveexec_b32 s2, s0
	s_cbranch_execz .LBB25_637
; %bb.634:
	v_lshl_add_u32 v29, v0, 2, 0x74
	s_mov_b32 s0, 0
.LBB25_635:                             ; =>This Inner Loop Header: Depth=1
	v_add_nc_u64_e32 v[0:1], 1, v[0:1]
	ds_load_b32 v31, v29
	v_add_nc_u32_e32 v29, 4, v29
	v_cmp_eq_u32_e32 vcc_lo, 1, v0
	v_cndmask_b32_e32 v30, v2, v3, vcc_lo
	v_cmp_eq_u32_e32 vcc_lo, 2, v0
	s_delay_alu instid0(VALU_DEP_2) | instskip(SKIP_1) | instid1(VALU_DEP_2)
	v_cndmask_b32_e32 v30, v30, v4, vcc_lo
	v_cmp_eq_u32_e32 vcc_lo, 3, v0
	v_cndmask_b32_e32 v30, v30, v5, vcc_lo
	v_cmp_eq_u32_e32 vcc_lo, 4, v0
	s_delay_alu instid0(VALU_DEP_2) | instskip(SKIP_1) | instid1(VALU_DEP_2)
	v_cndmask_b32_e32 v30, v30, v6, vcc_lo
	;; [unrolled: 5-line block ×12, first 2 shown]
	v_cmp_eq_u32_e32 vcc_lo, 25, v0
	v_cndmask_b32_e32 v30, v30, v27, vcc_lo
	v_cmp_lt_u32_e32 vcc_lo, 23, v0
	s_wait_dscnt 0x0
	s_delay_alu instid0(VALU_DEP_2) | instskip(SKIP_1) | instid1(SALU_CYCLE_1)
	v_fmac_f32_e32 v28, v30, v31
	s_or_b32 s0, vcc_lo, s0
	s_and_not1_b32 exec_lo, exec_lo, s0
	s_cbranch_execnz .LBB25_635
; %bb.636:
	s_or_b32 exec_lo, exec_lo, s0
.LBB25_637:
	s_delay_alu instid0(SALU_CYCLE_1)
	s_or_b32 exec_lo, exec_lo, s2
	v_mov_b32_e32 v0, 0
	ds_load_b32 v0, v0 offset:100
	s_wait_dscnt 0x0
	v_mul_f32_e32 v27, v28, v0
.LBB25_638:
	s_or_b32 exec_lo, exec_lo, s1
	v_mov_b64_e32 v[64:65], v[32:33]
	s_delay_alu instid0(VALU_DEP_2)
	v_mov_b64_e32 v[58:59], v[26:27]
	v_mov_b64_e32 v[56:57], v[24:25]
	v_mov_b64_e32 v[54:55], v[22:23]
	v_mov_b64_e32 v[52:53], v[20:21]
	v_mov_b64_e32 v[50:51], v[18:19]
	v_mov_b64_e32 v[48:49], v[16:17]
	v_mov_b64_e32 v[46:47], v[14:15]
	v_mov_b64_e32 v[44:45], v[12:13]
	v_mov_b64_e32 v[42:43], v[10:11]
	v_mov_b64_e32 v[40:41], v[8:9]
	v_mov_b64_e32 v[38:39], v[6:7]
	v_mov_b64_e32 v[36:37], v[4:5]
	v_mov_b64_e32 v[34:35], v[2:3]
	v_mov_b64_e32 v[62:63], v[30:31]
	v_mov_b64_e32 v[60:61], v[28:29]
.LBB25_639:
	s_wait_xcnt 0x1
	v_lshl_add_u64 v[0:1], v[66:67], 2, s[26:27]
	s_wait_loadcnt 0x1
	v_lshl_add_u64 v[2:3], v[68:69], 2, s[26:27]
	v_lshl_add_u64 v[4:5], v[70:71], 2, s[26:27]
	;; [unrolled: 1-line block ×12, first 2 shown]
	s_wait_loadcnt 0x0
	v_lshl_add_u64 v[26:27], v[92:93], 2, s[26:27]
	v_lshl_add_u64 v[28:29], v[94:95], 2, s[26:27]
	;; [unrolled: 1-line block ×11, first 2 shown]
	s_clause 0x19
	global_store_b32 v[100:101], v34, off
	global_store_b32 v[104:105], v35, off
	;; [unrolled: 1-line block ×26, first 2 shown]
.LBB25_640:
	s_sendmsg sendmsg(MSG_DEALLOC_VGPRS)
	s_endpgm
	.section	.rodata,"a",@progbits
	.p2align	6, 0x0
	.amdhsa_kernel _ZN9rocsolver6v33100L18trti2_kernel_smallILi26EfPfEEv13rocblas_fill_17rocblas_diagonal_T1_iil
		.amdhsa_group_segment_fixed_size 216
		.amdhsa_private_segment_fixed_size 0
		.amdhsa_kernarg_size 32
		.amdhsa_user_sgpr_count 2
		.amdhsa_user_sgpr_dispatch_ptr 0
		.amdhsa_user_sgpr_queue_ptr 0
		.amdhsa_user_sgpr_kernarg_segment_ptr 1
		.amdhsa_user_sgpr_dispatch_id 0
		.amdhsa_user_sgpr_kernarg_preload_length 0
		.amdhsa_user_sgpr_kernarg_preload_offset 0
		.amdhsa_user_sgpr_private_segment_size 0
		.amdhsa_wavefront_size32 1
		.amdhsa_uses_dynamic_stack 0
		.amdhsa_enable_private_segment 0
		.amdhsa_system_sgpr_workgroup_id_x 1
		.amdhsa_system_sgpr_workgroup_id_y 0
		.amdhsa_system_sgpr_workgroup_id_z 0
		.amdhsa_system_sgpr_workgroup_info 0
		.amdhsa_system_vgpr_workitem_id 0
		.amdhsa_next_free_vgpr 133
		.amdhsa_next_free_sgpr 44
		.amdhsa_named_barrier_count 0
		.amdhsa_reserve_vcc 1
		.amdhsa_float_round_mode_32 0
		.amdhsa_float_round_mode_16_64 0
		.amdhsa_float_denorm_mode_32 3
		.amdhsa_float_denorm_mode_16_64 3
		.amdhsa_fp16_overflow 0
		.amdhsa_memory_ordered 1
		.amdhsa_forward_progress 1
		.amdhsa_inst_pref_size 255
		.amdhsa_round_robin_scheduling 0
		.amdhsa_exception_fp_ieee_invalid_op 0
		.amdhsa_exception_fp_denorm_src 0
		.amdhsa_exception_fp_ieee_div_zero 0
		.amdhsa_exception_fp_ieee_overflow 0
		.amdhsa_exception_fp_ieee_underflow 0
		.amdhsa_exception_fp_ieee_inexact 0
		.amdhsa_exception_int_div_zero 0
	.end_amdhsa_kernel
	.section	.text._ZN9rocsolver6v33100L18trti2_kernel_smallILi26EfPfEEv13rocblas_fill_17rocblas_diagonal_T1_iil,"axG",@progbits,_ZN9rocsolver6v33100L18trti2_kernel_smallILi26EfPfEEv13rocblas_fill_17rocblas_diagonal_T1_iil,comdat
.Lfunc_end25:
	.size	_ZN9rocsolver6v33100L18trti2_kernel_smallILi26EfPfEEv13rocblas_fill_17rocblas_diagonal_T1_iil, .Lfunc_end25-_ZN9rocsolver6v33100L18trti2_kernel_smallILi26EfPfEEv13rocblas_fill_17rocblas_diagonal_T1_iil
                                        ; -- End function
	.set _ZN9rocsolver6v33100L18trti2_kernel_smallILi26EfPfEEv13rocblas_fill_17rocblas_diagonal_T1_iil.num_vgpr, 133
	.set _ZN9rocsolver6v33100L18trti2_kernel_smallILi26EfPfEEv13rocblas_fill_17rocblas_diagonal_T1_iil.num_agpr, 0
	.set _ZN9rocsolver6v33100L18trti2_kernel_smallILi26EfPfEEv13rocblas_fill_17rocblas_diagonal_T1_iil.numbered_sgpr, 44
	.set _ZN9rocsolver6v33100L18trti2_kernel_smallILi26EfPfEEv13rocblas_fill_17rocblas_diagonal_T1_iil.num_named_barrier, 0
	.set _ZN9rocsolver6v33100L18trti2_kernel_smallILi26EfPfEEv13rocblas_fill_17rocblas_diagonal_T1_iil.private_seg_size, 0
	.set _ZN9rocsolver6v33100L18trti2_kernel_smallILi26EfPfEEv13rocblas_fill_17rocblas_diagonal_T1_iil.uses_vcc, 1
	.set _ZN9rocsolver6v33100L18trti2_kernel_smallILi26EfPfEEv13rocblas_fill_17rocblas_diagonal_T1_iil.uses_flat_scratch, 0
	.set _ZN9rocsolver6v33100L18trti2_kernel_smallILi26EfPfEEv13rocblas_fill_17rocblas_diagonal_T1_iil.has_dyn_sized_stack, 0
	.set _ZN9rocsolver6v33100L18trti2_kernel_smallILi26EfPfEEv13rocblas_fill_17rocblas_diagonal_T1_iil.has_recursion, 0
	.set _ZN9rocsolver6v33100L18trti2_kernel_smallILi26EfPfEEv13rocblas_fill_17rocblas_diagonal_T1_iil.has_indirect_call, 0
	.section	.AMDGPU.csdata,"",@progbits
; Kernel info:
; codeLenInByte = 43788
; TotalNumSgprs: 46
; NumVgprs: 133
; ScratchSize: 0
; MemoryBound: 0
; FloatMode: 240
; IeeeMode: 1
; LDSByteSize: 216 bytes/workgroup (compile time only)
; SGPRBlocks: 0
; VGPRBlocks: 8
; NumSGPRsForWavesPerEU: 46
; NumVGPRsForWavesPerEU: 133
; NamedBarCnt: 0
; Occupancy: 7
; WaveLimiterHint : 0
; COMPUTE_PGM_RSRC2:SCRATCH_EN: 0
; COMPUTE_PGM_RSRC2:USER_SGPR: 2
; COMPUTE_PGM_RSRC2:TRAP_HANDLER: 0
; COMPUTE_PGM_RSRC2:TGID_X_EN: 1
; COMPUTE_PGM_RSRC2:TGID_Y_EN: 0
; COMPUTE_PGM_RSRC2:TGID_Z_EN: 0
; COMPUTE_PGM_RSRC2:TIDIG_COMP_CNT: 0
	.section	.text._ZN9rocsolver6v33100L18trti2_kernel_smallILi27EfPfEEv13rocblas_fill_17rocblas_diagonal_T1_iil,"axG",@progbits,_ZN9rocsolver6v33100L18trti2_kernel_smallILi27EfPfEEv13rocblas_fill_17rocblas_diagonal_T1_iil,comdat
	.globl	_ZN9rocsolver6v33100L18trti2_kernel_smallILi27EfPfEEv13rocblas_fill_17rocblas_diagonal_T1_iil ; -- Begin function _ZN9rocsolver6v33100L18trti2_kernel_smallILi27EfPfEEv13rocblas_fill_17rocblas_diagonal_T1_iil
	.p2align	8
	.type	_ZN9rocsolver6v33100L18trti2_kernel_smallILi27EfPfEEv13rocblas_fill_17rocblas_diagonal_T1_iil,@function
_ZN9rocsolver6v33100L18trti2_kernel_smallILi27EfPfEEv13rocblas_fill_17rocblas_diagonal_T1_iil: ; @_ZN9rocsolver6v33100L18trti2_kernel_smallILi27EfPfEEv13rocblas_fill_17rocblas_diagonal_T1_iil
; %bb.0:
	s_mov_b32 s2, exec_lo
	v_cmpx_gt_u32_e32 27, v0
	s_cbranch_execz .LBB26_666
; %bb.1:
	s_load_b256 s[36:43], s[0:1], 0x0
	s_wait_xcnt 0x0
	s_bfe_u32 s0, ttmp6, 0x4000c
	s_and_b32 s1, ttmp6, 15
	s_add_co_i32 s0, s0, 1
	s_getreg_b32 s2, hwreg(HW_REG_IB_STS2, 6, 4)
	s_mul_i32 s0, ttmp9, s0
	v_mov_b32_e32 v1, 0
	s_add_co_i32 s0, s1, s0
	s_delay_alu instid0(VALU_DEP_1)
	v_dual_mov_b32 v35, v1 :: v_dual_lshlrev_b32 v34, 2, v0
	s_wait_kmcnt 0x0
	v_add3_u32 v66, s41, s41, v0
	s_ashr_i32 s1, s40, 31
	s_cmp_eq_u32 s2, 0
	s_cselect_b32 s2, ttmp9, s0
	s_delay_alu instid0(VALU_DEP_1)
	v_add_nc_u32_e32 v68, s41, v66
	s_ashr_i32 s3, s2, 31
	s_mov_b32 s0, s40
	s_mul_u64 s[2:3], s[42:43], s[2:3]
	s_lshl_b64 s[0:1], s[0:1], 2
	v_add_nc_u32_e32 v70, s41, v68
	s_lshl_b64 s[2:3], s[2:3], 2
	s_delay_alu instid0(SALU_CYCLE_1) | instskip(NEXT) | instid1(VALU_DEP_1)
	s_add_nc_u64 s[2:3], s[38:39], s[2:3]
	v_add_nc_u32_e32 v72, s41, v70
	s_add_nc_u64 s[28:29], s[2:3], s[0:1]
	s_mov_b32 s0, s41
	s_ashr_i32 s1, s41, 31
	s_cmp_lg_u32 s37, 0x84
	v_add_nc_u32_e32 v74, s41, v72
	s_cselect_b32 s27, -1, 0
	s_cmp_eq_u32 s37, 0x84
	v_add_nc_u64_e32 v[102:103], s[28:29], v[34:35]
	s_delay_alu instid0(VALU_DEP_2) | instskip(NEXT) | instid1(VALU_DEP_1)
	v_dual_mov_b32 v35, -1.0 :: v_dual_add_nc_u32 v76, s41, v74
	v_add_nc_u32_e32 v78, s41, v76
	s_delay_alu instid0(VALU_DEP_3)
	v_lshl_add_u64 v[106:107], s[0:1], 2, v[102:103]
	v_cmp_eq_u32_e64 s0, 0, v0
	s_clause 0x7
	global_load_b32 v3, v[106:107], off
	global_load_b32 v4, v66, s[28:29] scale_offset
	global_load_b32 v5, v68, s[28:29] scale_offset
	;; [unrolled: 1-line block ×7, first 2 shown]
	v_add_nc_u32_e32 v80, s41, v78
	s_delay_alu instid0(VALU_DEP_1) | instskip(NEXT) | instid1(VALU_DEP_1)
	v_add_nc_u32_e32 v82, s41, v80
	v_add_nc_u32_e32 v84, s41, v82
	s_delay_alu instid0(VALU_DEP_1) | instskip(NEXT) | instid1(VALU_DEP_1)
	v_add_nc_u32_e32 v86, s41, v84
	;; [unrolled: 3-line block ×4, first 2 shown]
	v_add_nc_u32_e32 v96, s41, v94
	s_delay_alu instid0(VALU_DEP_1)
	v_add_nc_u32_e32 v98, s41, v96
	s_clause 0x7
	global_load_b32 v11, v80, s[28:29] scale_offset
	global_load_b32 v12, v82, s[28:29] scale_offset
	;; [unrolled: 1-line block ×8, first 2 shown]
	v_add_nc_u32_e32 v100, s41, v98
	s_delay_alu instid0(VALU_DEP_1) | instskip(NEXT) | instid1(VALU_DEP_1)
	v_add_nc_u32_e32 v104, s41, v100
	v_add_nc_u32_e32 v108, s41, v104
	s_delay_alu instid0(VALU_DEP_1) | instskip(NEXT) | instid1(VALU_DEP_1)
	v_add_nc_u32_e32 v110, s41, v108
	;; [unrolled: 3-line block ×3, first 2 shown]
	v_add_nc_u32_e32 v116, s41, v114
	s_delay_alu instid0(VALU_DEP_1)
	v_add_nc_u32_e32 v118, s41, v116
	s_clause 0xa
	global_load_b32 v19, v96, s[28:29] scale_offset
	global_load_b32 v20, v98, s[28:29] scale_offset
	global_load_b32 v21, v100, s[28:29] scale_offset
	global_load_b32 v22, v104, s[28:29] scale_offset
	global_load_b32 v23, v108, s[28:29] scale_offset
	global_load_b32 v24, v110, s[28:29] scale_offset
	global_load_b32 v25, v112, s[28:29] scale_offset
	global_load_b32 v26, v114, s[28:29] scale_offset
	global_load_b32 v2, v0, s[28:29] scale_offset
	global_load_b32 v27, v116, s[28:29] scale_offset
	global_load_b32 v28, v118, s[28:29] scale_offset
	s_cbranch_scc1 .LBB26_3
; %bb.2:
	v_cmp_eq_u32_e64 s1, 1, v0
	v_cmp_eq_u32_e64 s2, 2, v0
	;; [unrolled: 1-line block ×5, first 2 shown]
	s_wait_loadcnt 0x2
	v_cndmask_b32_e64 v29, v2, v3, s1
	v_cmp_eq_u32_e64 s6, 6, v0
	v_cmp_eq_u32_e64 s7, 7, v0
	v_cmp_eq_u32_e64 s8, 8, v0
	v_cmp_eq_u32_e64 s9, 9, v0
	v_cndmask_b32_e64 v29, v29, v4, s2
	v_cmp_eq_u32_e64 s10, 10, v0
	v_cmp_eq_u32_e64 s11, 11, v0
	v_cmp_eq_u32_e64 s12, 12, v0
	v_cmp_eq_u32_e64 s13, 13, v0
	;; [unrolled: 5-line block ×5, first 2 shown]
	v_cndmask_b32_e64 v29, v29, v8, s6
	v_cmp_eq_u32_e64 s26, 26, v0
	s_delay_alu instid0(VALU_DEP_2) | instskip(NEXT) | instid1(VALU_DEP_1)
	v_cndmask_b32_e64 v29, v29, v9, s7
	v_cndmask_b32_e64 v29, v29, v10, s8
	s_delay_alu instid0(VALU_DEP_1) | instskip(NEXT) | instid1(VALU_DEP_1)
	v_cndmask_b32_e64 v29, v29, v11, s9
	v_cndmask_b32_e64 v29, v29, v12, s10
	s_delay_alu instid0(VALU_DEP_1) | instskip(NEXT) | instid1(VALU_DEP_1)
	;; [unrolled: 3-line block ×8, first 2 shown]
	v_cndmask_b32_e64 v29, v29, v25, s23
	v_cndmask_b32_e64 v29, v29, v26, s24
	s_wait_loadcnt 0x1
	s_delay_alu instid0(VALU_DEP_1) | instskip(SKIP_1) | instid1(VALU_DEP_1)
	v_cndmask_b32_e64 v29, v29, v27, s25
	s_wait_loadcnt 0x0
	v_cndmask_b32_e64 v29, v29, v28, s26
	s_delay_alu instid0(VALU_DEP_1) | instskip(SKIP_1) | instid1(VALU_DEP_2)
	v_div_scale_f32 v30, null, v29, v29, 1.0
	v_div_scale_f32 v33, vcc_lo, 1.0, v29, 1.0
	v_rcp_f32_e32 v31, v30
	v_nop
	s_delay_alu instid0(TRANS32_DEP_1) | instskip(NEXT) | instid1(VALU_DEP_1)
	v_fma_f32 v32, -v30, v31, 1.0
	v_fmac_f32_e32 v31, v32, v31
	s_delay_alu instid0(VALU_DEP_1) | instskip(NEXT) | instid1(VALU_DEP_1)
	v_mul_f32_e32 v32, v33, v31
	v_fma_f32 v35, -v30, v32, v33
	s_delay_alu instid0(VALU_DEP_1) | instskip(NEXT) | instid1(VALU_DEP_1)
	v_fmac_f32_e32 v32, v35, v31
	v_fma_f32 v30, -v30, v32, v33
	s_delay_alu instid0(VALU_DEP_1) | instskip(NEXT) | instid1(VALU_DEP_1)
	v_div_fmas_f32 v30, v30, v31, v32
	v_div_fixup_f32 v29, v30, v29, 1.0
	s_delay_alu instid0(VALU_DEP_1)
	v_dual_cndmask_b32 v28, v28, v29, s26 :: v_dual_cndmask_b32 v27, v27, v29, s25
	v_dual_cndmask_b32 v26, v26, v29, s24 :: v_dual_cndmask_b32 v25, v25, v29, s23
	;; [unrolled: 1-line block ×13, first 2 shown]
	v_cndmask_b32_e64 v2, v2, v29, s0
	v_xor_b32_e32 v35, 0x80000000, v29
.LBB26_3:
	v_dual_ashrrev_i32 v67, 31, v66 :: v_dual_ashrrev_i32 v69, 31, v68
	v_dual_ashrrev_i32 v71, 31, v70 :: v_dual_ashrrev_i32 v73, 31, v72
	v_dual_ashrrev_i32 v75, 31, v74 :: v_dual_ashrrev_i32 v77, 31, v76
	v_dual_ashrrev_i32 v79, 31, v78 :: v_dual_ashrrev_i32 v81, 31, v80
	v_dual_ashrrev_i32 v83, 31, v82 :: v_dual_ashrrev_i32 v85, 31, v84
	v_dual_ashrrev_i32 v87, 31, v86 :: v_dual_ashrrev_i32 v89, 31, v88
	v_dual_ashrrev_i32 v91, 31, v90 :: v_dual_ashrrev_i32 v93, 31, v92
	v_dual_ashrrev_i32 v95, 31, v94 :: v_dual_ashrrev_i32 v97, 31, v96
	v_dual_ashrrev_i32 v99, 31, v98 :: v_dual_ashrrev_i32 v101, 31, v100
	v_dual_ashrrev_i32 v105, 31, v104 :: v_dual_ashrrev_i32 v111, 31, v110
	v_dual_ashrrev_i32 v109, 31, v108 :: v_dual_ashrrev_i32 v115, 31, v114
	v_dual_ashrrev_i32 v113, 31, v112 :: v_dual_ashrrev_i32 v119, 31, v118
	v_ashrrev_i32_e32 v117, 31, v116
	v_add_nc_u32_e32 v123, 0x70, v34
	s_cmp_eq_u32 s36, 0x79
	ds_store_b32 v34, v35
	s_cbranch_scc1 .LBB26_7
; %bb.4:
	s_wait_loadcnt 0x0
	v_mov_b64_e32 v[64:65], v[32:33]
	v_mov_b64_e32 v[62:63], v[30:31]
	;; [unrolled: 1-line block ×16, first 2 shown]
	v_cmp_eq_u32_e64 s1, 26, v0
	ds_store_b32 v123, v27
	s_wait_dscnt 0x0
	s_barrier_signal -1
	s_barrier_wait -1
	s_and_saveexec_b32 s0, s1
	s_cbranch_execz .LBB26_11
; %bb.5:
	s_and_b32 vcc_lo, exec_lo, s27
	s_cbranch_vccz .LBB26_8
; %bb.6:
	v_cmp_eq_u32_e32 vcc_lo, 1, v0
	ds_load_b32 v35, v123
	v_cndmask_b32_e32 v34, v2, v3, vcc_lo
	v_cmp_eq_u32_e32 vcc_lo, 2, v0
	s_delay_alu instid0(VALU_DEP_2) | instskip(SKIP_1) | instid1(VALU_DEP_2)
	v_cndmask_b32_e32 v34, v34, v4, vcc_lo
	v_cmp_eq_u32_e32 vcc_lo, 3, v0
	v_cndmask_b32_e32 v34, v34, v5, vcc_lo
	v_cmp_eq_u32_e32 vcc_lo, 4, v0
	s_delay_alu instid0(VALU_DEP_2) | instskip(SKIP_1) | instid1(VALU_DEP_2)
	v_cndmask_b32_e32 v34, v34, v6, vcc_lo
	v_cmp_eq_u32_e32 vcc_lo, 5, v0
	;; [unrolled: 5-line block ×12, first 2 shown]
	v_cndmask_b32_e32 v34, v34, v27, vcc_lo
	v_cmp_eq_u32_e32 vcc_lo, 26, v0
	s_delay_alu instid0(VALU_DEP_2) | instskip(SKIP_1) | instid1(VALU_DEP_1)
	v_cndmask_b32_e32 v34, v34, v28, vcc_lo
	s_wait_dscnt 0x0
	v_mul_f32_e32 v57, v34, v35
	s_cbranch_execz .LBB26_9
	s_branch .LBB26_10
.LBB26_7:
                                        ; implicit-def: $vgpr34_vgpr35_vgpr36_vgpr37_vgpr38_vgpr39_vgpr40_vgpr41_vgpr42_vgpr43_vgpr44_vgpr45_vgpr46_vgpr47_vgpr48_vgpr49_vgpr50_vgpr51_vgpr52_vgpr53_vgpr54_vgpr55_vgpr56_vgpr57_vgpr58_vgpr59_vgpr60_vgpr61_vgpr62_vgpr63_vgpr64_vgpr65
	s_cbranch_execnz .LBB26_402
	s_branch .LBB26_665
.LBB26_8:
                                        ; implicit-def: $vgpr57
.LBB26_9:
	ds_load_b32 v57, v123
.LBB26_10:
	v_dual_mov_b32 v38, 0 :: v_dual_mov_b32 v34, v2
	v_dual_mov_b32 v35, v3 :: v_dual_mov_b32 v36, v4
	v_mov_b32_e32 v37, v5
	ds_load_b32 v58, v38 offset:100
	v_dual_mov_b32 v38, v6 :: v_dual_mov_b32 v39, v7
	v_dual_mov_b32 v40, v8 :: v_dual_mov_b32 v41, v9
	;; [unrolled: 1-line block ×9, first 2 shown]
	s_wait_dscnt 0x0
	v_dual_mov_b32 v56, v24 :: v_dual_mul_f32 v59, v57, v58
	v_dual_mov_b32 v58, v26 :: v_dual_mov_b32 v57, v25
	v_mov_b32_e32 v60, v28
.LBB26_11:
	s_or_b32 exec_lo, exec_lo, s0
	v_cmp_lt_u32_e64 s0, 24, v0
	ds_store_b32 v123, v58
	s_wait_dscnt 0x0
	s_barrier_signal -1
	s_barrier_wait -1
	s_and_saveexec_b32 s2, s0
	s_cbranch_execz .LBB26_17
; %bb.12:
	s_and_not1_b32 vcc_lo, exec_lo, s27
	s_cbranch_vccnz .LBB26_14
; %bb.13:
	v_cmp_eq_u32_e32 vcc_lo, 1, v0
	ds_load_b32 v62, v123
	v_cndmask_b32_e32 v61, v34, v35, vcc_lo
	v_cmp_eq_u32_e32 vcc_lo, 2, v0
	s_delay_alu instid0(VALU_DEP_2) | instskip(SKIP_1) | instid1(VALU_DEP_2)
	v_cndmask_b32_e32 v61, v61, v36, vcc_lo
	v_cmp_eq_u32_e32 vcc_lo, 3, v0
	v_cndmask_b32_e32 v61, v61, v37, vcc_lo
	v_cmp_eq_u32_e32 vcc_lo, 4, v0
	s_delay_alu instid0(VALU_DEP_2) | instskip(SKIP_1) | instid1(VALU_DEP_2)
	v_cndmask_b32_e32 v61, v61, v38, vcc_lo
	v_cmp_eq_u32_e32 vcc_lo, 5, v0
	;; [unrolled: 5-line block ×12, first 2 shown]
	v_cndmask_b32_e32 v58, v58, v59, vcc_lo
	v_cmp_eq_u32_e32 vcc_lo, 26, v0
	s_delay_alu instid0(VALU_DEP_2) | instskip(SKIP_1) | instid1(VALU_DEP_1)
	v_cndmask_b32_e32 v58, v58, v60, vcc_lo
	s_wait_dscnt 0x0
	v_mul_f32_e32 v58, v58, v62
	s_cbranch_execz .LBB26_15
	s_branch .LBB26_16
.LBB26_14:
                                        ; implicit-def: $vgpr58
.LBB26_15:
	ds_load_b32 v58, v123
.LBB26_16:
	v_mov_b32_e32 v61, 0
	ds_load_2addr_b32 v[62:63], v61 offset0:24 offset1:53
	s_wait_dscnt 0x0
	v_fma_f32 v61, v59, v63, v58
	s_delay_alu instid0(VALU_DEP_1) | instskip(NEXT) | instid1(VALU_DEP_1)
	v_cndmask_b32_e64 v58, v58, v61, s1
	v_mul_f32_e32 v58, v58, v62
.LBB26_17:
	s_or_b32 exec_lo, exec_lo, s2
	v_cmp_lt_u32_e64 s1, 23, v0
	ds_store_b32 v123, v57
	s_wait_dscnt 0x0
	s_barrier_signal -1
	s_barrier_wait -1
	s_and_saveexec_b32 s4, s1
	s_cbranch_execz .LBB26_33
; %bb.18:
	s_and_not1_b32 vcc_lo, exec_lo, s27
	s_cbranch_vccnz .LBB26_20
; %bb.19:
	v_cmp_eq_u32_e32 vcc_lo, 1, v0
	ds_load_b32 v121, v123
	v_cndmask_b32_e32 v120, v34, v35, vcc_lo
	v_cmp_eq_u32_e32 vcc_lo, 2, v0
	s_delay_alu instid0(VALU_DEP_2) | instskip(SKIP_1) | instid1(VALU_DEP_2)
	v_cndmask_b32_e32 v120, v120, v36, vcc_lo
	v_cmp_eq_u32_e32 vcc_lo, 3, v0
	v_cndmask_b32_e32 v120, v120, v37, vcc_lo
	v_cmp_eq_u32_e32 vcc_lo, 4, v0
	s_delay_alu instid0(VALU_DEP_2) | instskip(SKIP_1) | instid1(VALU_DEP_2)
	v_cndmask_b32_e32 v120, v120, v38, vcc_lo
	v_cmp_eq_u32_e32 vcc_lo, 5, v0
	;; [unrolled: 5-line block ×12, first 2 shown]
	v_cndmask_b32_e32 v120, v120, v59, vcc_lo
	v_cmp_eq_u32_e32 vcc_lo, 26, v0
	s_delay_alu instid0(VALU_DEP_2) | instskip(SKIP_1) | instid1(VALU_DEP_1)
	v_cndmask_b32_e32 v120, v120, v60, vcc_lo
	s_wait_dscnt 0x0
	v_mul_f32_e32 v124, v120, v121
	s_cbranch_execz .LBB26_21
	s_branch .LBB26_22
.LBB26_20:
                                        ; implicit-def: $vgpr124
.LBB26_21:
	ds_load_b32 v124, v123
.LBB26_22:
	s_and_saveexec_b32 s5, s0
	s_cbranch_execz .LBB26_32
; %bb.23:
	v_subrev_nc_u32_e32 v120, 25, v0
	s_delay_alu instid0(VALU_DEP_1)
	v_cmp_lt_u32_e32 vcc_lo, 6, v120
	v_mov_b32_e32 v120, 24
	s_and_saveexec_b32 s0, vcc_lo
	s_cbranch_execz .LBB26_27
; %bb.24:
	v_and_b32_e32 v120, 24, v0
	s_mov_b32 s6, 0
	s_mov_b64 s[2:3], 31
	s_movk_i32 s7, 0xd0
	s_delay_alu instid0(VALU_DEP_1)
	v_sub_nc_u32_e32 v122, 0, v120
.LBB26_25:                              ; =>This Inner Loop Header: Depth=1
	s_add_co_i32 m0, s2, -7
	v_movrels_b32_e32 v121, v34
	v_mov_b32_e32 v120, s7
	s_add_co_i32 m0, s2, -6
	s_add_co_i32 s7, s7, 32
	v_movrels_b32_e32 v125, v34
	s_add_co_i32 m0, s2, -5
	ds_load_b128 v[126:129], v120
	ds_load_b128 v[130:133], v120 offset:16
	v_movrels_b32_e32 v120, v34
	s_add_co_i32 m0, s2, -4
	s_wait_dscnt 0x1
	v_fmac_f32_e32 v124, v121, v126
	v_movrels_b32_e32 v121, v34
	s_add_co_i32 m0, s2, -3
	s_delay_alu instid0(VALU_DEP_2) | instskip(NEXT) | instid1(VALU_DEP_1)
	v_fmac_f32_e32 v124, v125, v127
	v_fmac_f32_e32 v124, v120, v128
	v_movrels_b32_e32 v120, v34
	s_add_co_i32 m0, s2, -2
	s_delay_alu instid0(VALU_DEP_2) | instskip(SKIP_3) | instid1(VALU_DEP_2)
	v_fmac_f32_e32 v124, v121, v129
	v_movrels_b32_e32 v121, v34
	s_add_co_i32 m0, s2, -1
	s_wait_dscnt 0x0
	v_fmac_f32_e32 v124, v120, v130
	v_movrels_b32_e32 v120, v34
	s_mov_b32 m0, s2
	s_add_nc_u64 s[2:3], s[2:3], 8
	v_movrels_b32_e32 v125, v34
	v_dual_fmac_f32 v124, v121, v131 :: v_dual_add_nc_u32 v121, s2, v122
	s_add_co_i32 s8, s2, -7
	s_delay_alu instid0(VALU_DEP_1) | instskip(NEXT) | instid1(VALU_DEP_2)
	v_fmac_f32_e32 v124, v120, v132
	v_cmp_eq_u32_e32 vcc_lo, 7, v121
	s_delay_alu instid0(VALU_DEP_2) | instskip(SKIP_1) | instid1(SALU_CYCLE_1)
	v_dual_mov_b32 v120, s8 :: v_dual_fmac_f32 v124, v125, v133
	s_or_b32 s6, vcc_lo, s6
	s_and_not1_b32 exec_lo, exec_lo, s6
	s_cbranch_execnz .LBB26_25
; %bb.26:
	s_or_b32 exec_lo, exec_lo, s6
.LBB26_27:
	s_delay_alu instid0(SALU_CYCLE_1) | instskip(SKIP_3) | instid1(VALU_DEP_1)
	s_or_b32 exec_lo, exec_lo, s0
	v_and_b32_e32 v61, 7, v0
	s_mov_b32 s2, 0
	s_mov_b32 s0, exec_lo
	v_cmpx_ne_u32_e32 0, v61
	s_cbranch_execz .LBB26_31
; %bb.28:
	v_lshl_add_u32 v62, v120, 2, 0x70
	v_mov_b32_e32 v121, 0
.LBB26_29:                              ; =>This Inner Loop Header: Depth=1
	v_cmp_eq_u32_e32 vcc_lo, 1, v120
	ds_load_b32 v64, v62
	v_dual_add_nc_u32 v61, -1, v61 :: v_dual_add_nc_u32 v62, 4, v62
	v_cndmask_b32_e32 v63, v34, v35, vcc_lo
	v_cmp_eq_u32_e32 vcc_lo, 2, v120
	s_delay_alu instid0(VALU_DEP_2) | instskip(SKIP_1) | instid1(VALU_DEP_2)
	v_cndmask_b32_e32 v63, v63, v36, vcc_lo
	v_cmp_eq_u32_e32 vcc_lo, 3, v120
	v_cndmask_b32_e32 v63, v63, v37, vcc_lo
	v_cmp_eq_u32_e32 vcc_lo, 4, v120
	s_delay_alu instid0(VALU_DEP_2) | instskip(SKIP_1) | instid1(VALU_DEP_2)
	v_cndmask_b32_e32 v63, v63, v38, vcc_lo
	v_cmp_eq_u32_e32 vcc_lo, 5, v120
	v_cndmask_b32_e32 v63, v63, v39, vcc_lo
	v_cmp_eq_u32_e32 vcc_lo, 6, v120
	s_delay_alu instid0(VALU_DEP_2) | instskip(SKIP_1) | instid1(VALU_DEP_2)
	v_cndmask_b32_e32 v63, v63, v40, vcc_lo
	v_cmp_eq_u32_e32 vcc_lo, 7, v120
	v_cndmask_b32_e32 v63, v63, v41, vcc_lo
	v_cmp_eq_u32_e32 vcc_lo, 8, v120
	s_delay_alu instid0(VALU_DEP_2) | instskip(SKIP_1) | instid1(VALU_DEP_2)
	v_cndmask_b32_e32 v63, v63, v42, vcc_lo
	v_cmp_eq_u32_e32 vcc_lo, 9, v120
	v_cndmask_b32_e32 v63, v63, v43, vcc_lo
	v_cmp_eq_u32_e32 vcc_lo, 10, v120
	s_delay_alu instid0(VALU_DEP_2) | instskip(SKIP_1) | instid1(VALU_DEP_2)
	v_cndmask_b32_e32 v63, v63, v44, vcc_lo
	v_cmp_eq_u32_e32 vcc_lo, 11, v120
	v_cndmask_b32_e32 v63, v63, v45, vcc_lo
	v_cmp_eq_u32_e32 vcc_lo, 12, v120
	s_delay_alu instid0(VALU_DEP_2) | instskip(SKIP_1) | instid1(VALU_DEP_2)
	v_cndmask_b32_e32 v63, v63, v46, vcc_lo
	v_cmp_eq_u32_e32 vcc_lo, 13, v120
	v_cndmask_b32_e32 v63, v63, v47, vcc_lo
	v_cmp_eq_u32_e32 vcc_lo, 14, v120
	s_delay_alu instid0(VALU_DEP_2) | instskip(SKIP_1) | instid1(VALU_DEP_2)
	v_cndmask_b32_e32 v63, v63, v48, vcc_lo
	v_cmp_eq_u32_e32 vcc_lo, 15, v120
	v_cndmask_b32_e32 v63, v63, v49, vcc_lo
	v_cmp_eq_u32_e32 vcc_lo, 16, v120
	s_delay_alu instid0(VALU_DEP_2) | instskip(SKIP_1) | instid1(VALU_DEP_2)
	v_cndmask_b32_e32 v63, v63, v50, vcc_lo
	v_cmp_eq_u32_e32 vcc_lo, 17, v120
	v_cndmask_b32_e32 v63, v63, v51, vcc_lo
	v_cmp_eq_u32_e32 vcc_lo, 18, v120
	s_delay_alu instid0(VALU_DEP_2) | instskip(SKIP_1) | instid1(VALU_DEP_2)
	v_cndmask_b32_e32 v63, v63, v52, vcc_lo
	v_cmp_eq_u32_e32 vcc_lo, 19, v120
	v_cndmask_b32_e32 v63, v63, v53, vcc_lo
	v_cmp_eq_u32_e32 vcc_lo, 20, v120
	s_delay_alu instid0(VALU_DEP_2) | instskip(SKIP_1) | instid1(VALU_DEP_2)
	v_cndmask_b32_e32 v63, v63, v54, vcc_lo
	v_cmp_eq_u32_e32 vcc_lo, 21, v120
	v_cndmask_b32_e32 v63, v63, v55, vcc_lo
	v_cmp_eq_u32_e32 vcc_lo, 22, v120
	s_delay_alu instid0(VALU_DEP_2) | instskip(SKIP_1) | instid1(VALU_DEP_2)
	v_cndmask_b32_e32 v63, v63, v56, vcc_lo
	v_cmp_eq_u32_e32 vcc_lo, 23, v120
	v_cndmask_b32_e32 v63, v63, v57, vcc_lo
	v_cmp_eq_u32_e32 vcc_lo, 24, v120
	s_delay_alu instid0(VALU_DEP_2) | instskip(SKIP_1) | instid1(VALU_DEP_2)
	v_cndmask_b32_e32 v63, v63, v58, vcc_lo
	v_cmp_eq_u32_e32 vcc_lo, 25, v120
	v_cndmask_b32_e32 v63, v63, v59, vcc_lo
	v_cmp_eq_u32_e32 vcc_lo, 26, v120
	v_add_nc_u64_e32 v[120:121], 1, v[120:121]
	s_delay_alu instid0(VALU_DEP_3) | instskip(SKIP_2) | instid1(VALU_DEP_2)
	v_cndmask_b32_e32 v63, v63, v60, vcc_lo
	v_cmp_eq_u32_e32 vcc_lo, 0, v61
	s_wait_dscnt 0x0
	v_fmac_f32_e32 v124, v63, v64
	s_or_b32 s2, vcc_lo, s2
	s_delay_alu instid0(SALU_CYCLE_1)
	s_and_not1_b32 exec_lo, exec_lo, s2
	s_cbranch_execnz .LBB26_29
; %bb.30:
	s_or_b32 exec_lo, exec_lo, s2
.LBB26_31:
	s_delay_alu instid0(SALU_CYCLE_1)
	s_or_b32 exec_lo, exec_lo, s0
.LBB26_32:
	s_delay_alu instid0(SALU_CYCLE_1)
	s_or_b32 exec_lo, exec_lo, s5
	v_mov_b32_e32 v57, 0
	ds_load_b32 v57, v57 offset:92
	s_wait_dscnt 0x0
	v_mul_f32_e32 v57, v124, v57
.LBB26_33:
	s_or_b32 exec_lo, exec_lo, s4
	v_cmp_lt_u32_e64 s0, 22, v0
	ds_store_b32 v123, v56
	s_wait_dscnt 0x0
	s_barrier_signal -1
	s_barrier_wait -1
	s_and_saveexec_b32 s4, s0
	s_cbranch_execz .LBB26_49
; %bb.34:
	s_and_not1_b32 vcc_lo, exec_lo, s27
	s_cbranch_vccnz .LBB26_36
; %bb.35:
	v_cmp_eq_u32_e32 vcc_lo, 1, v0
	ds_load_b32 v121, v123
	v_cndmask_b32_e32 v120, v34, v35, vcc_lo
	v_cmp_eq_u32_e32 vcc_lo, 2, v0
	s_delay_alu instid0(VALU_DEP_2) | instskip(SKIP_1) | instid1(VALU_DEP_2)
	v_cndmask_b32_e32 v120, v120, v36, vcc_lo
	v_cmp_eq_u32_e32 vcc_lo, 3, v0
	v_cndmask_b32_e32 v120, v120, v37, vcc_lo
	v_cmp_eq_u32_e32 vcc_lo, 4, v0
	s_delay_alu instid0(VALU_DEP_2) | instskip(SKIP_1) | instid1(VALU_DEP_2)
	v_cndmask_b32_e32 v120, v120, v38, vcc_lo
	v_cmp_eq_u32_e32 vcc_lo, 5, v0
	;; [unrolled: 5-line block ×12, first 2 shown]
	v_cndmask_b32_e32 v120, v120, v59, vcc_lo
	v_cmp_eq_u32_e32 vcc_lo, 26, v0
	s_delay_alu instid0(VALU_DEP_2) | instskip(SKIP_1) | instid1(VALU_DEP_1)
	v_cndmask_b32_e32 v120, v120, v60, vcc_lo
	s_wait_dscnt 0x0
	v_mul_f32_e32 v124, v120, v121
	s_cbranch_execz .LBB26_37
	s_branch .LBB26_38
.LBB26_36:
                                        ; implicit-def: $vgpr124
.LBB26_37:
	ds_load_b32 v124, v123
.LBB26_38:
	s_and_saveexec_b32 s5, s1
	s_cbranch_execz .LBB26_48
; %bb.39:
	v_subrev_nc_u32_e32 v122, 24, v0
	v_mov_b32_e32 v120, 23
	v_subrev_nc_u32_e32 v121, 23, v0
	s_mov_b32 s1, exec_lo
	s_delay_alu instid0(VALU_DEP_3)
	v_cmpx_lt_u32_e32 6, v122
	s_cbranch_execz .LBB26_43
; %bb.40:
	s_delay_alu instid0(VALU_DEP_2) | instskip(SKIP_3) | instid1(VALU_DEP_1)
	v_and_b32_e32 v120, -8, v121
	s_mov_b32 s6, 0
	s_mov_b64 s[2:3], 30
	s_movk_i32 s7, 0xcc
	v_sub_nc_u32_e32 v122, 0, v120
.LBB26_41:                              ; =>This Inner Loop Header: Depth=1
	s_add_co_i32 m0, s2, -7
	v_movrels_b32_e32 v125, v34
	v_mov_b32_e32 v120, s7
	s_add_co_i32 m0, s2, -6
	s_add_co_i32 s7, s7, 32
	v_movrels_b32_e32 v134, v34
	ds_load_2addr_b32 v[126:127], v120 offset1:1
	ds_load_2addr_b32 v[128:129], v120 offset0:2 offset1:3
	s_add_co_i32 m0, s2, -5
	s_wait_dscnt 0x1
	v_fmac_f32_e32 v124, v125, v126
	ds_load_2addr_b32 v[130:131], v120 offset0:4 offset1:5
	ds_load_2addr_b32 v[132:133], v120 offset0:6 offset1:7
	v_movrels_b32_e32 v120, v34
	s_add_co_i32 m0, s2, -4
	v_fmac_f32_e32 v124, v134, v127
	v_movrels_b32_e32 v125, v34
	s_add_co_i32 m0, s2, -3
	s_wait_dscnt 0x2
	s_delay_alu instid0(VALU_DEP_2) | instskip(SKIP_2) | instid1(VALU_DEP_2)
	v_fmac_f32_e32 v124, v120, v128
	v_movrels_b32_e32 v120, v34
	s_add_co_i32 m0, s2, -2
	v_fmac_f32_e32 v124, v125, v129
	v_movrels_b32_e32 v125, v34
	s_add_co_i32 m0, s2, -1
	s_wait_dscnt 0x1
	s_delay_alu instid0(VALU_DEP_2)
	v_fmac_f32_e32 v124, v120, v130
	v_movrels_b32_e32 v120, v34
	s_mov_b32 m0, s2
	s_add_nc_u64 s[2:3], s[2:3], 8
	v_movrels_b32_e32 v126, v34
	v_dual_fmac_f32 v124, v125, v131 :: v_dual_add_nc_u32 v125, s2, v122
	s_add_co_i32 s8, s2, -7
	s_wait_dscnt 0x0
	s_delay_alu instid0(VALU_DEP_1) | instskip(NEXT) | instid1(VALU_DEP_2)
	v_fmac_f32_e32 v124, v120, v132
	v_cmp_eq_u32_e32 vcc_lo, 30, v125
	s_delay_alu instid0(VALU_DEP_2) | instskip(SKIP_1) | instid1(SALU_CYCLE_1)
	v_dual_mov_b32 v120, s8 :: v_dual_fmac_f32 v124, v126, v133
	s_or_b32 s6, vcc_lo, s6
	s_and_not1_b32 exec_lo, exec_lo, s6
	s_cbranch_execnz .LBB26_41
; %bb.42:
	s_or_b32 exec_lo, exec_lo, s6
.LBB26_43:
	s_delay_alu instid0(SALU_CYCLE_1) | instskip(SKIP_3) | instid1(VALU_DEP_1)
	s_or_b32 exec_lo, exec_lo, s1
	v_and_b32_e32 v61, 7, v121
	s_mov_b32 s2, 0
	s_mov_b32 s1, exec_lo
	v_cmpx_ne_u32_e32 0, v61
	s_cbranch_execz .LBB26_47
; %bb.44:
	v_lshl_add_u32 v62, v120, 2, 0x70
	v_mov_b32_e32 v121, 0
.LBB26_45:                              ; =>This Inner Loop Header: Depth=1
	v_cmp_eq_u32_e32 vcc_lo, 1, v120
	ds_load_b32 v64, v62
	v_dual_add_nc_u32 v61, -1, v61 :: v_dual_add_nc_u32 v62, 4, v62
	v_cndmask_b32_e32 v63, v34, v35, vcc_lo
	v_cmp_eq_u32_e32 vcc_lo, 2, v120
	s_delay_alu instid0(VALU_DEP_2) | instskip(SKIP_1) | instid1(VALU_DEP_2)
	v_cndmask_b32_e32 v63, v63, v36, vcc_lo
	v_cmp_eq_u32_e32 vcc_lo, 3, v120
	v_cndmask_b32_e32 v63, v63, v37, vcc_lo
	v_cmp_eq_u32_e32 vcc_lo, 4, v120
	s_delay_alu instid0(VALU_DEP_2) | instskip(SKIP_1) | instid1(VALU_DEP_2)
	v_cndmask_b32_e32 v63, v63, v38, vcc_lo
	v_cmp_eq_u32_e32 vcc_lo, 5, v120
	;; [unrolled: 5-line block ×12, first 2 shown]
	v_cndmask_b32_e32 v63, v63, v59, vcc_lo
	v_cmp_eq_u32_e32 vcc_lo, 26, v120
	v_add_nc_u64_e32 v[120:121], 1, v[120:121]
	s_delay_alu instid0(VALU_DEP_3) | instskip(SKIP_2) | instid1(VALU_DEP_2)
	v_cndmask_b32_e32 v63, v63, v60, vcc_lo
	v_cmp_eq_u32_e32 vcc_lo, 0, v61
	s_wait_dscnt 0x0
	v_fmac_f32_e32 v124, v63, v64
	s_or_b32 s2, vcc_lo, s2
	s_delay_alu instid0(SALU_CYCLE_1)
	s_and_not1_b32 exec_lo, exec_lo, s2
	s_cbranch_execnz .LBB26_45
; %bb.46:
	s_or_b32 exec_lo, exec_lo, s2
.LBB26_47:
	s_delay_alu instid0(SALU_CYCLE_1)
	s_or_b32 exec_lo, exec_lo, s1
.LBB26_48:
	s_delay_alu instid0(SALU_CYCLE_1)
	s_or_b32 exec_lo, exec_lo, s5
	v_mov_b32_e32 v56, 0
	ds_load_b32 v56, v56 offset:88
	s_wait_dscnt 0x0
	v_mul_f32_e32 v56, v124, v56
.LBB26_49:
	s_or_b32 exec_lo, exec_lo, s4
	v_cmp_lt_u32_e64 s1, 21, v0
	ds_store_b32 v123, v55
	s_wait_dscnt 0x0
	s_barrier_signal -1
	s_barrier_wait -1
	s_and_saveexec_b32 s4, s1
	s_cbranch_execz .LBB26_65
; %bb.50:
	s_and_not1_b32 vcc_lo, exec_lo, s27
	s_cbranch_vccnz .LBB26_52
; %bb.51:
	v_cmp_eq_u32_e32 vcc_lo, 1, v0
	ds_load_b32 v121, v123
	v_cndmask_b32_e32 v120, v34, v35, vcc_lo
	v_cmp_eq_u32_e32 vcc_lo, 2, v0
	s_delay_alu instid0(VALU_DEP_2) | instskip(SKIP_1) | instid1(VALU_DEP_2)
	v_cndmask_b32_e32 v120, v120, v36, vcc_lo
	v_cmp_eq_u32_e32 vcc_lo, 3, v0
	v_cndmask_b32_e32 v120, v120, v37, vcc_lo
	v_cmp_eq_u32_e32 vcc_lo, 4, v0
	s_delay_alu instid0(VALU_DEP_2) | instskip(SKIP_1) | instid1(VALU_DEP_2)
	v_cndmask_b32_e32 v120, v120, v38, vcc_lo
	v_cmp_eq_u32_e32 vcc_lo, 5, v0
	;; [unrolled: 5-line block ×12, first 2 shown]
	v_cndmask_b32_e32 v120, v120, v59, vcc_lo
	v_cmp_eq_u32_e32 vcc_lo, 26, v0
	s_delay_alu instid0(VALU_DEP_2) | instskip(SKIP_1) | instid1(VALU_DEP_1)
	v_cndmask_b32_e32 v120, v120, v60, vcc_lo
	s_wait_dscnt 0x0
	v_mul_f32_e32 v124, v120, v121
	s_cbranch_execz .LBB26_53
	s_branch .LBB26_54
.LBB26_52:
                                        ; implicit-def: $vgpr124
.LBB26_53:
	ds_load_b32 v124, v123
.LBB26_54:
	s_and_saveexec_b32 s5, s0
	s_cbranch_execz .LBB26_64
; %bb.55:
	v_subrev_nc_u32_e32 v122, 23, v0
	v_mov_b32_e32 v120, 22
	v_subrev_nc_u32_e32 v121, 22, v0
	s_mov_b32 s0, exec_lo
	s_delay_alu instid0(VALU_DEP_3)
	v_cmpx_lt_u32_e32 6, v122
	s_cbranch_execz .LBB26_59
; %bb.56:
	s_delay_alu instid0(VALU_DEP_2) | instskip(SKIP_3) | instid1(VALU_DEP_1)
	v_and_b32_e32 v120, -8, v121
	s_mov_b32 s6, 0
	s_mov_b64 s[2:3], 29
	s_movk_i32 s7, 0xc8
	v_sub_nc_u32_e32 v122, 0, v120
.LBB26_57:                              ; =>This Inner Loop Header: Depth=1
	s_add_co_i32 m0, s2, -7
	v_movrels_b32_e32 v125, v34
	v_mov_b32_e32 v120, s7
	s_add_co_i32 m0, s2, -6
	s_add_co_i32 s7, s7, 32
	v_movrels_b32_e32 v134, v34
	s_add_co_i32 m0, s2, -5
	ds_load_2addr_b64 v[126:129], v120 offset1:1
	ds_load_2addr_b64 v[130:133], v120 offset0:2 offset1:3
	v_movrels_b32_e32 v120, v34
	s_add_co_i32 m0, s2, -4
	s_wait_dscnt 0x1
	v_fmac_f32_e32 v124, v125, v126
	v_movrels_b32_e32 v125, v34
	s_add_co_i32 m0, s2, -3
	s_delay_alu instid0(VALU_DEP_2) | instskip(NEXT) | instid1(VALU_DEP_1)
	v_fmac_f32_e32 v124, v134, v127
	v_fmac_f32_e32 v124, v120, v128
	v_movrels_b32_e32 v120, v34
	s_add_co_i32 m0, s2, -2
	s_delay_alu instid0(VALU_DEP_2) | instskip(SKIP_3) | instid1(VALU_DEP_2)
	v_fmac_f32_e32 v124, v125, v129
	v_movrels_b32_e32 v125, v34
	s_add_co_i32 m0, s2, -1
	s_wait_dscnt 0x0
	v_fmac_f32_e32 v124, v120, v130
	v_movrels_b32_e32 v120, v34
	s_mov_b32 m0, s2
	s_add_nc_u64 s[2:3], s[2:3], 8
	v_movrels_b32_e32 v126, v34
	v_dual_fmac_f32 v124, v125, v131 :: v_dual_add_nc_u32 v125, s2, v122
	s_add_co_i32 s8, s2, -7
	s_delay_alu instid0(VALU_DEP_1) | instskip(NEXT) | instid1(VALU_DEP_2)
	v_fmac_f32_e32 v124, v120, v132
	v_cmp_eq_u32_e32 vcc_lo, 29, v125
	s_delay_alu instid0(VALU_DEP_2) | instskip(SKIP_1) | instid1(SALU_CYCLE_1)
	v_dual_mov_b32 v120, s8 :: v_dual_fmac_f32 v124, v126, v133
	s_or_b32 s6, vcc_lo, s6
	s_and_not1_b32 exec_lo, exec_lo, s6
	s_cbranch_execnz .LBB26_57
; %bb.58:
	s_or_b32 exec_lo, exec_lo, s6
.LBB26_59:
	s_delay_alu instid0(SALU_CYCLE_1) | instskip(SKIP_3) | instid1(VALU_DEP_1)
	s_or_b32 exec_lo, exec_lo, s0
	v_and_b32_e32 v61, 7, v121
	s_mov_b32 s2, 0
	s_mov_b32 s0, exec_lo
	v_cmpx_ne_u32_e32 0, v61
	s_cbranch_execz .LBB26_63
; %bb.60:
	v_lshl_add_u32 v62, v120, 2, 0x70
	v_mov_b32_e32 v121, 0
.LBB26_61:                              ; =>This Inner Loop Header: Depth=1
	v_cmp_eq_u32_e32 vcc_lo, 1, v120
	ds_load_b32 v64, v62
	v_dual_add_nc_u32 v61, -1, v61 :: v_dual_add_nc_u32 v62, 4, v62
	v_cndmask_b32_e32 v63, v34, v35, vcc_lo
	v_cmp_eq_u32_e32 vcc_lo, 2, v120
	s_delay_alu instid0(VALU_DEP_2) | instskip(SKIP_1) | instid1(VALU_DEP_2)
	v_cndmask_b32_e32 v63, v63, v36, vcc_lo
	v_cmp_eq_u32_e32 vcc_lo, 3, v120
	v_cndmask_b32_e32 v63, v63, v37, vcc_lo
	v_cmp_eq_u32_e32 vcc_lo, 4, v120
	s_delay_alu instid0(VALU_DEP_2) | instskip(SKIP_1) | instid1(VALU_DEP_2)
	v_cndmask_b32_e32 v63, v63, v38, vcc_lo
	v_cmp_eq_u32_e32 vcc_lo, 5, v120
	;; [unrolled: 5-line block ×12, first 2 shown]
	v_cndmask_b32_e32 v63, v63, v59, vcc_lo
	v_cmp_eq_u32_e32 vcc_lo, 26, v120
	v_add_nc_u64_e32 v[120:121], 1, v[120:121]
	s_delay_alu instid0(VALU_DEP_3) | instskip(SKIP_2) | instid1(VALU_DEP_2)
	v_cndmask_b32_e32 v63, v63, v60, vcc_lo
	v_cmp_eq_u32_e32 vcc_lo, 0, v61
	s_wait_dscnt 0x0
	v_fmac_f32_e32 v124, v63, v64
	s_or_b32 s2, vcc_lo, s2
	s_delay_alu instid0(SALU_CYCLE_1)
	s_and_not1_b32 exec_lo, exec_lo, s2
	s_cbranch_execnz .LBB26_61
; %bb.62:
	s_or_b32 exec_lo, exec_lo, s2
.LBB26_63:
	s_delay_alu instid0(SALU_CYCLE_1)
	s_or_b32 exec_lo, exec_lo, s0
.LBB26_64:
	s_delay_alu instid0(SALU_CYCLE_1)
	s_or_b32 exec_lo, exec_lo, s5
	v_mov_b32_e32 v55, 0
	ds_load_b32 v55, v55 offset:84
	s_wait_dscnt 0x0
	v_mul_f32_e32 v55, v124, v55
.LBB26_65:
	s_or_b32 exec_lo, exec_lo, s4
	v_cmp_lt_u32_e64 s0, 20, v0
	ds_store_b32 v123, v54
	s_wait_dscnt 0x0
	s_barrier_signal -1
	s_barrier_wait -1
	s_and_saveexec_b32 s4, s0
	s_cbranch_execz .LBB26_81
; %bb.66:
	s_and_not1_b32 vcc_lo, exec_lo, s27
	s_cbranch_vccnz .LBB26_68
; %bb.67:
	v_cmp_eq_u32_e32 vcc_lo, 1, v0
	ds_load_b32 v121, v123
	v_cndmask_b32_e32 v120, v34, v35, vcc_lo
	v_cmp_eq_u32_e32 vcc_lo, 2, v0
	s_delay_alu instid0(VALU_DEP_2) | instskip(SKIP_1) | instid1(VALU_DEP_2)
	v_cndmask_b32_e32 v120, v120, v36, vcc_lo
	v_cmp_eq_u32_e32 vcc_lo, 3, v0
	v_cndmask_b32_e32 v120, v120, v37, vcc_lo
	v_cmp_eq_u32_e32 vcc_lo, 4, v0
	s_delay_alu instid0(VALU_DEP_2) | instskip(SKIP_1) | instid1(VALU_DEP_2)
	v_cndmask_b32_e32 v120, v120, v38, vcc_lo
	v_cmp_eq_u32_e32 vcc_lo, 5, v0
	;; [unrolled: 5-line block ×12, first 2 shown]
	v_cndmask_b32_e32 v120, v120, v59, vcc_lo
	v_cmp_eq_u32_e32 vcc_lo, 26, v0
	s_delay_alu instid0(VALU_DEP_2) | instskip(SKIP_1) | instid1(VALU_DEP_1)
	v_cndmask_b32_e32 v120, v120, v60, vcc_lo
	s_wait_dscnt 0x0
	v_mul_f32_e32 v124, v120, v121
	s_cbranch_execz .LBB26_69
	s_branch .LBB26_70
.LBB26_68:
                                        ; implicit-def: $vgpr124
.LBB26_69:
	ds_load_b32 v124, v123
.LBB26_70:
	s_and_saveexec_b32 s5, s1
	s_cbranch_execz .LBB26_80
; %bb.71:
	v_subrev_nc_u32_e32 v122, 22, v0
	v_mov_b32_e32 v120, 21
	v_subrev_nc_u32_e32 v121, 21, v0
	s_mov_b32 s1, exec_lo
	s_delay_alu instid0(VALU_DEP_3)
	v_cmpx_lt_u32_e32 6, v122
	s_cbranch_execz .LBB26_75
; %bb.72:
	s_delay_alu instid0(VALU_DEP_2) | instskip(SKIP_3) | instid1(VALU_DEP_1)
	v_and_b32_e32 v120, -8, v121
	s_mov_b32 s6, 0
	s_mov_b64 s[2:3], 28
	s_movk_i32 s7, 0xc4
	v_sub_nc_u32_e32 v122, 0, v120
.LBB26_73:                              ; =>This Inner Loop Header: Depth=1
	s_add_co_i32 m0, s2, -7
	v_movrels_b32_e32 v125, v34
	v_mov_b32_e32 v120, s7
	s_add_co_i32 m0, s2, -6
	s_add_co_i32 s7, s7, 32
	v_movrels_b32_e32 v134, v34
	ds_load_2addr_b32 v[126:127], v120 offset1:1
	ds_load_2addr_b32 v[128:129], v120 offset0:2 offset1:3
	s_add_co_i32 m0, s2, -5
	s_wait_dscnt 0x1
	v_fmac_f32_e32 v124, v125, v126
	ds_load_2addr_b32 v[130:131], v120 offset0:4 offset1:5
	ds_load_2addr_b32 v[132:133], v120 offset0:6 offset1:7
	v_movrels_b32_e32 v120, v34
	s_add_co_i32 m0, s2, -4
	v_fmac_f32_e32 v124, v134, v127
	v_movrels_b32_e32 v125, v34
	s_add_co_i32 m0, s2, -3
	s_wait_dscnt 0x2
	s_delay_alu instid0(VALU_DEP_2) | instskip(SKIP_2) | instid1(VALU_DEP_2)
	v_fmac_f32_e32 v124, v120, v128
	v_movrels_b32_e32 v120, v34
	s_add_co_i32 m0, s2, -2
	v_fmac_f32_e32 v124, v125, v129
	v_movrels_b32_e32 v125, v34
	s_add_co_i32 m0, s2, -1
	s_wait_dscnt 0x1
	s_delay_alu instid0(VALU_DEP_2)
	v_fmac_f32_e32 v124, v120, v130
	v_movrels_b32_e32 v120, v34
	s_mov_b32 m0, s2
	s_add_nc_u64 s[2:3], s[2:3], 8
	v_movrels_b32_e32 v126, v34
	v_dual_fmac_f32 v124, v125, v131 :: v_dual_add_nc_u32 v125, s2, v122
	s_add_co_i32 s8, s2, -7
	s_wait_dscnt 0x0
	s_delay_alu instid0(VALU_DEP_1) | instskip(NEXT) | instid1(VALU_DEP_2)
	v_fmac_f32_e32 v124, v120, v132
	v_cmp_eq_u32_e32 vcc_lo, 28, v125
	s_delay_alu instid0(VALU_DEP_2) | instskip(SKIP_1) | instid1(SALU_CYCLE_1)
	v_dual_mov_b32 v120, s8 :: v_dual_fmac_f32 v124, v126, v133
	s_or_b32 s6, vcc_lo, s6
	s_and_not1_b32 exec_lo, exec_lo, s6
	s_cbranch_execnz .LBB26_73
; %bb.74:
	s_or_b32 exec_lo, exec_lo, s6
.LBB26_75:
	s_delay_alu instid0(SALU_CYCLE_1) | instskip(SKIP_3) | instid1(VALU_DEP_1)
	s_or_b32 exec_lo, exec_lo, s1
	v_and_b32_e32 v61, 7, v121
	s_mov_b32 s2, 0
	s_mov_b32 s1, exec_lo
	v_cmpx_ne_u32_e32 0, v61
	s_cbranch_execz .LBB26_79
; %bb.76:
	v_lshl_add_u32 v62, v120, 2, 0x70
	v_mov_b32_e32 v121, 0
.LBB26_77:                              ; =>This Inner Loop Header: Depth=1
	v_cmp_eq_u32_e32 vcc_lo, 1, v120
	ds_load_b32 v64, v62
	v_dual_add_nc_u32 v61, -1, v61 :: v_dual_add_nc_u32 v62, 4, v62
	v_cndmask_b32_e32 v63, v34, v35, vcc_lo
	v_cmp_eq_u32_e32 vcc_lo, 2, v120
	s_delay_alu instid0(VALU_DEP_2) | instskip(SKIP_1) | instid1(VALU_DEP_2)
	v_cndmask_b32_e32 v63, v63, v36, vcc_lo
	v_cmp_eq_u32_e32 vcc_lo, 3, v120
	v_cndmask_b32_e32 v63, v63, v37, vcc_lo
	v_cmp_eq_u32_e32 vcc_lo, 4, v120
	s_delay_alu instid0(VALU_DEP_2) | instskip(SKIP_1) | instid1(VALU_DEP_2)
	v_cndmask_b32_e32 v63, v63, v38, vcc_lo
	v_cmp_eq_u32_e32 vcc_lo, 5, v120
	;; [unrolled: 5-line block ×12, first 2 shown]
	v_cndmask_b32_e32 v63, v63, v59, vcc_lo
	v_cmp_eq_u32_e32 vcc_lo, 26, v120
	v_add_nc_u64_e32 v[120:121], 1, v[120:121]
	s_delay_alu instid0(VALU_DEP_3) | instskip(SKIP_2) | instid1(VALU_DEP_2)
	v_cndmask_b32_e32 v63, v63, v60, vcc_lo
	v_cmp_eq_u32_e32 vcc_lo, 0, v61
	s_wait_dscnt 0x0
	v_fmac_f32_e32 v124, v63, v64
	s_or_b32 s2, vcc_lo, s2
	s_delay_alu instid0(SALU_CYCLE_1)
	s_and_not1_b32 exec_lo, exec_lo, s2
	s_cbranch_execnz .LBB26_77
; %bb.78:
	s_or_b32 exec_lo, exec_lo, s2
.LBB26_79:
	s_delay_alu instid0(SALU_CYCLE_1)
	s_or_b32 exec_lo, exec_lo, s1
.LBB26_80:
	s_delay_alu instid0(SALU_CYCLE_1)
	s_or_b32 exec_lo, exec_lo, s5
	v_mov_b32_e32 v54, 0
	ds_load_b32 v54, v54 offset:80
	s_wait_dscnt 0x0
	v_mul_f32_e32 v54, v124, v54
.LBB26_81:
	s_or_b32 exec_lo, exec_lo, s4
	v_cmp_lt_u32_e64 s1, 19, v0
	ds_store_b32 v123, v53
	s_wait_dscnt 0x0
	s_barrier_signal -1
	s_barrier_wait -1
	s_and_saveexec_b32 s4, s1
	s_cbranch_execz .LBB26_97
; %bb.82:
	s_and_not1_b32 vcc_lo, exec_lo, s27
	s_cbranch_vccnz .LBB26_84
; %bb.83:
	v_cmp_eq_u32_e32 vcc_lo, 1, v0
	ds_load_b32 v121, v123
	v_cndmask_b32_e32 v120, v34, v35, vcc_lo
	v_cmp_eq_u32_e32 vcc_lo, 2, v0
	s_delay_alu instid0(VALU_DEP_2) | instskip(SKIP_1) | instid1(VALU_DEP_2)
	v_cndmask_b32_e32 v120, v120, v36, vcc_lo
	v_cmp_eq_u32_e32 vcc_lo, 3, v0
	v_cndmask_b32_e32 v120, v120, v37, vcc_lo
	v_cmp_eq_u32_e32 vcc_lo, 4, v0
	s_delay_alu instid0(VALU_DEP_2) | instskip(SKIP_1) | instid1(VALU_DEP_2)
	v_cndmask_b32_e32 v120, v120, v38, vcc_lo
	v_cmp_eq_u32_e32 vcc_lo, 5, v0
	;; [unrolled: 5-line block ×12, first 2 shown]
	v_cndmask_b32_e32 v120, v120, v59, vcc_lo
	v_cmp_eq_u32_e32 vcc_lo, 26, v0
	s_delay_alu instid0(VALU_DEP_2) | instskip(SKIP_1) | instid1(VALU_DEP_1)
	v_cndmask_b32_e32 v120, v120, v60, vcc_lo
	s_wait_dscnt 0x0
	v_mul_f32_e32 v124, v120, v121
	s_cbranch_execz .LBB26_85
	s_branch .LBB26_86
.LBB26_84:
                                        ; implicit-def: $vgpr124
.LBB26_85:
	ds_load_b32 v124, v123
.LBB26_86:
	s_and_saveexec_b32 s5, s0
	s_cbranch_execz .LBB26_96
; %bb.87:
	v_subrev_nc_u32_e32 v122, 21, v0
	v_mov_b32_e32 v120, 20
	v_subrev_nc_u32_e32 v121, 20, v0
	s_mov_b32 s0, exec_lo
	s_delay_alu instid0(VALU_DEP_3)
	v_cmpx_lt_u32_e32 6, v122
	s_cbranch_execz .LBB26_91
; %bb.88:
	s_delay_alu instid0(VALU_DEP_2) | instskip(SKIP_3) | instid1(VALU_DEP_1)
	v_and_b32_e32 v120, -8, v121
	s_mov_b32 s6, 0
	s_mov_b64 s[2:3], 27
	s_movk_i32 s7, 0xc0
	v_sub_nc_u32_e32 v122, 0, v120
.LBB26_89:                              ; =>This Inner Loop Header: Depth=1
	s_add_co_i32 m0, s2, -7
	v_movrels_b32_e32 v125, v34
	v_mov_b32_e32 v120, s7
	s_add_co_i32 m0, s2, -6
	s_add_co_i32 s7, s7, 32
	v_movrels_b32_e32 v134, v34
	s_add_co_i32 m0, s2, -5
	ds_load_b128 v[126:129], v120
	ds_load_b128 v[130:133], v120 offset:16
	v_movrels_b32_e32 v120, v34
	s_add_co_i32 m0, s2, -4
	s_wait_dscnt 0x1
	v_fmac_f32_e32 v124, v125, v126
	v_movrels_b32_e32 v125, v34
	s_add_co_i32 m0, s2, -3
	s_delay_alu instid0(VALU_DEP_2) | instskip(NEXT) | instid1(VALU_DEP_1)
	v_fmac_f32_e32 v124, v134, v127
	v_fmac_f32_e32 v124, v120, v128
	v_movrels_b32_e32 v120, v34
	s_add_co_i32 m0, s2, -2
	s_delay_alu instid0(VALU_DEP_2) | instskip(SKIP_3) | instid1(VALU_DEP_2)
	v_fmac_f32_e32 v124, v125, v129
	v_movrels_b32_e32 v125, v34
	s_add_co_i32 m0, s2, -1
	s_wait_dscnt 0x0
	v_fmac_f32_e32 v124, v120, v130
	v_movrels_b32_e32 v120, v34
	s_mov_b32 m0, s2
	s_add_nc_u64 s[2:3], s[2:3], 8
	v_movrels_b32_e32 v126, v34
	v_dual_fmac_f32 v124, v125, v131 :: v_dual_add_nc_u32 v125, s2, v122
	s_add_co_i32 s8, s2, -7
	s_delay_alu instid0(VALU_DEP_1) | instskip(NEXT) | instid1(VALU_DEP_2)
	v_fmac_f32_e32 v124, v120, v132
	v_cmp_eq_u32_e32 vcc_lo, 27, v125
	s_delay_alu instid0(VALU_DEP_2) | instskip(SKIP_1) | instid1(SALU_CYCLE_1)
	v_dual_mov_b32 v120, s8 :: v_dual_fmac_f32 v124, v126, v133
	s_or_b32 s6, vcc_lo, s6
	s_and_not1_b32 exec_lo, exec_lo, s6
	s_cbranch_execnz .LBB26_89
; %bb.90:
	s_or_b32 exec_lo, exec_lo, s6
.LBB26_91:
	s_delay_alu instid0(SALU_CYCLE_1) | instskip(SKIP_3) | instid1(VALU_DEP_1)
	s_or_b32 exec_lo, exec_lo, s0
	v_and_b32_e32 v61, 7, v121
	s_mov_b32 s2, 0
	s_mov_b32 s0, exec_lo
	v_cmpx_ne_u32_e32 0, v61
	s_cbranch_execz .LBB26_95
; %bb.92:
	v_lshl_add_u32 v62, v120, 2, 0x70
	v_mov_b32_e32 v121, 0
.LBB26_93:                              ; =>This Inner Loop Header: Depth=1
	v_cmp_eq_u32_e32 vcc_lo, 1, v120
	ds_load_b32 v64, v62
	v_dual_add_nc_u32 v61, -1, v61 :: v_dual_add_nc_u32 v62, 4, v62
	v_cndmask_b32_e32 v63, v34, v35, vcc_lo
	v_cmp_eq_u32_e32 vcc_lo, 2, v120
	s_delay_alu instid0(VALU_DEP_2) | instskip(SKIP_1) | instid1(VALU_DEP_2)
	v_cndmask_b32_e32 v63, v63, v36, vcc_lo
	v_cmp_eq_u32_e32 vcc_lo, 3, v120
	v_cndmask_b32_e32 v63, v63, v37, vcc_lo
	v_cmp_eq_u32_e32 vcc_lo, 4, v120
	s_delay_alu instid0(VALU_DEP_2) | instskip(SKIP_1) | instid1(VALU_DEP_2)
	v_cndmask_b32_e32 v63, v63, v38, vcc_lo
	v_cmp_eq_u32_e32 vcc_lo, 5, v120
	;; [unrolled: 5-line block ×12, first 2 shown]
	v_cndmask_b32_e32 v63, v63, v59, vcc_lo
	v_cmp_eq_u32_e32 vcc_lo, 26, v120
	v_add_nc_u64_e32 v[120:121], 1, v[120:121]
	s_delay_alu instid0(VALU_DEP_3) | instskip(SKIP_2) | instid1(VALU_DEP_2)
	v_cndmask_b32_e32 v63, v63, v60, vcc_lo
	v_cmp_eq_u32_e32 vcc_lo, 0, v61
	s_wait_dscnt 0x0
	v_fmac_f32_e32 v124, v63, v64
	s_or_b32 s2, vcc_lo, s2
	s_delay_alu instid0(SALU_CYCLE_1)
	s_and_not1_b32 exec_lo, exec_lo, s2
	s_cbranch_execnz .LBB26_93
; %bb.94:
	s_or_b32 exec_lo, exec_lo, s2
.LBB26_95:
	s_delay_alu instid0(SALU_CYCLE_1)
	s_or_b32 exec_lo, exec_lo, s0
.LBB26_96:
	s_delay_alu instid0(SALU_CYCLE_1)
	s_or_b32 exec_lo, exec_lo, s5
	v_mov_b32_e32 v53, 0
	ds_load_b32 v53, v53 offset:76
	s_wait_dscnt 0x0
	v_mul_f32_e32 v53, v124, v53
.LBB26_97:
	s_or_b32 exec_lo, exec_lo, s4
	v_cmp_lt_u32_e64 s0, 18, v0
	ds_store_b32 v123, v52
	s_wait_dscnt 0x0
	s_barrier_signal -1
	s_barrier_wait -1
	s_and_saveexec_b32 s4, s0
	s_cbranch_execz .LBB26_113
; %bb.98:
	s_and_not1_b32 vcc_lo, exec_lo, s27
	s_cbranch_vccnz .LBB26_100
; %bb.99:
	v_cmp_eq_u32_e32 vcc_lo, 1, v0
	ds_load_b32 v121, v123
	v_cndmask_b32_e32 v120, v34, v35, vcc_lo
	v_cmp_eq_u32_e32 vcc_lo, 2, v0
	s_delay_alu instid0(VALU_DEP_2) | instskip(SKIP_1) | instid1(VALU_DEP_2)
	v_cndmask_b32_e32 v120, v120, v36, vcc_lo
	v_cmp_eq_u32_e32 vcc_lo, 3, v0
	v_cndmask_b32_e32 v120, v120, v37, vcc_lo
	v_cmp_eq_u32_e32 vcc_lo, 4, v0
	s_delay_alu instid0(VALU_DEP_2) | instskip(SKIP_1) | instid1(VALU_DEP_2)
	v_cndmask_b32_e32 v120, v120, v38, vcc_lo
	v_cmp_eq_u32_e32 vcc_lo, 5, v0
	;; [unrolled: 5-line block ×12, first 2 shown]
	v_cndmask_b32_e32 v120, v120, v59, vcc_lo
	v_cmp_eq_u32_e32 vcc_lo, 26, v0
	s_delay_alu instid0(VALU_DEP_2) | instskip(SKIP_1) | instid1(VALU_DEP_1)
	v_cndmask_b32_e32 v120, v120, v60, vcc_lo
	s_wait_dscnt 0x0
	v_mul_f32_e32 v124, v120, v121
	s_cbranch_execz .LBB26_101
	s_branch .LBB26_102
.LBB26_100:
                                        ; implicit-def: $vgpr124
.LBB26_101:
	ds_load_b32 v124, v123
.LBB26_102:
	s_and_saveexec_b32 s5, s1
	s_cbranch_execz .LBB26_112
; %bb.103:
	v_subrev_nc_u32_e32 v122, 20, v0
	v_mov_b32_e32 v120, 19
	v_subrev_nc_u32_e32 v121, 19, v0
	s_mov_b32 s1, exec_lo
	s_delay_alu instid0(VALU_DEP_3)
	v_cmpx_lt_u32_e32 6, v122
	s_cbranch_execz .LBB26_107
; %bb.104:
	s_delay_alu instid0(VALU_DEP_2) | instskip(SKIP_3) | instid1(VALU_DEP_1)
	v_and_b32_e32 v120, -8, v121
	s_mov_b32 s6, 0
	s_mov_b64 s[2:3], 26
	s_movk_i32 s7, 0xbc
	v_sub_nc_u32_e32 v122, 0, v120
.LBB26_105:                             ; =>This Inner Loop Header: Depth=1
	s_add_co_i32 m0, s2, -7
	v_movrels_b32_e32 v125, v34
	v_mov_b32_e32 v120, s7
	s_add_co_i32 m0, s2, -6
	s_add_co_i32 s7, s7, 32
	v_movrels_b32_e32 v134, v34
	ds_load_2addr_b32 v[126:127], v120 offset1:1
	ds_load_2addr_b32 v[128:129], v120 offset0:2 offset1:3
	s_add_co_i32 m0, s2, -5
	s_wait_dscnt 0x1
	v_fmac_f32_e32 v124, v125, v126
	ds_load_2addr_b32 v[130:131], v120 offset0:4 offset1:5
	ds_load_2addr_b32 v[132:133], v120 offset0:6 offset1:7
	v_movrels_b32_e32 v120, v34
	s_add_co_i32 m0, s2, -4
	v_fmac_f32_e32 v124, v134, v127
	v_movrels_b32_e32 v125, v34
	s_add_co_i32 m0, s2, -3
	s_wait_dscnt 0x2
	s_delay_alu instid0(VALU_DEP_2) | instskip(SKIP_2) | instid1(VALU_DEP_2)
	v_fmac_f32_e32 v124, v120, v128
	v_movrels_b32_e32 v120, v34
	s_add_co_i32 m0, s2, -2
	v_fmac_f32_e32 v124, v125, v129
	v_movrels_b32_e32 v125, v34
	s_add_co_i32 m0, s2, -1
	s_wait_dscnt 0x1
	s_delay_alu instid0(VALU_DEP_2)
	v_fmac_f32_e32 v124, v120, v130
	v_movrels_b32_e32 v120, v34
	s_mov_b32 m0, s2
	s_add_nc_u64 s[2:3], s[2:3], 8
	v_movrels_b32_e32 v126, v34
	v_dual_fmac_f32 v124, v125, v131 :: v_dual_add_nc_u32 v125, s2, v122
	s_add_co_i32 s8, s2, -7
	s_wait_dscnt 0x0
	s_delay_alu instid0(VALU_DEP_1) | instskip(NEXT) | instid1(VALU_DEP_2)
	v_fmac_f32_e32 v124, v120, v132
	v_cmp_eq_u32_e32 vcc_lo, 26, v125
	s_delay_alu instid0(VALU_DEP_2) | instskip(SKIP_1) | instid1(SALU_CYCLE_1)
	v_dual_mov_b32 v120, s8 :: v_dual_fmac_f32 v124, v126, v133
	s_or_b32 s6, vcc_lo, s6
	s_and_not1_b32 exec_lo, exec_lo, s6
	s_cbranch_execnz .LBB26_105
; %bb.106:
	s_or_b32 exec_lo, exec_lo, s6
.LBB26_107:
	s_delay_alu instid0(SALU_CYCLE_1) | instskip(SKIP_3) | instid1(VALU_DEP_1)
	s_or_b32 exec_lo, exec_lo, s1
	v_and_b32_e32 v61, 7, v121
	s_mov_b32 s2, 0
	s_mov_b32 s1, exec_lo
	v_cmpx_ne_u32_e32 0, v61
	s_cbranch_execz .LBB26_111
; %bb.108:
	v_lshl_add_u32 v62, v120, 2, 0x70
	v_mov_b32_e32 v121, 0
.LBB26_109:                             ; =>This Inner Loop Header: Depth=1
	v_cmp_eq_u32_e32 vcc_lo, 1, v120
	ds_load_b32 v64, v62
	v_dual_add_nc_u32 v61, -1, v61 :: v_dual_add_nc_u32 v62, 4, v62
	v_cndmask_b32_e32 v63, v34, v35, vcc_lo
	v_cmp_eq_u32_e32 vcc_lo, 2, v120
	s_delay_alu instid0(VALU_DEP_2) | instskip(SKIP_1) | instid1(VALU_DEP_2)
	v_cndmask_b32_e32 v63, v63, v36, vcc_lo
	v_cmp_eq_u32_e32 vcc_lo, 3, v120
	v_cndmask_b32_e32 v63, v63, v37, vcc_lo
	v_cmp_eq_u32_e32 vcc_lo, 4, v120
	s_delay_alu instid0(VALU_DEP_2) | instskip(SKIP_1) | instid1(VALU_DEP_2)
	v_cndmask_b32_e32 v63, v63, v38, vcc_lo
	v_cmp_eq_u32_e32 vcc_lo, 5, v120
	;; [unrolled: 5-line block ×12, first 2 shown]
	v_cndmask_b32_e32 v63, v63, v59, vcc_lo
	v_cmp_eq_u32_e32 vcc_lo, 26, v120
	v_add_nc_u64_e32 v[120:121], 1, v[120:121]
	s_delay_alu instid0(VALU_DEP_3) | instskip(SKIP_2) | instid1(VALU_DEP_2)
	v_cndmask_b32_e32 v63, v63, v60, vcc_lo
	v_cmp_eq_u32_e32 vcc_lo, 0, v61
	s_wait_dscnt 0x0
	v_fmac_f32_e32 v124, v63, v64
	s_or_b32 s2, vcc_lo, s2
	s_delay_alu instid0(SALU_CYCLE_1)
	s_and_not1_b32 exec_lo, exec_lo, s2
	s_cbranch_execnz .LBB26_109
; %bb.110:
	s_or_b32 exec_lo, exec_lo, s2
.LBB26_111:
	s_delay_alu instid0(SALU_CYCLE_1)
	s_or_b32 exec_lo, exec_lo, s1
.LBB26_112:
	s_delay_alu instid0(SALU_CYCLE_1)
	s_or_b32 exec_lo, exec_lo, s5
	v_mov_b32_e32 v52, 0
	ds_load_b32 v52, v52 offset:72
	s_wait_dscnt 0x0
	v_mul_f32_e32 v52, v124, v52
.LBB26_113:
	s_or_b32 exec_lo, exec_lo, s4
	v_cmp_lt_u32_e64 s1, 17, v0
	ds_store_b32 v123, v51
	s_wait_dscnt 0x0
	s_barrier_signal -1
	s_barrier_wait -1
	s_and_saveexec_b32 s4, s1
	s_cbranch_execz .LBB26_129
; %bb.114:
	s_and_not1_b32 vcc_lo, exec_lo, s27
	s_cbranch_vccnz .LBB26_116
; %bb.115:
	v_cmp_eq_u32_e32 vcc_lo, 1, v0
	ds_load_b32 v121, v123
	v_cndmask_b32_e32 v120, v34, v35, vcc_lo
	v_cmp_eq_u32_e32 vcc_lo, 2, v0
	s_delay_alu instid0(VALU_DEP_2) | instskip(SKIP_1) | instid1(VALU_DEP_2)
	v_cndmask_b32_e32 v120, v120, v36, vcc_lo
	v_cmp_eq_u32_e32 vcc_lo, 3, v0
	v_cndmask_b32_e32 v120, v120, v37, vcc_lo
	v_cmp_eq_u32_e32 vcc_lo, 4, v0
	s_delay_alu instid0(VALU_DEP_2) | instskip(SKIP_1) | instid1(VALU_DEP_2)
	v_cndmask_b32_e32 v120, v120, v38, vcc_lo
	v_cmp_eq_u32_e32 vcc_lo, 5, v0
	;; [unrolled: 5-line block ×12, first 2 shown]
	v_cndmask_b32_e32 v120, v120, v59, vcc_lo
	v_cmp_eq_u32_e32 vcc_lo, 26, v0
	s_delay_alu instid0(VALU_DEP_2) | instskip(SKIP_1) | instid1(VALU_DEP_1)
	v_cndmask_b32_e32 v120, v120, v60, vcc_lo
	s_wait_dscnt 0x0
	v_mul_f32_e32 v124, v120, v121
	s_cbranch_execz .LBB26_117
	s_branch .LBB26_118
.LBB26_116:
                                        ; implicit-def: $vgpr124
.LBB26_117:
	ds_load_b32 v124, v123
.LBB26_118:
	s_and_saveexec_b32 s5, s0
	s_cbranch_execz .LBB26_128
; %bb.119:
	v_subrev_nc_u32_e32 v122, 19, v0
	v_mov_b32_e32 v120, 18
	v_subrev_nc_u32_e32 v121, 18, v0
	s_mov_b32 s0, exec_lo
	s_delay_alu instid0(VALU_DEP_3)
	v_cmpx_lt_u32_e32 6, v122
	s_cbranch_execz .LBB26_123
; %bb.120:
	s_delay_alu instid0(VALU_DEP_2) | instskip(SKIP_3) | instid1(VALU_DEP_1)
	v_and_b32_e32 v120, -8, v121
	s_mov_b32 s6, 0
	s_mov_b64 s[2:3], 25
	s_movk_i32 s7, 0xb8
	v_sub_nc_u32_e32 v122, 0, v120
.LBB26_121:                             ; =>This Inner Loop Header: Depth=1
	s_add_co_i32 m0, s2, -7
	v_movrels_b32_e32 v125, v34
	v_mov_b32_e32 v120, s7
	s_add_co_i32 m0, s2, -6
	s_add_co_i32 s7, s7, 32
	v_movrels_b32_e32 v134, v34
	s_add_co_i32 m0, s2, -5
	ds_load_2addr_b64 v[126:129], v120 offset1:1
	ds_load_2addr_b64 v[130:133], v120 offset0:2 offset1:3
	v_movrels_b32_e32 v120, v34
	s_add_co_i32 m0, s2, -4
	s_wait_dscnt 0x1
	v_fmac_f32_e32 v124, v125, v126
	v_movrels_b32_e32 v125, v34
	s_add_co_i32 m0, s2, -3
	s_delay_alu instid0(VALU_DEP_2) | instskip(NEXT) | instid1(VALU_DEP_1)
	v_fmac_f32_e32 v124, v134, v127
	v_fmac_f32_e32 v124, v120, v128
	v_movrels_b32_e32 v120, v34
	s_add_co_i32 m0, s2, -2
	s_delay_alu instid0(VALU_DEP_2) | instskip(SKIP_3) | instid1(VALU_DEP_2)
	v_fmac_f32_e32 v124, v125, v129
	v_movrels_b32_e32 v125, v34
	s_add_co_i32 m0, s2, -1
	s_wait_dscnt 0x0
	v_fmac_f32_e32 v124, v120, v130
	v_movrels_b32_e32 v120, v34
	s_mov_b32 m0, s2
	s_add_nc_u64 s[2:3], s[2:3], 8
	v_movrels_b32_e32 v126, v34
	v_dual_fmac_f32 v124, v125, v131 :: v_dual_add_nc_u32 v125, s2, v122
	s_add_co_i32 s8, s2, -7
	s_delay_alu instid0(VALU_DEP_1) | instskip(NEXT) | instid1(VALU_DEP_2)
	v_fmac_f32_e32 v124, v120, v132
	v_cmp_eq_u32_e32 vcc_lo, 25, v125
	s_delay_alu instid0(VALU_DEP_2) | instskip(SKIP_1) | instid1(SALU_CYCLE_1)
	v_dual_mov_b32 v120, s8 :: v_dual_fmac_f32 v124, v126, v133
	s_or_b32 s6, vcc_lo, s6
	s_and_not1_b32 exec_lo, exec_lo, s6
	s_cbranch_execnz .LBB26_121
; %bb.122:
	s_or_b32 exec_lo, exec_lo, s6
.LBB26_123:
	s_delay_alu instid0(SALU_CYCLE_1) | instskip(SKIP_3) | instid1(VALU_DEP_1)
	s_or_b32 exec_lo, exec_lo, s0
	v_and_b32_e32 v61, 7, v121
	s_mov_b32 s2, 0
	s_mov_b32 s0, exec_lo
	v_cmpx_ne_u32_e32 0, v61
	s_cbranch_execz .LBB26_127
; %bb.124:
	v_lshl_add_u32 v62, v120, 2, 0x70
	v_mov_b32_e32 v121, 0
.LBB26_125:                             ; =>This Inner Loop Header: Depth=1
	v_cmp_eq_u32_e32 vcc_lo, 1, v120
	ds_load_b32 v64, v62
	v_dual_add_nc_u32 v61, -1, v61 :: v_dual_add_nc_u32 v62, 4, v62
	v_cndmask_b32_e32 v63, v34, v35, vcc_lo
	v_cmp_eq_u32_e32 vcc_lo, 2, v120
	s_delay_alu instid0(VALU_DEP_2) | instskip(SKIP_1) | instid1(VALU_DEP_2)
	v_cndmask_b32_e32 v63, v63, v36, vcc_lo
	v_cmp_eq_u32_e32 vcc_lo, 3, v120
	v_cndmask_b32_e32 v63, v63, v37, vcc_lo
	v_cmp_eq_u32_e32 vcc_lo, 4, v120
	s_delay_alu instid0(VALU_DEP_2) | instskip(SKIP_1) | instid1(VALU_DEP_2)
	v_cndmask_b32_e32 v63, v63, v38, vcc_lo
	v_cmp_eq_u32_e32 vcc_lo, 5, v120
	v_cndmask_b32_e32 v63, v63, v39, vcc_lo
	v_cmp_eq_u32_e32 vcc_lo, 6, v120
	s_delay_alu instid0(VALU_DEP_2) | instskip(SKIP_1) | instid1(VALU_DEP_2)
	v_cndmask_b32_e32 v63, v63, v40, vcc_lo
	v_cmp_eq_u32_e32 vcc_lo, 7, v120
	v_cndmask_b32_e32 v63, v63, v41, vcc_lo
	v_cmp_eq_u32_e32 vcc_lo, 8, v120
	s_delay_alu instid0(VALU_DEP_2) | instskip(SKIP_1) | instid1(VALU_DEP_2)
	v_cndmask_b32_e32 v63, v63, v42, vcc_lo
	v_cmp_eq_u32_e32 vcc_lo, 9, v120
	v_cndmask_b32_e32 v63, v63, v43, vcc_lo
	v_cmp_eq_u32_e32 vcc_lo, 10, v120
	s_delay_alu instid0(VALU_DEP_2) | instskip(SKIP_1) | instid1(VALU_DEP_2)
	v_cndmask_b32_e32 v63, v63, v44, vcc_lo
	v_cmp_eq_u32_e32 vcc_lo, 11, v120
	v_cndmask_b32_e32 v63, v63, v45, vcc_lo
	v_cmp_eq_u32_e32 vcc_lo, 12, v120
	s_delay_alu instid0(VALU_DEP_2) | instskip(SKIP_1) | instid1(VALU_DEP_2)
	v_cndmask_b32_e32 v63, v63, v46, vcc_lo
	v_cmp_eq_u32_e32 vcc_lo, 13, v120
	v_cndmask_b32_e32 v63, v63, v47, vcc_lo
	v_cmp_eq_u32_e32 vcc_lo, 14, v120
	s_delay_alu instid0(VALU_DEP_2) | instskip(SKIP_1) | instid1(VALU_DEP_2)
	v_cndmask_b32_e32 v63, v63, v48, vcc_lo
	v_cmp_eq_u32_e32 vcc_lo, 15, v120
	v_cndmask_b32_e32 v63, v63, v49, vcc_lo
	v_cmp_eq_u32_e32 vcc_lo, 16, v120
	s_delay_alu instid0(VALU_DEP_2) | instskip(SKIP_1) | instid1(VALU_DEP_2)
	v_cndmask_b32_e32 v63, v63, v50, vcc_lo
	v_cmp_eq_u32_e32 vcc_lo, 17, v120
	v_cndmask_b32_e32 v63, v63, v51, vcc_lo
	v_cmp_eq_u32_e32 vcc_lo, 18, v120
	s_delay_alu instid0(VALU_DEP_2) | instskip(SKIP_1) | instid1(VALU_DEP_2)
	v_cndmask_b32_e32 v63, v63, v52, vcc_lo
	v_cmp_eq_u32_e32 vcc_lo, 19, v120
	v_cndmask_b32_e32 v63, v63, v53, vcc_lo
	v_cmp_eq_u32_e32 vcc_lo, 20, v120
	s_delay_alu instid0(VALU_DEP_2) | instskip(SKIP_1) | instid1(VALU_DEP_2)
	v_cndmask_b32_e32 v63, v63, v54, vcc_lo
	v_cmp_eq_u32_e32 vcc_lo, 21, v120
	v_cndmask_b32_e32 v63, v63, v55, vcc_lo
	v_cmp_eq_u32_e32 vcc_lo, 22, v120
	s_delay_alu instid0(VALU_DEP_2) | instskip(SKIP_1) | instid1(VALU_DEP_2)
	v_cndmask_b32_e32 v63, v63, v56, vcc_lo
	v_cmp_eq_u32_e32 vcc_lo, 23, v120
	v_cndmask_b32_e32 v63, v63, v57, vcc_lo
	v_cmp_eq_u32_e32 vcc_lo, 24, v120
	s_delay_alu instid0(VALU_DEP_2) | instskip(SKIP_1) | instid1(VALU_DEP_2)
	v_cndmask_b32_e32 v63, v63, v58, vcc_lo
	v_cmp_eq_u32_e32 vcc_lo, 25, v120
	v_cndmask_b32_e32 v63, v63, v59, vcc_lo
	v_cmp_eq_u32_e32 vcc_lo, 26, v120
	v_add_nc_u64_e32 v[120:121], 1, v[120:121]
	s_delay_alu instid0(VALU_DEP_3) | instskip(SKIP_2) | instid1(VALU_DEP_2)
	v_cndmask_b32_e32 v63, v63, v60, vcc_lo
	v_cmp_eq_u32_e32 vcc_lo, 0, v61
	s_wait_dscnt 0x0
	v_fmac_f32_e32 v124, v63, v64
	s_or_b32 s2, vcc_lo, s2
	s_delay_alu instid0(SALU_CYCLE_1)
	s_and_not1_b32 exec_lo, exec_lo, s2
	s_cbranch_execnz .LBB26_125
; %bb.126:
	s_or_b32 exec_lo, exec_lo, s2
.LBB26_127:
	s_delay_alu instid0(SALU_CYCLE_1)
	s_or_b32 exec_lo, exec_lo, s0
.LBB26_128:
	s_delay_alu instid0(SALU_CYCLE_1)
	s_or_b32 exec_lo, exec_lo, s5
	v_mov_b32_e32 v51, 0
	ds_load_b32 v51, v51 offset:68
	s_wait_dscnt 0x0
	v_mul_f32_e32 v51, v124, v51
.LBB26_129:
	s_or_b32 exec_lo, exec_lo, s4
	v_cmp_lt_u32_e64 s0, 16, v0
	ds_store_b32 v123, v50
	s_wait_dscnt 0x0
	s_barrier_signal -1
	s_barrier_wait -1
	s_and_saveexec_b32 s4, s0
	s_cbranch_execz .LBB26_145
; %bb.130:
	s_and_not1_b32 vcc_lo, exec_lo, s27
	s_cbranch_vccnz .LBB26_132
; %bb.131:
	v_cmp_eq_u32_e32 vcc_lo, 1, v0
	ds_load_b32 v121, v123
	v_cndmask_b32_e32 v120, v34, v35, vcc_lo
	v_cmp_eq_u32_e32 vcc_lo, 2, v0
	s_delay_alu instid0(VALU_DEP_2) | instskip(SKIP_1) | instid1(VALU_DEP_2)
	v_cndmask_b32_e32 v120, v120, v36, vcc_lo
	v_cmp_eq_u32_e32 vcc_lo, 3, v0
	v_cndmask_b32_e32 v120, v120, v37, vcc_lo
	v_cmp_eq_u32_e32 vcc_lo, 4, v0
	s_delay_alu instid0(VALU_DEP_2) | instskip(SKIP_1) | instid1(VALU_DEP_2)
	v_cndmask_b32_e32 v120, v120, v38, vcc_lo
	v_cmp_eq_u32_e32 vcc_lo, 5, v0
	;; [unrolled: 5-line block ×12, first 2 shown]
	v_cndmask_b32_e32 v120, v120, v59, vcc_lo
	v_cmp_eq_u32_e32 vcc_lo, 26, v0
	s_delay_alu instid0(VALU_DEP_2) | instskip(SKIP_1) | instid1(VALU_DEP_1)
	v_cndmask_b32_e32 v120, v120, v60, vcc_lo
	s_wait_dscnt 0x0
	v_mul_f32_e32 v124, v120, v121
	s_cbranch_execz .LBB26_133
	s_branch .LBB26_134
.LBB26_132:
                                        ; implicit-def: $vgpr124
.LBB26_133:
	ds_load_b32 v124, v123
.LBB26_134:
	s_and_saveexec_b32 s5, s1
	s_cbranch_execz .LBB26_144
; %bb.135:
	v_subrev_nc_u32_e32 v122, 18, v0
	v_mov_b32_e32 v120, 17
	v_subrev_nc_u32_e32 v121, 17, v0
	s_mov_b32 s1, exec_lo
	s_delay_alu instid0(VALU_DEP_3)
	v_cmpx_lt_u32_e32 6, v122
	s_cbranch_execz .LBB26_139
; %bb.136:
	s_delay_alu instid0(VALU_DEP_2) | instskip(SKIP_3) | instid1(VALU_DEP_1)
	v_and_b32_e32 v120, -8, v121
	s_mov_b32 s6, 0
	s_mov_b64 s[2:3], 24
	s_movk_i32 s7, 0xb4
	v_sub_nc_u32_e32 v122, 0, v120
.LBB26_137:                             ; =>This Inner Loop Header: Depth=1
	s_add_co_i32 m0, s2, -7
	v_movrels_b32_e32 v125, v34
	v_mov_b32_e32 v120, s7
	s_add_co_i32 m0, s2, -6
	s_add_co_i32 s7, s7, 32
	v_movrels_b32_e32 v134, v34
	ds_load_2addr_b32 v[126:127], v120 offset1:1
	ds_load_2addr_b32 v[128:129], v120 offset0:2 offset1:3
	s_add_co_i32 m0, s2, -5
	s_wait_dscnt 0x1
	v_fmac_f32_e32 v124, v125, v126
	ds_load_2addr_b32 v[130:131], v120 offset0:4 offset1:5
	ds_load_2addr_b32 v[132:133], v120 offset0:6 offset1:7
	v_movrels_b32_e32 v120, v34
	s_add_co_i32 m0, s2, -4
	v_fmac_f32_e32 v124, v134, v127
	v_movrels_b32_e32 v125, v34
	s_add_co_i32 m0, s2, -3
	s_wait_dscnt 0x2
	s_delay_alu instid0(VALU_DEP_2) | instskip(SKIP_2) | instid1(VALU_DEP_2)
	v_fmac_f32_e32 v124, v120, v128
	v_movrels_b32_e32 v120, v34
	s_add_co_i32 m0, s2, -2
	v_fmac_f32_e32 v124, v125, v129
	v_movrels_b32_e32 v125, v34
	s_add_co_i32 m0, s2, -1
	s_wait_dscnt 0x1
	s_delay_alu instid0(VALU_DEP_2)
	v_fmac_f32_e32 v124, v120, v130
	v_movrels_b32_e32 v120, v34
	s_mov_b32 m0, s2
	s_add_nc_u64 s[2:3], s[2:3], 8
	v_movrels_b32_e32 v126, v34
	v_dual_fmac_f32 v124, v125, v131 :: v_dual_add_nc_u32 v125, s2, v122
	s_add_co_i32 s8, s2, -7
	s_wait_dscnt 0x0
	s_delay_alu instid0(VALU_DEP_1) | instskip(NEXT) | instid1(VALU_DEP_2)
	v_fmac_f32_e32 v124, v120, v132
	v_cmp_eq_u32_e32 vcc_lo, 24, v125
	s_delay_alu instid0(VALU_DEP_2) | instskip(SKIP_1) | instid1(SALU_CYCLE_1)
	v_dual_mov_b32 v120, s8 :: v_dual_fmac_f32 v124, v126, v133
	s_or_b32 s6, vcc_lo, s6
	s_and_not1_b32 exec_lo, exec_lo, s6
	s_cbranch_execnz .LBB26_137
; %bb.138:
	s_or_b32 exec_lo, exec_lo, s6
.LBB26_139:
	s_delay_alu instid0(SALU_CYCLE_1) | instskip(SKIP_3) | instid1(VALU_DEP_1)
	s_or_b32 exec_lo, exec_lo, s1
	v_and_b32_e32 v61, 7, v121
	s_mov_b32 s2, 0
	s_mov_b32 s1, exec_lo
	v_cmpx_ne_u32_e32 0, v61
	s_cbranch_execz .LBB26_143
; %bb.140:
	v_lshl_add_u32 v62, v120, 2, 0x70
	v_mov_b32_e32 v121, 0
.LBB26_141:                             ; =>This Inner Loop Header: Depth=1
	v_cmp_eq_u32_e32 vcc_lo, 1, v120
	ds_load_b32 v64, v62
	v_dual_add_nc_u32 v61, -1, v61 :: v_dual_add_nc_u32 v62, 4, v62
	v_cndmask_b32_e32 v63, v34, v35, vcc_lo
	v_cmp_eq_u32_e32 vcc_lo, 2, v120
	s_delay_alu instid0(VALU_DEP_2) | instskip(SKIP_1) | instid1(VALU_DEP_2)
	v_cndmask_b32_e32 v63, v63, v36, vcc_lo
	v_cmp_eq_u32_e32 vcc_lo, 3, v120
	v_cndmask_b32_e32 v63, v63, v37, vcc_lo
	v_cmp_eq_u32_e32 vcc_lo, 4, v120
	s_delay_alu instid0(VALU_DEP_2) | instskip(SKIP_1) | instid1(VALU_DEP_2)
	v_cndmask_b32_e32 v63, v63, v38, vcc_lo
	v_cmp_eq_u32_e32 vcc_lo, 5, v120
	;; [unrolled: 5-line block ×12, first 2 shown]
	v_cndmask_b32_e32 v63, v63, v59, vcc_lo
	v_cmp_eq_u32_e32 vcc_lo, 26, v120
	v_add_nc_u64_e32 v[120:121], 1, v[120:121]
	s_delay_alu instid0(VALU_DEP_3) | instskip(SKIP_2) | instid1(VALU_DEP_2)
	v_cndmask_b32_e32 v63, v63, v60, vcc_lo
	v_cmp_eq_u32_e32 vcc_lo, 0, v61
	s_wait_dscnt 0x0
	v_fmac_f32_e32 v124, v63, v64
	s_or_b32 s2, vcc_lo, s2
	s_delay_alu instid0(SALU_CYCLE_1)
	s_and_not1_b32 exec_lo, exec_lo, s2
	s_cbranch_execnz .LBB26_141
; %bb.142:
	s_or_b32 exec_lo, exec_lo, s2
.LBB26_143:
	s_delay_alu instid0(SALU_CYCLE_1)
	s_or_b32 exec_lo, exec_lo, s1
.LBB26_144:
	s_delay_alu instid0(SALU_CYCLE_1)
	s_or_b32 exec_lo, exec_lo, s5
	v_mov_b32_e32 v50, 0
	ds_load_b32 v50, v50 offset:64
	s_wait_dscnt 0x0
	v_mul_f32_e32 v50, v124, v50
.LBB26_145:
	s_or_b32 exec_lo, exec_lo, s4
	v_cmp_lt_u32_e64 s1, 15, v0
	ds_store_b32 v123, v49
	s_wait_dscnt 0x0
	s_barrier_signal -1
	s_barrier_wait -1
	s_and_saveexec_b32 s4, s1
	s_cbranch_execz .LBB26_161
; %bb.146:
	s_and_not1_b32 vcc_lo, exec_lo, s27
	s_cbranch_vccnz .LBB26_148
; %bb.147:
	v_cmp_eq_u32_e32 vcc_lo, 1, v0
	ds_load_b32 v121, v123
	v_cndmask_b32_e32 v120, v34, v35, vcc_lo
	v_cmp_eq_u32_e32 vcc_lo, 2, v0
	s_delay_alu instid0(VALU_DEP_2) | instskip(SKIP_1) | instid1(VALU_DEP_2)
	v_cndmask_b32_e32 v120, v120, v36, vcc_lo
	v_cmp_eq_u32_e32 vcc_lo, 3, v0
	v_cndmask_b32_e32 v120, v120, v37, vcc_lo
	v_cmp_eq_u32_e32 vcc_lo, 4, v0
	s_delay_alu instid0(VALU_DEP_2) | instskip(SKIP_1) | instid1(VALU_DEP_2)
	v_cndmask_b32_e32 v120, v120, v38, vcc_lo
	v_cmp_eq_u32_e32 vcc_lo, 5, v0
	;; [unrolled: 5-line block ×12, first 2 shown]
	v_cndmask_b32_e32 v120, v120, v59, vcc_lo
	v_cmp_eq_u32_e32 vcc_lo, 26, v0
	s_delay_alu instid0(VALU_DEP_2) | instskip(SKIP_1) | instid1(VALU_DEP_1)
	v_cndmask_b32_e32 v120, v120, v60, vcc_lo
	s_wait_dscnt 0x0
	v_mul_f32_e32 v124, v120, v121
	s_cbranch_execz .LBB26_149
	s_branch .LBB26_150
.LBB26_148:
                                        ; implicit-def: $vgpr124
.LBB26_149:
	ds_load_b32 v124, v123
.LBB26_150:
	s_and_saveexec_b32 s5, s0
	s_cbranch_execz .LBB26_160
; %bb.151:
	v_subrev_nc_u32_e32 v120, 17, v0
	s_delay_alu instid0(VALU_DEP_1)
	v_cmp_lt_u32_e32 vcc_lo, 6, v120
	v_mov_b32_e32 v120, 16
	s_and_saveexec_b32 s0, vcc_lo
	s_cbranch_execz .LBB26_155
; %bb.152:
	v_and_b32_e32 v120, 24, v0
	s_mov_b32 s6, 0
	s_mov_b64 s[2:3], 23
	s_movk_i32 s7, 0xb0
	s_delay_alu instid0(VALU_DEP_1)
	v_sub_nc_u32_e32 v122, 0, v120
.LBB26_153:                             ; =>This Inner Loop Header: Depth=1
	s_add_co_i32 m0, s2, -7
	v_movrels_b32_e32 v121, v34
	v_mov_b32_e32 v120, s7
	s_add_co_i32 m0, s2, -6
	s_add_co_i32 s7, s7, 32
	v_movrels_b32_e32 v125, v34
	s_add_co_i32 m0, s2, -5
	ds_load_b128 v[126:129], v120
	ds_load_b128 v[130:133], v120 offset:16
	v_movrels_b32_e32 v120, v34
	s_add_co_i32 m0, s2, -4
	s_wait_dscnt 0x1
	v_fmac_f32_e32 v124, v121, v126
	v_movrels_b32_e32 v121, v34
	s_add_co_i32 m0, s2, -3
	s_delay_alu instid0(VALU_DEP_2) | instskip(NEXT) | instid1(VALU_DEP_1)
	v_fmac_f32_e32 v124, v125, v127
	v_fmac_f32_e32 v124, v120, v128
	v_movrels_b32_e32 v120, v34
	s_add_co_i32 m0, s2, -2
	s_delay_alu instid0(VALU_DEP_2) | instskip(SKIP_3) | instid1(VALU_DEP_2)
	v_fmac_f32_e32 v124, v121, v129
	v_movrels_b32_e32 v121, v34
	s_add_co_i32 m0, s2, -1
	s_wait_dscnt 0x0
	v_fmac_f32_e32 v124, v120, v130
	v_movrels_b32_e32 v120, v34
	s_mov_b32 m0, s2
	s_add_nc_u64 s[2:3], s[2:3], 8
	v_movrels_b32_e32 v125, v34
	v_dual_fmac_f32 v124, v121, v131 :: v_dual_add_nc_u32 v121, s2, v122
	s_add_co_i32 s8, s2, -7
	s_delay_alu instid0(VALU_DEP_1) | instskip(NEXT) | instid1(VALU_DEP_2)
	v_fmac_f32_e32 v124, v120, v132
	v_cmp_eq_u32_e32 vcc_lo, 7, v121
	s_delay_alu instid0(VALU_DEP_2) | instskip(SKIP_1) | instid1(SALU_CYCLE_1)
	v_dual_mov_b32 v120, s8 :: v_dual_fmac_f32 v124, v125, v133
	s_or_b32 s6, vcc_lo, s6
	s_and_not1_b32 exec_lo, exec_lo, s6
	s_cbranch_execnz .LBB26_153
; %bb.154:
	s_or_b32 exec_lo, exec_lo, s6
.LBB26_155:
	s_delay_alu instid0(SALU_CYCLE_1) | instskip(SKIP_3) | instid1(VALU_DEP_1)
	s_or_b32 exec_lo, exec_lo, s0
	v_and_b32_e32 v61, 7, v0
	s_mov_b32 s2, 0
	s_mov_b32 s0, exec_lo
	v_cmpx_ne_u32_e32 0, v61
	s_cbranch_execz .LBB26_159
; %bb.156:
	v_lshl_add_u32 v62, v120, 2, 0x70
	v_mov_b32_e32 v121, 0
.LBB26_157:                             ; =>This Inner Loop Header: Depth=1
	v_cmp_eq_u32_e32 vcc_lo, 1, v120
	ds_load_b32 v64, v62
	v_dual_add_nc_u32 v61, -1, v61 :: v_dual_add_nc_u32 v62, 4, v62
	v_cndmask_b32_e32 v63, v34, v35, vcc_lo
	v_cmp_eq_u32_e32 vcc_lo, 2, v120
	s_delay_alu instid0(VALU_DEP_2) | instskip(SKIP_1) | instid1(VALU_DEP_2)
	v_cndmask_b32_e32 v63, v63, v36, vcc_lo
	v_cmp_eq_u32_e32 vcc_lo, 3, v120
	v_cndmask_b32_e32 v63, v63, v37, vcc_lo
	v_cmp_eq_u32_e32 vcc_lo, 4, v120
	s_delay_alu instid0(VALU_DEP_2) | instskip(SKIP_1) | instid1(VALU_DEP_2)
	v_cndmask_b32_e32 v63, v63, v38, vcc_lo
	v_cmp_eq_u32_e32 vcc_lo, 5, v120
	;; [unrolled: 5-line block ×12, first 2 shown]
	v_cndmask_b32_e32 v63, v63, v59, vcc_lo
	v_cmp_eq_u32_e32 vcc_lo, 26, v120
	v_add_nc_u64_e32 v[120:121], 1, v[120:121]
	s_delay_alu instid0(VALU_DEP_3) | instskip(SKIP_2) | instid1(VALU_DEP_2)
	v_cndmask_b32_e32 v63, v63, v60, vcc_lo
	v_cmp_eq_u32_e32 vcc_lo, 0, v61
	s_wait_dscnt 0x0
	v_fmac_f32_e32 v124, v63, v64
	s_or_b32 s2, vcc_lo, s2
	s_delay_alu instid0(SALU_CYCLE_1)
	s_and_not1_b32 exec_lo, exec_lo, s2
	s_cbranch_execnz .LBB26_157
; %bb.158:
	s_or_b32 exec_lo, exec_lo, s2
.LBB26_159:
	s_delay_alu instid0(SALU_CYCLE_1)
	s_or_b32 exec_lo, exec_lo, s0
.LBB26_160:
	s_delay_alu instid0(SALU_CYCLE_1)
	s_or_b32 exec_lo, exec_lo, s5
	v_mov_b32_e32 v49, 0
	ds_load_b32 v49, v49 offset:60
	s_wait_dscnt 0x0
	v_mul_f32_e32 v49, v124, v49
.LBB26_161:
	s_or_b32 exec_lo, exec_lo, s4
	v_cmp_lt_u32_e64 s0, 14, v0
	ds_store_b32 v123, v48
	s_wait_dscnt 0x0
	s_barrier_signal -1
	s_barrier_wait -1
	s_and_saveexec_b32 s4, s0
	s_cbranch_execz .LBB26_177
; %bb.162:
	s_and_not1_b32 vcc_lo, exec_lo, s27
	s_cbranch_vccnz .LBB26_164
; %bb.163:
	v_cmp_eq_u32_e32 vcc_lo, 1, v0
	ds_load_b32 v121, v123
	v_cndmask_b32_e32 v120, v34, v35, vcc_lo
	v_cmp_eq_u32_e32 vcc_lo, 2, v0
	s_delay_alu instid0(VALU_DEP_2) | instskip(SKIP_1) | instid1(VALU_DEP_2)
	v_cndmask_b32_e32 v120, v120, v36, vcc_lo
	v_cmp_eq_u32_e32 vcc_lo, 3, v0
	v_cndmask_b32_e32 v120, v120, v37, vcc_lo
	v_cmp_eq_u32_e32 vcc_lo, 4, v0
	s_delay_alu instid0(VALU_DEP_2) | instskip(SKIP_1) | instid1(VALU_DEP_2)
	v_cndmask_b32_e32 v120, v120, v38, vcc_lo
	v_cmp_eq_u32_e32 vcc_lo, 5, v0
	;; [unrolled: 5-line block ×12, first 2 shown]
	v_cndmask_b32_e32 v120, v120, v59, vcc_lo
	v_cmp_eq_u32_e32 vcc_lo, 26, v0
	s_delay_alu instid0(VALU_DEP_2) | instskip(SKIP_1) | instid1(VALU_DEP_1)
	v_cndmask_b32_e32 v120, v120, v60, vcc_lo
	s_wait_dscnt 0x0
	v_mul_f32_e32 v124, v120, v121
	s_cbranch_execz .LBB26_165
	s_branch .LBB26_166
.LBB26_164:
                                        ; implicit-def: $vgpr124
.LBB26_165:
	ds_load_b32 v124, v123
.LBB26_166:
	s_and_saveexec_b32 s5, s1
	s_cbranch_execz .LBB26_176
; %bb.167:
	v_dual_add_nc_u32 v120, -16, v0 :: v_dual_add_nc_u32 v121, -15, v0
	s_delay_alu instid0(VALU_DEP_1)
	v_cmp_lt_u32_e32 vcc_lo, 6, v120
	v_mov_b32_e32 v120, 15
	s_and_saveexec_b32 s1, vcc_lo
	s_cbranch_execz .LBB26_171
; %bb.168:
	v_and_b32_e32 v120, -8, v121
	s_mov_b32 s6, 0
	s_mov_b64 s[2:3], 22
	s_movk_i32 s7, 0xac
	s_delay_alu instid0(VALU_DEP_1)
	v_sub_nc_u32_e32 v122, 0, v120
.LBB26_169:                             ; =>This Inner Loop Header: Depth=1
	s_add_co_i32 m0, s2, -7
	v_movrels_b32_e32 v125, v34
	v_mov_b32_e32 v120, s7
	s_add_co_i32 m0, s2, -6
	s_add_co_i32 s7, s7, 32
	v_movrels_b32_e32 v134, v34
	ds_load_2addr_b32 v[126:127], v120 offset1:1
	ds_load_2addr_b32 v[128:129], v120 offset0:2 offset1:3
	s_add_co_i32 m0, s2, -5
	s_wait_dscnt 0x1
	v_fmac_f32_e32 v124, v125, v126
	ds_load_2addr_b32 v[130:131], v120 offset0:4 offset1:5
	ds_load_2addr_b32 v[132:133], v120 offset0:6 offset1:7
	v_movrels_b32_e32 v120, v34
	s_add_co_i32 m0, s2, -4
	v_fmac_f32_e32 v124, v134, v127
	v_movrels_b32_e32 v125, v34
	s_add_co_i32 m0, s2, -3
	s_wait_dscnt 0x2
	s_delay_alu instid0(VALU_DEP_2) | instskip(SKIP_2) | instid1(VALU_DEP_2)
	v_fmac_f32_e32 v124, v120, v128
	v_movrels_b32_e32 v120, v34
	s_add_co_i32 m0, s2, -2
	v_fmac_f32_e32 v124, v125, v129
	v_movrels_b32_e32 v125, v34
	s_add_co_i32 m0, s2, -1
	s_wait_dscnt 0x1
	s_delay_alu instid0(VALU_DEP_2)
	v_fmac_f32_e32 v124, v120, v130
	v_movrels_b32_e32 v120, v34
	s_mov_b32 m0, s2
	s_add_nc_u64 s[2:3], s[2:3], 8
	v_movrels_b32_e32 v126, v34
	v_dual_fmac_f32 v124, v125, v131 :: v_dual_add_nc_u32 v125, s2, v122
	s_add_co_i32 s8, s2, -7
	s_wait_dscnt 0x0
	s_delay_alu instid0(VALU_DEP_1) | instskip(NEXT) | instid1(VALU_DEP_2)
	v_fmac_f32_e32 v124, v120, v132
	v_cmp_eq_u32_e32 vcc_lo, 22, v125
	s_delay_alu instid0(VALU_DEP_2) | instskip(SKIP_1) | instid1(SALU_CYCLE_1)
	v_dual_mov_b32 v120, s8 :: v_dual_fmac_f32 v124, v126, v133
	s_or_b32 s6, vcc_lo, s6
	s_and_not1_b32 exec_lo, exec_lo, s6
	s_cbranch_execnz .LBB26_169
; %bb.170:
	s_or_b32 exec_lo, exec_lo, s6
.LBB26_171:
	s_delay_alu instid0(SALU_CYCLE_1) | instskip(SKIP_3) | instid1(VALU_DEP_1)
	s_or_b32 exec_lo, exec_lo, s1
	v_and_b32_e32 v61, 7, v121
	s_mov_b32 s2, 0
	s_mov_b32 s1, exec_lo
	v_cmpx_ne_u32_e32 0, v61
	s_cbranch_execz .LBB26_175
; %bb.172:
	v_lshl_add_u32 v62, v120, 2, 0x70
	v_mov_b32_e32 v121, 0
.LBB26_173:                             ; =>This Inner Loop Header: Depth=1
	v_cmp_eq_u32_e32 vcc_lo, 1, v120
	ds_load_b32 v64, v62
	v_dual_add_nc_u32 v61, -1, v61 :: v_dual_add_nc_u32 v62, 4, v62
	v_cndmask_b32_e32 v63, v34, v35, vcc_lo
	v_cmp_eq_u32_e32 vcc_lo, 2, v120
	s_delay_alu instid0(VALU_DEP_2) | instskip(SKIP_1) | instid1(VALU_DEP_2)
	v_cndmask_b32_e32 v63, v63, v36, vcc_lo
	v_cmp_eq_u32_e32 vcc_lo, 3, v120
	v_cndmask_b32_e32 v63, v63, v37, vcc_lo
	v_cmp_eq_u32_e32 vcc_lo, 4, v120
	s_delay_alu instid0(VALU_DEP_2) | instskip(SKIP_1) | instid1(VALU_DEP_2)
	v_cndmask_b32_e32 v63, v63, v38, vcc_lo
	v_cmp_eq_u32_e32 vcc_lo, 5, v120
	v_cndmask_b32_e32 v63, v63, v39, vcc_lo
	v_cmp_eq_u32_e32 vcc_lo, 6, v120
	s_delay_alu instid0(VALU_DEP_2) | instskip(SKIP_1) | instid1(VALU_DEP_2)
	v_cndmask_b32_e32 v63, v63, v40, vcc_lo
	v_cmp_eq_u32_e32 vcc_lo, 7, v120
	v_cndmask_b32_e32 v63, v63, v41, vcc_lo
	v_cmp_eq_u32_e32 vcc_lo, 8, v120
	s_delay_alu instid0(VALU_DEP_2) | instskip(SKIP_1) | instid1(VALU_DEP_2)
	v_cndmask_b32_e32 v63, v63, v42, vcc_lo
	v_cmp_eq_u32_e32 vcc_lo, 9, v120
	v_cndmask_b32_e32 v63, v63, v43, vcc_lo
	v_cmp_eq_u32_e32 vcc_lo, 10, v120
	s_delay_alu instid0(VALU_DEP_2) | instskip(SKIP_1) | instid1(VALU_DEP_2)
	v_cndmask_b32_e32 v63, v63, v44, vcc_lo
	v_cmp_eq_u32_e32 vcc_lo, 11, v120
	v_cndmask_b32_e32 v63, v63, v45, vcc_lo
	v_cmp_eq_u32_e32 vcc_lo, 12, v120
	s_delay_alu instid0(VALU_DEP_2) | instskip(SKIP_1) | instid1(VALU_DEP_2)
	v_cndmask_b32_e32 v63, v63, v46, vcc_lo
	v_cmp_eq_u32_e32 vcc_lo, 13, v120
	v_cndmask_b32_e32 v63, v63, v47, vcc_lo
	v_cmp_eq_u32_e32 vcc_lo, 14, v120
	s_delay_alu instid0(VALU_DEP_2) | instskip(SKIP_1) | instid1(VALU_DEP_2)
	v_cndmask_b32_e32 v63, v63, v48, vcc_lo
	v_cmp_eq_u32_e32 vcc_lo, 15, v120
	v_cndmask_b32_e32 v63, v63, v49, vcc_lo
	v_cmp_eq_u32_e32 vcc_lo, 16, v120
	s_delay_alu instid0(VALU_DEP_2) | instskip(SKIP_1) | instid1(VALU_DEP_2)
	v_cndmask_b32_e32 v63, v63, v50, vcc_lo
	v_cmp_eq_u32_e32 vcc_lo, 17, v120
	v_cndmask_b32_e32 v63, v63, v51, vcc_lo
	v_cmp_eq_u32_e32 vcc_lo, 18, v120
	s_delay_alu instid0(VALU_DEP_2) | instskip(SKIP_1) | instid1(VALU_DEP_2)
	v_cndmask_b32_e32 v63, v63, v52, vcc_lo
	v_cmp_eq_u32_e32 vcc_lo, 19, v120
	v_cndmask_b32_e32 v63, v63, v53, vcc_lo
	v_cmp_eq_u32_e32 vcc_lo, 20, v120
	s_delay_alu instid0(VALU_DEP_2) | instskip(SKIP_1) | instid1(VALU_DEP_2)
	v_cndmask_b32_e32 v63, v63, v54, vcc_lo
	v_cmp_eq_u32_e32 vcc_lo, 21, v120
	v_cndmask_b32_e32 v63, v63, v55, vcc_lo
	v_cmp_eq_u32_e32 vcc_lo, 22, v120
	s_delay_alu instid0(VALU_DEP_2) | instskip(SKIP_1) | instid1(VALU_DEP_2)
	v_cndmask_b32_e32 v63, v63, v56, vcc_lo
	v_cmp_eq_u32_e32 vcc_lo, 23, v120
	v_cndmask_b32_e32 v63, v63, v57, vcc_lo
	v_cmp_eq_u32_e32 vcc_lo, 24, v120
	s_delay_alu instid0(VALU_DEP_2) | instskip(SKIP_1) | instid1(VALU_DEP_2)
	v_cndmask_b32_e32 v63, v63, v58, vcc_lo
	v_cmp_eq_u32_e32 vcc_lo, 25, v120
	v_cndmask_b32_e32 v63, v63, v59, vcc_lo
	v_cmp_eq_u32_e32 vcc_lo, 26, v120
	v_add_nc_u64_e32 v[120:121], 1, v[120:121]
	s_delay_alu instid0(VALU_DEP_3) | instskip(SKIP_2) | instid1(VALU_DEP_2)
	v_cndmask_b32_e32 v63, v63, v60, vcc_lo
	v_cmp_eq_u32_e32 vcc_lo, 0, v61
	s_wait_dscnt 0x0
	v_fmac_f32_e32 v124, v63, v64
	s_or_b32 s2, vcc_lo, s2
	s_delay_alu instid0(SALU_CYCLE_1)
	s_and_not1_b32 exec_lo, exec_lo, s2
	s_cbranch_execnz .LBB26_173
; %bb.174:
	s_or_b32 exec_lo, exec_lo, s2
.LBB26_175:
	s_delay_alu instid0(SALU_CYCLE_1)
	s_or_b32 exec_lo, exec_lo, s1
.LBB26_176:
	s_delay_alu instid0(SALU_CYCLE_1)
	s_or_b32 exec_lo, exec_lo, s5
	v_mov_b32_e32 v48, 0
	ds_load_b32 v48, v48 offset:56
	s_wait_dscnt 0x0
	v_mul_f32_e32 v48, v124, v48
.LBB26_177:
	s_or_b32 exec_lo, exec_lo, s4
	v_cmp_lt_u32_e64 s1, 13, v0
	ds_store_b32 v123, v47
	s_wait_dscnt 0x0
	s_barrier_signal -1
	s_barrier_wait -1
	s_and_saveexec_b32 s4, s1
	s_cbranch_execz .LBB26_193
; %bb.178:
	s_and_not1_b32 vcc_lo, exec_lo, s27
	s_cbranch_vccnz .LBB26_180
; %bb.179:
	v_cmp_eq_u32_e32 vcc_lo, 1, v0
	ds_load_b32 v121, v123
	v_cndmask_b32_e32 v120, v34, v35, vcc_lo
	v_cmp_eq_u32_e32 vcc_lo, 2, v0
	s_delay_alu instid0(VALU_DEP_2) | instskip(SKIP_1) | instid1(VALU_DEP_2)
	v_cndmask_b32_e32 v120, v120, v36, vcc_lo
	v_cmp_eq_u32_e32 vcc_lo, 3, v0
	v_cndmask_b32_e32 v120, v120, v37, vcc_lo
	v_cmp_eq_u32_e32 vcc_lo, 4, v0
	s_delay_alu instid0(VALU_DEP_2) | instskip(SKIP_1) | instid1(VALU_DEP_2)
	v_cndmask_b32_e32 v120, v120, v38, vcc_lo
	v_cmp_eq_u32_e32 vcc_lo, 5, v0
	;; [unrolled: 5-line block ×12, first 2 shown]
	v_cndmask_b32_e32 v120, v120, v59, vcc_lo
	v_cmp_eq_u32_e32 vcc_lo, 26, v0
	s_delay_alu instid0(VALU_DEP_2) | instskip(SKIP_1) | instid1(VALU_DEP_1)
	v_cndmask_b32_e32 v120, v120, v60, vcc_lo
	s_wait_dscnt 0x0
	v_mul_f32_e32 v124, v120, v121
	s_cbranch_execz .LBB26_181
	s_branch .LBB26_182
.LBB26_180:
                                        ; implicit-def: $vgpr124
.LBB26_181:
	ds_load_b32 v124, v123
.LBB26_182:
	s_and_saveexec_b32 s5, s0
	s_cbranch_execz .LBB26_192
; %bb.183:
	v_dual_add_nc_u32 v120, -15, v0 :: v_dual_add_nc_u32 v121, -14, v0
	s_delay_alu instid0(VALU_DEP_1)
	v_cmp_lt_u32_e32 vcc_lo, 6, v120
	v_mov_b32_e32 v120, 14
	s_and_saveexec_b32 s0, vcc_lo
	s_cbranch_execz .LBB26_187
; %bb.184:
	v_and_b32_e32 v120, -8, v121
	s_mov_b32 s6, 0
	s_mov_b64 s[2:3], 21
	s_movk_i32 s7, 0xa8
	s_delay_alu instid0(VALU_DEP_1)
	v_sub_nc_u32_e32 v122, 0, v120
.LBB26_185:                             ; =>This Inner Loop Header: Depth=1
	s_add_co_i32 m0, s2, -7
	v_movrels_b32_e32 v125, v34
	v_mov_b32_e32 v120, s7
	s_add_co_i32 m0, s2, -6
	s_add_co_i32 s7, s7, 32
	v_movrels_b32_e32 v134, v34
	s_add_co_i32 m0, s2, -5
	ds_load_2addr_b64 v[126:129], v120 offset1:1
	ds_load_2addr_b64 v[130:133], v120 offset0:2 offset1:3
	v_movrels_b32_e32 v120, v34
	s_add_co_i32 m0, s2, -4
	s_wait_dscnt 0x1
	v_fmac_f32_e32 v124, v125, v126
	v_movrels_b32_e32 v125, v34
	s_add_co_i32 m0, s2, -3
	s_delay_alu instid0(VALU_DEP_2) | instskip(NEXT) | instid1(VALU_DEP_1)
	v_fmac_f32_e32 v124, v134, v127
	v_fmac_f32_e32 v124, v120, v128
	v_movrels_b32_e32 v120, v34
	s_add_co_i32 m0, s2, -2
	s_delay_alu instid0(VALU_DEP_2) | instskip(SKIP_3) | instid1(VALU_DEP_2)
	v_fmac_f32_e32 v124, v125, v129
	v_movrels_b32_e32 v125, v34
	s_add_co_i32 m0, s2, -1
	s_wait_dscnt 0x0
	v_fmac_f32_e32 v124, v120, v130
	v_movrels_b32_e32 v120, v34
	s_mov_b32 m0, s2
	s_add_nc_u64 s[2:3], s[2:3], 8
	v_movrels_b32_e32 v126, v34
	v_dual_fmac_f32 v124, v125, v131 :: v_dual_add_nc_u32 v125, s2, v122
	s_add_co_i32 s8, s2, -7
	s_delay_alu instid0(VALU_DEP_1) | instskip(NEXT) | instid1(VALU_DEP_2)
	v_fmac_f32_e32 v124, v120, v132
	v_cmp_eq_u32_e32 vcc_lo, 21, v125
	s_delay_alu instid0(VALU_DEP_2) | instskip(SKIP_1) | instid1(SALU_CYCLE_1)
	v_dual_mov_b32 v120, s8 :: v_dual_fmac_f32 v124, v126, v133
	s_or_b32 s6, vcc_lo, s6
	s_and_not1_b32 exec_lo, exec_lo, s6
	s_cbranch_execnz .LBB26_185
; %bb.186:
	s_or_b32 exec_lo, exec_lo, s6
.LBB26_187:
	s_delay_alu instid0(SALU_CYCLE_1) | instskip(SKIP_3) | instid1(VALU_DEP_1)
	s_or_b32 exec_lo, exec_lo, s0
	v_and_b32_e32 v61, 7, v121
	s_mov_b32 s2, 0
	s_mov_b32 s0, exec_lo
	v_cmpx_ne_u32_e32 0, v61
	s_cbranch_execz .LBB26_191
; %bb.188:
	v_lshl_add_u32 v62, v120, 2, 0x70
	v_mov_b32_e32 v121, 0
.LBB26_189:                             ; =>This Inner Loop Header: Depth=1
	v_cmp_eq_u32_e32 vcc_lo, 1, v120
	ds_load_b32 v64, v62
	v_dual_add_nc_u32 v61, -1, v61 :: v_dual_add_nc_u32 v62, 4, v62
	v_cndmask_b32_e32 v63, v34, v35, vcc_lo
	v_cmp_eq_u32_e32 vcc_lo, 2, v120
	s_delay_alu instid0(VALU_DEP_2) | instskip(SKIP_1) | instid1(VALU_DEP_2)
	v_cndmask_b32_e32 v63, v63, v36, vcc_lo
	v_cmp_eq_u32_e32 vcc_lo, 3, v120
	v_cndmask_b32_e32 v63, v63, v37, vcc_lo
	v_cmp_eq_u32_e32 vcc_lo, 4, v120
	s_delay_alu instid0(VALU_DEP_2) | instskip(SKIP_1) | instid1(VALU_DEP_2)
	v_cndmask_b32_e32 v63, v63, v38, vcc_lo
	v_cmp_eq_u32_e32 vcc_lo, 5, v120
	v_cndmask_b32_e32 v63, v63, v39, vcc_lo
	v_cmp_eq_u32_e32 vcc_lo, 6, v120
	s_delay_alu instid0(VALU_DEP_2) | instskip(SKIP_1) | instid1(VALU_DEP_2)
	v_cndmask_b32_e32 v63, v63, v40, vcc_lo
	v_cmp_eq_u32_e32 vcc_lo, 7, v120
	v_cndmask_b32_e32 v63, v63, v41, vcc_lo
	v_cmp_eq_u32_e32 vcc_lo, 8, v120
	s_delay_alu instid0(VALU_DEP_2) | instskip(SKIP_1) | instid1(VALU_DEP_2)
	v_cndmask_b32_e32 v63, v63, v42, vcc_lo
	v_cmp_eq_u32_e32 vcc_lo, 9, v120
	v_cndmask_b32_e32 v63, v63, v43, vcc_lo
	v_cmp_eq_u32_e32 vcc_lo, 10, v120
	s_delay_alu instid0(VALU_DEP_2) | instskip(SKIP_1) | instid1(VALU_DEP_2)
	v_cndmask_b32_e32 v63, v63, v44, vcc_lo
	v_cmp_eq_u32_e32 vcc_lo, 11, v120
	v_cndmask_b32_e32 v63, v63, v45, vcc_lo
	v_cmp_eq_u32_e32 vcc_lo, 12, v120
	s_delay_alu instid0(VALU_DEP_2) | instskip(SKIP_1) | instid1(VALU_DEP_2)
	v_cndmask_b32_e32 v63, v63, v46, vcc_lo
	v_cmp_eq_u32_e32 vcc_lo, 13, v120
	v_cndmask_b32_e32 v63, v63, v47, vcc_lo
	v_cmp_eq_u32_e32 vcc_lo, 14, v120
	s_delay_alu instid0(VALU_DEP_2) | instskip(SKIP_1) | instid1(VALU_DEP_2)
	v_cndmask_b32_e32 v63, v63, v48, vcc_lo
	v_cmp_eq_u32_e32 vcc_lo, 15, v120
	v_cndmask_b32_e32 v63, v63, v49, vcc_lo
	v_cmp_eq_u32_e32 vcc_lo, 16, v120
	s_delay_alu instid0(VALU_DEP_2) | instskip(SKIP_1) | instid1(VALU_DEP_2)
	v_cndmask_b32_e32 v63, v63, v50, vcc_lo
	v_cmp_eq_u32_e32 vcc_lo, 17, v120
	v_cndmask_b32_e32 v63, v63, v51, vcc_lo
	v_cmp_eq_u32_e32 vcc_lo, 18, v120
	s_delay_alu instid0(VALU_DEP_2) | instskip(SKIP_1) | instid1(VALU_DEP_2)
	v_cndmask_b32_e32 v63, v63, v52, vcc_lo
	v_cmp_eq_u32_e32 vcc_lo, 19, v120
	v_cndmask_b32_e32 v63, v63, v53, vcc_lo
	v_cmp_eq_u32_e32 vcc_lo, 20, v120
	s_delay_alu instid0(VALU_DEP_2) | instskip(SKIP_1) | instid1(VALU_DEP_2)
	v_cndmask_b32_e32 v63, v63, v54, vcc_lo
	v_cmp_eq_u32_e32 vcc_lo, 21, v120
	v_cndmask_b32_e32 v63, v63, v55, vcc_lo
	v_cmp_eq_u32_e32 vcc_lo, 22, v120
	s_delay_alu instid0(VALU_DEP_2) | instskip(SKIP_1) | instid1(VALU_DEP_2)
	v_cndmask_b32_e32 v63, v63, v56, vcc_lo
	v_cmp_eq_u32_e32 vcc_lo, 23, v120
	v_cndmask_b32_e32 v63, v63, v57, vcc_lo
	v_cmp_eq_u32_e32 vcc_lo, 24, v120
	s_delay_alu instid0(VALU_DEP_2) | instskip(SKIP_1) | instid1(VALU_DEP_2)
	v_cndmask_b32_e32 v63, v63, v58, vcc_lo
	v_cmp_eq_u32_e32 vcc_lo, 25, v120
	v_cndmask_b32_e32 v63, v63, v59, vcc_lo
	v_cmp_eq_u32_e32 vcc_lo, 26, v120
	v_add_nc_u64_e32 v[120:121], 1, v[120:121]
	s_delay_alu instid0(VALU_DEP_3) | instskip(SKIP_2) | instid1(VALU_DEP_2)
	v_cndmask_b32_e32 v63, v63, v60, vcc_lo
	v_cmp_eq_u32_e32 vcc_lo, 0, v61
	s_wait_dscnt 0x0
	v_fmac_f32_e32 v124, v63, v64
	s_or_b32 s2, vcc_lo, s2
	s_delay_alu instid0(SALU_CYCLE_1)
	s_and_not1_b32 exec_lo, exec_lo, s2
	s_cbranch_execnz .LBB26_189
; %bb.190:
	s_or_b32 exec_lo, exec_lo, s2
.LBB26_191:
	s_delay_alu instid0(SALU_CYCLE_1)
	s_or_b32 exec_lo, exec_lo, s0
.LBB26_192:
	s_delay_alu instid0(SALU_CYCLE_1)
	s_or_b32 exec_lo, exec_lo, s5
	v_mov_b32_e32 v47, 0
	ds_load_b32 v47, v47 offset:52
	s_wait_dscnt 0x0
	v_mul_f32_e32 v47, v124, v47
.LBB26_193:
	s_or_b32 exec_lo, exec_lo, s4
	v_cmp_lt_u32_e64 s0, 12, v0
	ds_store_b32 v123, v46
	s_wait_dscnt 0x0
	s_barrier_signal -1
	s_barrier_wait -1
	s_and_saveexec_b32 s4, s0
	s_cbranch_execz .LBB26_209
; %bb.194:
	s_and_not1_b32 vcc_lo, exec_lo, s27
	s_cbranch_vccnz .LBB26_196
; %bb.195:
	v_cmp_eq_u32_e32 vcc_lo, 1, v0
	ds_load_b32 v121, v123
	v_cndmask_b32_e32 v120, v34, v35, vcc_lo
	v_cmp_eq_u32_e32 vcc_lo, 2, v0
	s_delay_alu instid0(VALU_DEP_2) | instskip(SKIP_1) | instid1(VALU_DEP_2)
	v_cndmask_b32_e32 v120, v120, v36, vcc_lo
	v_cmp_eq_u32_e32 vcc_lo, 3, v0
	v_cndmask_b32_e32 v120, v120, v37, vcc_lo
	v_cmp_eq_u32_e32 vcc_lo, 4, v0
	s_delay_alu instid0(VALU_DEP_2) | instskip(SKIP_1) | instid1(VALU_DEP_2)
	v_cndmask_b32_e32 v120, v120, v38, vcc_lo
	v_cmp_eq_u32_e32 vcc_lo, 5, v0
	;; [unrolled: 5-line block ×12, first 2 shown]
	v_cndmask_b32_e32 v120, v120, v59, vcc_lo
	v_cmp_eq_u32_e32 vcc_lo, 26, v0
	s_delay_alu instid0(VALU_DEP_2) | instskip(SKIP_1) | instid1(VALU_DEP_1)
	v_cndmask_b32_e32 v120, v120, v60, vcc_lo
	s_wait_dscnt 0x0
	v_mul_f32_e32 v124, v120, v121
	s_cbranch_execz .LBB26_197
	s_branch .LBB26_198
.LBB26_196:
                                        ; implicit-def: $vgpr124
.LBB26_197:
	ds_load_b32 v124, v123
.LBB26_198:
	s_and_saveexec_b32 s5, s1
	s_cbranch_execz .LBB26_208
; %bb.199:
	v_dual_add_nc_u32 v120, -14, v0 :: v_dual_add_nc_u32 v121, -13, v0
	s_delay_alu instid0(VALU_DEP_1)
	v_cmp_lt_u32_e32 vcc_lo, 6, v120
	v_mov_b32_e32 v120, 13
	s_and_saveexec_b32 s1, vcc_lo
	s_cbranch_execz .LBB26_203
; %bb.200:
	v_and_b32_e32 v120, -8, v121
	s_mov_b32 s6, 0
	s_mov_b64 s[2:3], 20
	s_movk_i32 s7, 0xa4
	s_delay_alu instid0(VALU_DEP_1)
	v_sub_nc_u32_e32 v122, 0, v120
.LBB26_201:                             ; =>This Inner Loop Header: Depth=1
	s_add_co_i32 m0, s2, -7
	v_movrels_b32_e32 v125, v34
	v_mov_b32_e32 v120, s7
	s_add_co_i32 m0, s2, -6
	s_add_co_i32 s7, s7, 32
	v_movrels_b32_e32 v134, v34
	ds_load_2addr_b32 v[126:127], v120 offset1:1
	ds_load_2addr_b32 v[128:129], v120 offset0:2 offset1:3
	s_add_co_i32 m0, s2, -5
	s_wait_dscnt 0x1
	v_fmac_f32_e32 v124, v125, v126
	ds_load_2addr_b32 v[130:131], v120 offset0:4 offset1:5
	ds_load_2addr_b32 v[132:133], v120 offset0:6 offset1:7
	v_movrels_b32_e32 v120, v34
	s_add_co_i32 m0, s2, -4
	v_fmac_f32_e32 v124, v134, v127
	v_movrels_b32_e32 v125, v34
	s_add_co_i32 m0, s2, -3
	s_wait_dscnt 0x2
	s_delay_alu instid0(VALU_DEP_2) | instskip(SKIP_2) | instid1(VALU_DEP_2)
	v_fmac_f32_e32 v124, v120, v128
	v_movrels_b32_e32 v120, v34
	s_add_co_i32 m0, s2, -2
	v_fmac_f32_e32 v124, v125, v129
	v_movrels_b32_e32 v125, v34
	s_add_co_i32 m0, s2, -1
	s_wait_dscnt 0x1
	s_delay_alu instid0(VALU_DEP_2)
	v_fmac_f32_e32 v124, v120, v130
	v_movrels_b32_e32 v120, v34
	s_mov_b32 m0, s2
	s_add_nc_u64 s[2:3], s[2:3], 8
	v_movrels_b32_e32 v126, v34
	v_dual_fmac_f32 v124, v125, v131 :: v_dual_add_nc_u32 v125, s2, v122
	s_add_co_i32 s8, s2, -7
	s_wait_dscnt 0x0
	s_delay_alu instid0(VALU_DEP_1) | instskip(NEXT) | instid1(VALU_DEP_2)
	v_fmac_f32_e32 v124, v120, v132
	v_cmp_eq_u32_e32 vcc_lo, 20, v125
	s_delay_alu instid0(VALU_DEP_2) | instskip(SKIP_1) | instid1(SALU_CYCLE_1)
	v_dual_mov_b32 v120, s8 :: v_dual_fmac_f32 v124, v126, v133
	s_or_b32 s6, vcc_lo, s6
	s_and_not1_b32 exec_lo, exec_lo, s6
	s_cbranch_execnz .LBB26_201
; %bb.202:
	s_or_b32 exec_lo, exec_lo, s6
.LBB26_203:
	s_delay_alu instid0(SALU_CYCLE_1) | instskip(SKIP_3) | instid1(VALU_DEP_1)
	s_or_b32 exec_lo, exec_lo, s1
	v_and_b32_e32 v61, 7, v121
	s_mov_b32 s2, 0
	s_mov_b32 s1, exec_lo
	v_cmpx_ne_u32_e32 0, v61
	s_cbranch_execz .LBB26_207
; %bb.204:
	v_lshl_add_u32 v62, v120, 2, 0x70
	v_mov_b32_e32 v121, 0
.LBB26_205:                             ; =>This Inner Loop Header: Depth=1
	v_cmp_eq_u32_e32 vcc_lo, 1, v120
	ds_load_b32 v64, v62
	v_dual_add_nc_u32 v61, -1, v61 :: v_dual_add_nc_u32 v62, 4, v62
	v_cndmask_b32_e32 v63, v34, v35, vcc_lo
	v_cmp_eq_u32_e32 vcc_lo, 2, v120
	s_delay_alu instid0(VALU_DEP_2) | instskip(SKIP_1) | instid1(VALU_DEP_2)
	v_cndmask_b32_e32 v63, v63, v36, vcc_lo
	v_cmp_eq_u32_e32 vcc_lo, 3, v120
	v_cndmask_b32_e32 v63, v63, v37, vcc_lo
	v_cmp_eq_u32_e32 vcc_lo, 4, v120
	s_delay_alu instid0(VALU_DEP_2) | instskip(SKIP_1) | instid1(VALU_DEP_2)
	v_cndmask_b32_e32 v63, v63, v38, vcc_lo
	v_cmp_eq_u32_e32 vcc_lo, 5, v120
	;; [unrolled: 5-line block ×12, first 2 shown]
	v_cndmask_b32_e32 v63, v63, v59, vcc_lo
	v_cmp_eq_u32_e32 vcc_lo, 26, v120
	v_add_nc_u64_e32 v[120:121], 1, v[120:121]
	s_delay_alu instid0(VALU_DEP_3) | instskip(SKIP_2) | instid1(VALU_DEP_2)
	v_cndmask_b32_e32 v63, v63, v60, vcc_lo
	v_cmp_eq_u32_e32 vcc_lo, 0, v61
	s_wait_dscnt 0x0
	v_fmac_f32_e32 v124, v63, v64
	s_or_b32 s2, vcc_lo, s2
	s_delay_alu instid0(SALU_CYCLE_1)
	s_and_not1_b32 exec_lo, exec_lo, s2
	s_cbranch_execnz .LBB26_205
; %bb.206:
	s_or_b32 exec_lo, exec_lo, s2
.LBB26_207:
	s_delay_alu instid0(SALU_CYCLE_1)
	s_or_b32 exec_lo, exec_lo, s1
.LBB26_208:
	s_delay_alu instid0(SALU_CYCLE_1)
	s_or_b32 exec_lo, exec_lo, s5
	v_mov_b32_e32 v46, 0
	ds_load_b32 v46, v46 offset:48
	s_wait_dscnt 0x0
	v_mul_f32_e32 v46, v124, v46
.LBB26_209:
	s_or_b32 exec_lo, exec_lo, s4
	v_cmp_lt_u32_e64 s1, 11, v0
	ds_store_b32 v123, v45
	s_wait_dscnt 0x0
	s_barrier_signal -1
	s_barrier_wait -1
	s_and_saveexec_b32 s4, s1
	s_cbranch_execz .LBB26_225
; %bb.210:
	s_and_not1_b32 vcc_lo, exec_lo, s27
	s_cbranch_vccnz .LBB26_212
; %bb.211:
	v_cmp_eq_u32_e32 vcc_lo, 1, v0
	ds_load_b32 v121, v123
	v_cndmask_b32_e32 v120, v34, v35, vcc_lo
	v_cmp_eq_u32_e32 vcc_lo, 2, v0
	s_delay_alu instid0(VALU_DEP_2) | instskip(SKIP_1) | instid1(VALU_DEP_2)
	v_cndmask_b32_e32 v120, v120, v36, vcc_lo
	v_cmp_eq_u32_e32 vcc_lo, 3, v0
	v_cndmask_b32_e32 v120, v120, v37, vcc_lo
	v_cmp_eq_u32_e32 vcc_lo, 4, v0
	s_delay_alu instid0(VALU_DEP_2) | instskip(SKIP_1) | instid1(VALU_DEP_2)
	v_cndmask_b32_e32 v120, v120, v38, vcc_lo
	v_cmp_eq_u32_e32 vcc_lo, 5, v0
	;; [unrolled: 5-line block ×12, first 2 shown]
	v_cndmask_b32_e32 v120, v120, v59, vcc_lo
	v_cmp_eq_u32_e32 vcc_lo, 26, v0
	s_delay_alu instid0(VALU_DEP_2) | instskip(SKIP_1) | instid1(VALU_DEP_1)
	v_cndmask_b32_e32 v120, v120, v60, vcc_lo
	s_wait_dscnt 0x0
	v_mul_f32_e32 v124, v120, v121
	s_cbranch_execz .LBB26_213
	s_branch .LBB26_214
.LBB26_212:
                                        ; implicit-def: $vgpr124
.LBB26_213:
	ds_load_b32 v124, v123
.LBB26_214:
	s_and_saveexec_b32 s5, s0
	s_cbranch_execz .LBB26_224
; %bb.215:
	v_dual_add_nc_u32 v120, -13, v0 :: v_dual_add_nc_u32 v121, -12, v0
	s_delay_alu instid0(VALU_DEP_1)
	v_cmp_lt_u32_e32 vcc_lo, 6, v120
	v_mov_b32_e32 v120, 12
	s_and_saveexec_b32 s0, vcc_lo
	s_cbranch_execz .LBB26_219
; %bb.216:
	v_and_b32_e32 v120, -8, v121
	s_mov_b32 s6, 0
	s_mov_b64 s[2:3], 19
	s_movk_i32 s7, 0xa0
	s_delay_alu instid0(VALU_DEP_1)
	v_sub_nc_u32_e32 v122, 0, v120
.LBB26_217:                             ; =>This Inner Loop Header: Depth=1
	s_add_co_i32 m0, s2, -7
	v_movrels_b32_e32 v125, v34
	v_mov_b32_e32 v120, s7
	s_add_co_i32 m0, s2, -6
	s_add_co_i32 s7, s7, 32
	v_movrels_b32_e32 v134, v34
	s_add_co_i32 m0, s2, -5
	ds_load_b128 v[126:129], v120
	ds_load_b128 v[130:133], v120 offset:16
	v_movrels_b32_e32 v120, v34
	s_add_co_i32 m0, s2, -4
	s_wait_dscnt 0x1
	v_fmac_f32_e32 v124, v125, v126
	v_movrels_b32_e32 v125, v34
	s_add_co_i32 m0, s2, -3
	s_delay_alu instid0(VALU_DEP_2) | instskip(NEXT) | instid1(VALU_DEP_1)
	v_fmac_f32_e32 v124, v134, v127
	v_fmac_f32_e32 v124, v120, v128
	v_movrels_b32_e32 v120, v34
	s_add_co_i32 m0, s2, -2
	s_delay_alu instid0(VALU_DEP_2) | instskip(SKIP_3) | instid1(VALU_DEP_2)
	v_fmac_f32_e32 v124, v125, v129
	v_movrels_b32_e32 v125, v34
	s_add_co_i32 m0, s2, -1
	s_wait_dscnt 0x0
	v_fmac_f32_e32 v124, v120, v130
	v_movrels_b32_e32 v120, v34
	s_mov_b32 m0, s2
	s_add_nc_u64 s[2:3], s[2:3], 8
	v_movrels_b32_e32 v126, v34
	v_dual_fmac_f32 v124, v125, v131 :: v_dual_add_nc_u32 v125, s2, v122
	s_add_co_i32 s8, s2, -7
	s_delay_alu instid0(VALU_DEP_1) | instskip(NEXT) | instid1(VALU_DEP_2)
	v_fmac_f32_e32 v124, v120, v132
	v_cmp_eq_u32_e32 vcc_lo, 19, v125
	s_delay_alu instid0(VALU_DEP_2) | instskip(SKIP_1) | instid1(SALU_CYCLE_1)
	v_dual_mov_b32 v120, s8 :: v_dual_fmac_f32 v124, v126, v133
	s_or_b32 s6, vcc_lo, s6
	s_and_not1_b32 exec_lo, exec_lo, s6
	s_cbranch_execnz .LBB26_217
; %bb.218:
	s_or_b32 exec_lo, exec_lo, s6
.LBB26_219:
	s_delay_alu instid0(SALU_CYCLE_1) | instskip(SKIP_3) | instid1(VALU_DEP_1)
	s_or_b32 exec_lo, exec_lo, s0
	v_and_b32_e32 v61, 7, v121
	s_mov_b32 s2, 0
	s_mov_b32 s0, exec_lo
	v_cmpx_ne_u32_e32 0, v61
	s_cbranch_execz .LBB26_223
; %bb.220:
	v_lshl_add_u32 v62, v120, 2, 0x70
	v_mov_b32_e32 v121, 0
.LBB26_221:                             ; =>This Inner Loop Header: Depth=1
	v_cmp_eq_u32_e32 vcc_lo, 1, v120
	ds_load_b32 v64, v62
	v_dual_add_nc_u32 v61, -1, v61 :: v_dual_add_nc_u32 v62, 4, v62
	v_cndmask_b32_e32 v63, v34, v35, vcc_lo
	v_cmp_eq_u32_e32 vcc_lo, 2, v120
	s_delay_alu instid0(VALU_DEP_2) | instskip(SKIP_1) | instid1(VALU_DEP_2)
	v_cndmask_b32_e32 v63, v63, v36, vcc_lo
	v_cmp_eq_u32_e32 vcc_lo, 3, v120
	v_cndmask_b32_e32 v63, v63, v37, vcc_lo
	v_cmp_eq_u32_e32 vcc_lo, 4, v120
	s_delay_alu instid0(VALU_DEP_2) | instskip(SKIP_1) | instid1(VALU_DEP_2)
	v_cndmask_b32_e32 v63, v63, v38, vcc_lo
	v_cmp_eq_u32_e32 vcc_lo, 5, v120
	;; [unrolled: 5-line block ×12, first 2 shown]
	v_cndmask_b32_e32 v63, v63, v59, vcc_lo
	v_cmp_eq_u32_e32 vcc_lo, 26, v120
	v_add_nc_u64_e32 v[120:121], 1, v[120:121]
	s_delay_alu instid0(VALU_DEP_3) | instskip(SKIP_2) | instid1(VALU_DEP_2)
	v_cndmask_b32_e32 v63, v63, v60, vcc_lo
	v_cmp_eq_u32_e32 vcc_lo, 0, v61
	s_wait_dscnt 0x0
	v_fmac_f32_e32 v124, v63, v64
	s_or_b32 s2, vcc_lo, s2
	s_delay_alu instid0(SALU_CYCLE_1)
	s_and_not1_b32 exec_lo, exec_lo, s2
	s_cbranch_execnz .LBB26_221
; %bb.222:
	s_or_b32 exec_lo, exec_lo, s2
.LBB26_223:
	s_delay_alu instid0(SALU_CYCLE_1)
	s_or_b32 exec_lo, exec_lo, s0
.LBB26_224:
	s_delay_alu instid0(SALU_CYCLE_1)
	s_or_b32 exec_lo, exec_lo, s5
	v_mov_b32_e32 v45, 0
	ds_load_b32 v45, v45 offset:44
	s_wait_dscnt 0x0
	v_mul_f32_e32 v45, v124, v45
.LBB26_225:
	s_or_b32 exec_lo, exec_lo, s4
	v_cmp_lt_u32_e64 s0, 10, v0
	ds_store_b32 v123, v44
	s_wait_dscnt 0x0
	s_barrier_signal -1
	s_barrier_wait -1
	s_and_saveexec_b32 s4, s0
	s_cbranch_execz .LBB26_241
; %bb.226:
	s_and_not1_b32 vcc_lo, exec_lo, s27
	s_cbranch_vccnz .LBB26_228
; %bb.227:
	v_cmp_eq_u32_e32 vcc_lo, 1, v0
	ds_load_b32 v121, v123
	v_cndmask_b32_e32 v120, v34, v35, vcc_lo
	v_cmp_eq_u32_e32 vcc_lo, 2, v0
	s_delay_alu instid0(VALU_DEP_2) | instskip(SKIP_1) | instid1(VALU_DEP_2)
	v_cndmask_b32_e32 v120, v120, v36, vcc_lo
	v_cmp_eq_u32_e32 vcc_lo, 3, v0
	v_cndmask_b32_e32 v120, v120, v37, vcc_lo
	v_cmp_eq_u32_e32 vcc_lo, 4, v0
	s_delay_alu instid0(VALU_DEP_2) | instskip(SKIP_1) | instid1(VALU_DEP_2)
	v_cndmask_b32_e32 v120, v120, v38, vcc_lo
	v_cmp_eq_u32_e32 vcc_lo, 5, v0
	;; [unrolled: 5-line block ×12, first 2 shown]
	v_cndmask_b32_e32 v120, v120, v59, vcc_lo
	v_cmp_eq_u32_e32 vcc_lo, 26, v0
	s_delay_alu instid0(VALU_DEP_2) | instskip(SKIP_1) | instid1(VALU_DEP_1)
	v_cndmask_b32_e32 v120, v120, v60, vcc_lo
	s_wait_dscnt 0x0
	v_mul_f32_e32 v124, v120, v121
	s_cbranch_execz .LBB26_229
	s_branch .LBB26_230
.LBB26_228:
                                        ; implicit-def: $vgpr124
.LBB26_229:
	ds_load_b32 v124, v123
.LBB26_230:
	s_and_saveexec_b32 s5, s1
	s_cbranch_execz .LBB26_240
; %bb.231:
	v_dual_add_nc_u32 v120, -12, v0 :: v_dual_add_nc_u32 v121, -11, v0
	s_delay_alu instid0(VALU_DEP_1)
	v_cmp_lt_u32_e32 vcc_lo, 6, v120
	v_mov_b32_e32 v120, 11
	s_and_saveexec_b32 s1, vcc_lo
	s_cbranch_execz .LBB26_235
; %bb.232:
	v_and_b32_e32 v120, -8, v121
	s_mov_b32 s6, 0
	s_mov_b64 s[2:3], 18
	s_movk_i32 s7, 0x9c
	s_delay_alu instid0(VALU_DEP_1)
	v_sub_nc_u32_e32 v122, 0, v120
.LBB26_233:                             ; =>This Inner Loop Header: Depth=1
	s_add_co_i32 m0, s2, -7
	v_movrels_b32_e32 v125, v34
	v_mov_b32_e32 v120, s7
	s_add_co_i32 m0, s2, -6
	s_add_co_i32 s7, s7, 32
	v_movrels_b32_e32 v134, v34
	ds_load_2addr_b32 v[126:127], v120 offset1:1
	ds_load_2addr_b32 v[128:129], v120 offset0:2 offset1:3
	s_add_co_i32 m0, s2, -5
	s_wait_dscnt 0x1
	v_fmac_f32_e32 v124, v125, v126
	ds_load_2addr_b32 v[130:131], v120 offset0:4 offset1:5
	ds_load_2addr_b32 v[132:133], v120 offset0:6 offset1:7
	v_movrels_b32_e32 v120, v34
	s_add_co_i32 m0, s2, -4
	v_fmac_f32_e32 v124, v134, v127
	v_movrels_b32_e32 v125, v34
	s_add_co_i32 m0, s2, -3
	s_wait_dscnt 0x2
	s_delay_alu instid0(VALU_DEP_2) | instskip(SKIP_2) | instid1(VALU_DEP_2)
	v_fmac_f32_e32 v124, v120, v128
	v_movrels_b32_e32 v120, v34
	s_add_co_i32 m0, s2, -2
	v_fmac_f32_e32 v124, v125, v129
	v_movrels_b32_e32 v125, v34
	s_add_co_i32 m0, s2, -1
	s_wait_dscnt 0x1
	s_delay_alu instid0(VALU_DEP_2)
	v_fmac_f32_e32 v124, v120, v130
	v_movrels_b32_e32 v120, v34
	s_mov_b32 m0, s2
	s_add_nc_u64 s[2:3], s[2:3], 8
	v_movrels_b32_e32 v126, v34
	v_dual_fmac_f32 v124, v125, v131 :: v_dual_add_nc_u32 v125, s2, v122
	s_add_co_i32 s8, s2, -7
	s_wait_dscnt 0x0
	s_delay_alu instid0(VALU_DEP_1) | instskip(NEXT) | instid1(VALU_DEP_2)
	v_fmac_f32_e32 v124, v120, v132
	v_cmp_eq_u32_e32 vcc_lo, 18, v125
	s_delay_alu instid0(VALU_DEP_2) | instskip(SKIP_1) | instid1(SALU_CYCLE_1)
	v_dual_mov_b32 v120, s8 :: v_dual_fmac_f32 v124, v126, v133
	s_or_b32 s6, vcc_lo, s6
	s_and_not1_b32 exec_lo, exec_lo, s6
	s_cbranch_execnz .LBB26_233
; %bb.234:
	s_or_b32 exec_lo, exec_lo, s6
.LBB26_235:
	s_delay_alu instid0(SALU_CYCLE_1) | instskip(SKIP_3) | instid1(VALU_DEP_1)
	s_or_b32 exec_lo, exec_lo, s1
	v_and_b32_e32 v61, 7, v121
	s_mov_b32 s2, 0
	s_mov_b32 s1, exec_lo
	v_cmpx_ne_u32_e32 0, v61
	s_cbranch_execz .LBB26_239
; %bb.236:
	v_lshl_add_u32 v62, v120, 2, 0x70
	v_mov_b32_e32 v121, 0
.LBB26_237:                             ; =>This Inner Loop Header: Depth=1
	v_cmp_eq_u32_e32 vcc_lo, 1, v120
	ds_load_b32 v64, v62
	v_dual_add_nc_u32 v61, -1, v61 :: v_dual_add_nc_u32 v62, 4, v62
	v_cndmask_b32_e32 v63, v34, v35, vcc_lo
	v_cmp_eq_u32_e32 vcc_lo, 2, v120
	s_delay_alu instid0(VALU_DEP_2) | instskip(SKIP_1) | instid1(VALU_DEP_2)
	v_cndmask_b32_e32 v63, v63, v36, vcc_lo
	v_cmp_eq_u32_e32 vcc_lo, 3, v120
	v_cndmask_b32_e32 v63, v63, v37, vcc_lo
	v_cmp_eq_u32_e32 vcc_lo, 4, v120
	s_delay_alu instid0(VALU_DEP_2) | instskip(SKIP_1) | instid1(VALU_DEP_2)
	v_cndmask_b32_e32 v63, v63, v38, vcc_lo
	v_cmp_eq_u32_e32 vcc_lo, 5, v120
	;; [unrolled: 5-line block ×12, first 2 shown]
	v_cndmask_b32_e32 v63, v63, v59, vcc_lo
	v_cmp_eq_u32_e32 vcc_lo, 26, v120
	v_add_nc_u64_e32 v[120:121], 1, v[120:121]
	s_delay_alu instid0(VALU_DEP_3) | instskip(SKIP_2) | instid1(VALU_DEP_2)
	v_cndmask_b32_e32 v63, v63, v60, vcc_lo
	v_cmp_eq_u32_e32 vcc_lo, 0, v61
	s_wait_dscnt 0x0
	v_fmac_f32_e32 v124, v63, v64
	s_or_b32 s2, vcc_lo, s2
	s_delay_alu instid0(SALU_CYCLE_1)
	s_and_not1_b32 exec_lo, exec_lo, s2
	s_cbranch_execnz .LBB26_237
; %bb.238:
	s_or_b32 exec_lo, exec_lo, s2
.LBB26_239:
	s_delay_alu instid0(SALU_CYCLE_1)
	s_or_b32 exec_lo, exec_lo, s1
.LBB26_240:
	s_delay_alu instid0(SALU_CYCLE_1)
	s_or_b32 exec_lo, exec_lo, s5
	v_mov_b32_e32 v44, 0
	ds_load_b32 v44, v44 offset:40
	s_wait_dscnt 0x0
	v_mul_f32_e32 v44, v124, v44
.LBB26_241:
	s_or_b32 exec_lo, exec_lo, s4
	v_cmp_lt_u32_e64 s1, 9, v0
	ds_store_b32 v123, v43
	s_wait_dscnt 0x0
	s_barrier_signal -1
	s_barrier_wait -1
	s_and_saveexec_b32 s4, s1
	s_cbranch_execz .LBB26_257
; %bb.242:
	s_and_not1_b32 vcc_lo, exec_lo, s27
	s_cbranch_vccnz .LBB26_244
; %bb.243:
	v_cmp_eq_u32_e32 vcc_lo, 1, v0
	ds_load_b32 v121, v123
	v_cndmask_b32_e32 v120, v34, v35, vcc_lo
	v_cmp_eq_u32_e32 vcc_lo, 2, v0
	s_delay_alu instid0(VALU_DEP_2) | instskip(SKIP_1) | instid1(VALU_DEP_2)
	v_cndmask_b32_e32 v120, v120, v36, vcc_lo
	v_cmp_eq_u32_e32 vcc_lo, 3, v0
	v_cndmask_b32_e32 v120, v120, v37, vcc_lo
	v_cmp_eq_u32_e32 vcc_lo, 4, v0
	s_delay_alu instid0(VALU_DEP_2) | instskip(SKIP_1) | instid1(VALU_DEP_2)
	v_cndmask_b32_e32 v120, v120, v38, vcc_lo
	v_cmp_eq_u32_e32 vcc_lo, 5, v0
	v_cndmask_b32_e32 v120, v120, v39, vcc_lo
	v_cmp_eq_u32_e32 vcc_lo, 6, v0
	s_delay_alu instid0(VALU_DEP_2) | instskip(SKIP_1) | instid1(VALU_DEP_2)
	v_cndmask_b32_e32 v120, v120, v40, vcc_lo
	v_cmp_eq_u32_e32 vcc_lo, 7, v0
	v_cndmask_b32_e32 v120, v120, v41, vcc_lo
	v_cmp_eq_u32_e32 vcc_lo, 8, v0
	s_delay_alu instid0(VALU_DEP_2) | instskip(SKIP_1) | instid1(VALU_DEP_2)
	v_cndmask_b32_e32 v120, v120, v42, vcc_lo
	v_cmp_eq_u32_e32 vcc_lo, 9, v0
	v_cndmask_b32_e32 v120, v120, v43, vcc_lo
	v_cmp_eq_u32_e32 vcc_lo, 10, v0
	s_delay_alu instid0(VALU_DEP_2) | instskip(SKIP_1) | instid1(VALU_DEP_2)
	v_cndmask_b32_e32 v120, v120, v44, vcc_lo
	v_cmp_eq_u32_e32 vcc_lo, 11, v0
	v_cndmask_b32_e32 v120, v120, v45, vcc_lo
	v_cmp_eq_u32_e32 vcc_lo, 12, v0
	s_delay_alu instid0(VALU_DEP_2) | instskip(SKIP_1) | instid1(VALU_DEP_2)
	v_cndmask_b32_e32 v120, v120, v46, vcc_lo
	v_cmp_eq_u32_e32 vcc_lo, 13, v0
	v_cndmask_b32_e32 v120, v120, v47, vcc_lo
	v_cmp_eq_u32_e32 vcc_lo, 14, v0
	s_delay_alu instid0(VALU_DEP_2) | instskip(SKIP_1) | instid1(VALU_DEP_2)
	v_cndmask_b32_e32 v120, v120, v48, vcc_lo
	v_cmp_eq_u32_e32 vcc_lo, 15, v0
	v_cndmask_b32_e32 v120, v120, v49, vcc_lo
	v_cmp_eq_u32_e32 vcc_lo, 16, v0
	s_delay_alu instid0(VALU_DEP_2) | instskip(SKIP_1) | instid1(VALU_DEP_2)
	v_cndmask_b32_e32 v120, v120, v50, vcc_lo
	v_cmp_eq_u32_e32 vcc_lo, 17, v0
	v_cndmask_b32_e32 v120, v120, v51, vcc_lo
	v_cmp_eq_u32_e32 vcc_lo, 18, v0
	s_delay_alu instid0(VALU_DEP_2) | instskip(SKIP_1) | instid1(VALU_DEP_2)
	v_cndmask_b32_e32 v120, v120, v52, vcc_lo
	v_cmp_eq_u32_e32 vcc_lo, 19, v0
	v_cndmask_b32_e32 v120, v120, v53, vcc_lo
	v_cmp_eq_u32_e32 vcc_lo, 20, v0
	s_delay_alu instid0(VALU_DEP_2) | instskip(SKIP_1) | instid1(VALU_DEP_2)
	v_cndmask_b32_e32 v120, v120, v54, vcc_lo
	v_cmp_eq_u32_e32 vcc_lo, 21, v0
	v_cndmask_b32_e32 v120, v120, v55, vcc_lo
	v_cmp_eq_u32_e32 vcc_lo, 22, v0
	s_delay_alu instid0(VALU_DEP_2) | instskip(SKIP_1) | instid1(VALU_DEP_2)
	v_cndmask_b32_e32 v120, v120, v56, vcc_lo
	v_cmp_eq_u32_e32 vcc_lo, 23, v0
	v_cndmask_b32_e32 v120, v120, v57, vcc_lo
	v_cmp_eq_u32_e32 vcc_lo, 24, v0
	s_delay_alu instid0(VALU_DEP_2) | instskip(SKIP_1) | instid1(VALU_DEP_2)
	v_cndmask_b32_e32 v120, v120, v58, vcc_lo
	v_cmp_eq_u32_e32 vcc_lo, 25, v0
	v_cndmask_b32_e32 v120, v120, v59, vcc_lo
	v_cmp_eq_u32_e32 vcc_lo, 26, v0
	s_delay_alu instid0(VALU_DEP_2) | instskip(SKIP_1) | instid1(VALU_DEP_1)
	v_cndmask_b32_e32 v120, v120, v60, vcc_lo
	s_wait_dscnt 0x0
	v_mul_f32_e32 v124, v120, v121
	s_cbranch_execz .LBB26_245
	s_branch .LBB26_246
.LBB26_244:
                                        ; implicit-def: $vgpr124
.LBB26_245:
	ds_load_b32 v124, v123
.LBB26_246:
	s_and_saveexec_b32 s5, s0
	s_cbranch_execz .LBB26_256
; %bb.247:
	v_dual_add_nc_u32 v120, -11, v0 :: v_dual_add_nc_u32 v121, -10, v0
	s_delay_alu instid0(VALU_DEP_1)
	v_cmp_lt_u32_e32 vcc_lo, 6, v120
	v_mov_b32_e32 v120, 10
	s_and_saveexec_b32 s0, vcc_lo
	s_cbranch_execz .LBB26_251
; %bb.248:
	v_and_b32_e32 v120, -8, v121
	s_mov_b32 s6, 0
	s_mov_b64 s[2:3], 17
	s_movk_i32 s7, 0x98
	s_delay_alu instid0(VALU_DEP_1)
	v_sub_nc_u32_e32 v122, 0, v120
.LBB26_249:                             ; =>This Inner Loop Header: Depth=1
	s_add_co_i32 m0, s2, -7
	v_movrels_b32_e32 v125, v34
	v_mov_b32_e32 v120, s7
	s_add_co_i32 m0, s2, -6
	s_add_co_i32 s7, s7, 32
	v_movrels_b32_e32 v134, v34
	s_add_co_i32 m0, s2, -5
	ds_load_2addr_b64 v[126:129], v120 offset1:1
	ds_load_2addr_b64 v[130:133], v120 offset0:2 offset1:3
	v_movrels_b32_e32 v120, v34
	s_add_co_i32 m0, s2, -4
	s_wait_dscnt 0x1
	v_fmac_f32_e32 v124, v125, v126
	v_movrels_b32_e32 v125, v34
	s_add_co_i32 m0, s2, -3
	s_delay_alu instid0(VALU_DEP_2) | instskip(NEXT) | instid1(VALU_DEP_1)
	v_fmac_f32_e32 v124, v134, v127
	v_fmac_f32_e32 v124, v120, v128
	v_movrels_b32_e32 v120, v34
	s_add_co_i32 m0, s2, -2
	s_delay_alu instid0(VALU_DEP_2) | instskip(SKIP_3) | instid1(VALU_DEP_2)
	v_fmac_f32_e32 v124, v125, v129
	v_movrels_b32_e32 v125, v34
	s_add_co_i32 m0, s2, -1
	s_wait_dscnt 0x0
	v_fmac_f32_e32 v124, v120, v130
	v_movrels_b32_e32 v120, v34
	s_mov_b32 m0, s2
	s_add_nc_u64 s[2:3], s[2:3], 8
	v_movrels_b32_e32 v126, v34
	v_dual_fmac_f32 v124, v125, v131 :: v_dual_add_nc_u32 v125, s2, v122
	s_add_co_i32 s8, s2, -7
	s_delay_alu instid0(VALU_DEP_1) | instskip(NEXT) | instid1(VALU_DEP_2)
	v_fmac_f32_e32 v124, v120, v132
	v_cmp_eq_u32_e32 vcc_lo, 17, v125
	s_delay_alu instid0(VALU_DEP_2) | instskip(SKIP_1) | instid1(SALU_CYCLE_1)
	v_dual_mov_b32 v120, s8 :: v_dual_fmac_f32 v124, v126, v133
	s_or_b32 s6, vcc_lo, s6
	s_and_not1_b32 exec_lo, exec_lo, s6
	s_cbranch_execnz .LBB26_249
; %bb.250:
	s_or_b32 exec_lo, exec_lo, s6
.LBB26_251:
	s_delay_alu instid0(SALU_CYCLE_1) | instskip(SKIP_3) | instid1(VALU_DEP_1)
	s_or_b32 exec_lo, exec_lo, s0
	v_and_b32_e32 v61, 7, v121
	s_mov_b32 s2, 0
	s_mov_b32 s0, exec_lo
	v_cmpx_ne_u32_e32 0, v61
	s_cbranch_execz .LBB26_255
; %bb.252:
	v_lshl_add_u32 v62, v120, 2, 0x70
	v_mov_b32_e32 v121, 0
.LBB26_253:                             ; =>This Inner Loop Header: Depth=1
	v_cmp_eq_u32_e32 vcc_lo, 1, v120
	ds_load_b32 v64, v62
	v_dual_add_nc_u32 v61, -1, v61 :: v_dual_add_nc_u32 v62, 4, v62
	v_cndmask_b32_e32 v63, v34, v35, vcc_lo
	v_cmp_eq_u32_e32 vcc_lo, 2, v120
	s_delay_alu instid0(VALU_DEP_2) | instskip(SKIP_1) | instid1(VALU_DEP_2)
	v_cndmask_b32_e32 v63, v63, v36, vcc_lo
	v_cmp_eq_u32_e32 vcc_lo, 3, v120
	v_cndmask_b32_e32 v63, v63, v37, vcc_lo
	v_cmp_eq_u32_e32 vcc_lo, 4, v120
	s_delay_alu instid0(VALU_DEP_2) | instskip(SKIP_1) | instid1(VALU_DEP_2)
	v_cndmask_b32_e32 v63, v63, v38, vcc_lo
	v_cmp_eq_u32_e32 vcc_lo, 5, v120
	;; [unrolled: 5-line block ×12, first 2 shown]
	v_cndmask_b32_e32 v63, v63, v59, vcc_lo
	v_cmp_eq_u32_e32 vcc_lo, 26, v120
	v_add_nc_u64_e32 v[120:121], 1, v[120:121]
	s_delay_alu instid0(VALU_DEP_3) | instskip(SKIP_2) | instid1(VALU_DEP_2)
	v_cndmask_b32_e32 v63, v63, v60, vcc_lo
	v_cmp_eq_u32_e32 vcc_lo, 0, v61
	s_wait_dscnt 0x0
	v_fmac_f32_e32 v124, v63, v64
	s_or_b32 s2, vcc_lo, s2
	s_delay_alu instid0(SALU_CYCLE_1)
	s_and_not1_b32 exec_lo, exec_lo, s2
	s_cbranch_execnz .LBB26_253
; %bb.254:
	s_or_b32 exec_lo, exec_lo, s2
.LBB26_255:
	s_delay_alu instid0(SALU_CYCLE_1)
	s_or_b32 exec_lo, exec_lo, s0
.LBB26_256:
	s_delay_alu instid0(SALU_CYCLE_1)
	s_or_b32 exec_lo, exec_lo, s5
	v_mov_b32_e32 v43, 0
	ds_load_b32 v43, v43 offset:36
	s_wait_dscnt 0x0
	v_mul_f32_e32 v43, v124, v43
.LBB26_257:
	s_or_b32 exec_lo, exec_lo, s4
	v_cmp_lt_u32_e64 s0, 8, v0
	ds_store_b32 v123, v42
	s_wait_dscnt 0x0
	s_barrier_signal -1
	s_barrier_wait -1
	s_and_saveexec_b32 s4, s0
	s_cbranch_execz .LBB26_273
; %bb.258:
	s_and_not1_b32 vcc_lo, exec_lo, s27
	s_cbranch_vccnz .LBB26_260
; %bb.259:
	v_cmp_eq_u32_e32 vcc_lo, 1, v0
	ds_load_b32 v121, v123
	v_cndmask_b32_e32 v120, v34, v35, vcc_lo
	v_cmp_eq_u32_e32 vcc_lo, 2, v0
	s_delay_alu instid0(VALU_DEP_2) | instskip(SKIP_1) | instid1(VALU_DEP_2)
	v_cndmask_b32_e32 v120, v120, v36, vcc_lo
	v_cmp_eq_u32_e32 vcc_lo, 3, v0
	v_cndmask_b32_e32 v120, v120, v37, vcc_lo
	v_cmp_eq_u32_e32 vcc_lo, 4, v0
	s_delay_alu instid0(VALU_DEP_2) | instskip(SKIP_1) | instid1(VALU_DEP_2)
	v_cndmask_b32_e32 v120, v120, v38, vcc_lo
	v_cmp_eq_u32_e32 vcc_lo, 5, v0
	;; [unrolled: 5-line block ×12, first 2 shown]
	v_cndmask_b32_e32 v120, v120, v59, vcc_lo
	v_cmp_eq_u32_e32 vcc_lo, 26, v0
	s_delay_alu instid0(VALU_DEP_2) | instskip(SKIP_1) | instid1(VALU_DEP_1)
	v_cndmask_b32_e32 v120, v120, v60, vcc_lo
	s_wait_dscnt 0x0
	v_mul_f32_e32 v124, v120, v121
	s_cbranch_execz .LBB26_261
	s_branch .LBB26_262
.LBB26_260:
                                        ; implicit-def: $vgpr124
.LBB26_261:
	ds_load_b32 v124, v123
.LBB26_262:
	s_and_saveexec_b32 s5, s1
	s_cbranch_execz .LBB26_272
; %bb.263:
	v_dual_add_nc_u32 v120, -10, v0 :: v_dual_add_nc_u32 v121, -9, v0
	s_delay_alu instid0(VALU_DEP_1)
	v_cmp_lt_u32_e32 vcc_lo, 6, v120
	v_mov_b32_e32 v120, 9
	s_and_saveexec_b32 s1, vcc_lo
	s_cbranch_execz .LBB26_267
; %bb.264:
	v_and_b32_e32 v120, -8, v121
	s_mov_b32 s6, 0
	s_mov_b64 s[2:3], 16
	s_movk_i32 s7, 0x94
	s_delay_alu instid0(VALU_DEP_1)
	v_sub_nc_u32_e32 v122, 0, v120
.LBB26_265:                             ; =>This Inner Loop Header: Depth=1
	s_add_co_i32 m0, s2, -7
	v_movrels_b32_e32 v125, v34
	v_mov_b32_e32 v120, s7
	s_add_co_i32 m0, s2, -6
	s_add_co_i32 s7, s7, 32
	v_movrels_b32_e32 v134, v34
	ds_load_2addr_b32 v[126:127], v120 offset1:1
	ds_load_2addr_b32 v[128:129], v120 offset0:2 offset1:3
	s_add_co_i32 m0, s2, -5
	s_wait_dscnt 0x1
	v_fmac_f32_e32 v124, v125, v126
	ds_load_2addr_b32 v[130:131], v120 offset0:4 offset1:5
	ds_load_2addr_b32 v[132:133], v120 offset0:6 offset1:7
	v_movrels_b32_e32 v120, v34
	s_add_co_i32 m0, s2, -4
	v_fmac_f32_e32 v124, v134, v127
	v_movrels_b32_e32 v125, v34
	s_add_co_i32 m0, s2, -3
	s_wait_dscnt 0x2
	s_delay_alu instid0(VALU_DEP_2) | instskip(SKIP_2) | instid1(VALU_DEP_2)
	v_fmac_f32_e32 v124, v120, v128
	v_movrels_b32_e32 v120, v34
	s_add_co_i32 m0, s2, -2
	v_fmac_f32_e32 v124, v125, v129
	v_movrels_b32_e32 v125, v34
	s_add_co_i32 m0, s2, -1
	s_wait_dscnt 0x1
	s_delay_alu instid0(VALU_DEP_2)
	v_fmac_f32_e32 v124, v120, v130
	v_movrels_b32_e32 v120, v34
	s_mov_b32 m0, s2
	s_add_nc_u64 s[2:3], s[2:3], 8
	v_movrels_b32_e32 v126, v34
	v_dual_fmac_f32 v124, v125, v131 :: v_dual_add_nc_u32 v125, s2, v122
	s_add_co_i32 s8, s2, -7
	s_wait_dscnt 0x0
	s_delay_alu instid0(VALU_DEP_1) | instskip(NEXT) | instid1(VALU_DEP_2)
	v_fmac_f32_e32 v124, v120, v132
	v_cmp_eq_u32_e32 vcc_lo, 16, v125
	s_delay_alu instid0(VALU_DEP_2) | instskip(SKIP_1) | instid1(SALU_CYCLE_1)
	v_dual_mov_b32 v120, s8 :: v_dual_fmac_f32 v124, v126, v133
	s_or_b32 s6, vcc_lo, s6
	s_and_not1_b32 exec_lo, exec_lo, s6
	s_cbranch_execnz .LBB26_265
; %bb.266:
	s_or_b32 exec_lo, exec_lo, s6
.LBB26_267:
	s_delay_alu instid0(SALU_CYCLE_1) | instskip(SKIP_3) | instid1(VALU_DEP_1)
	s_or_b32 exec_lo, exec_lo, s1
	v_and_b32_e32 v61, 7, v121
	s_mov_b32 s2, 0
	s_mov_b32 s1, exec_lo
	v_cmpx_ne_u32_e32 0, v61
	s_cbranch_execz .LBB26_271
; %bb.268:
	v_lshl_add_u32 v62, v120, 2, 0x70
	v_mov_b32_e32 v121, 0
.LBB26_269:                             ; =>This Inner Loop Header: Depth=1
	v_cmp_eq_u32_e32 vcc_lo, 1, v120
	ds_load_b32 v64, v62
	v_dual_add_nc_u32 v61, -1, v61 :: v_dual_add_nc_u32 v62, 4, v62
	v_cndmask_b32_e32 v63, v34, v35, vcc_lo
	v_cmp_eq_u32_e32 vcc_lo, 2, v120
	s_delay_alu instid0(VALU_DEP_2) | instskip(SKIP_1) | instid1(VALU_DEP_2)
	v_cndmask_b32_e32 v63, v63, v36, vcc_lo
	v_cmp_eq_u32_e32 vcc_lo, 3, v120
	v_cndmask_b32_e32 v63, v63, v37, vcc_lo
	v_cmp_eq_u32_e32 vcc_lo, 4, v120
	s_delay_alu instid0(VALU_DEP_2) | instskip(SKIP_1) | instid1(VALU_DEP_2)
	v_cndmask_b32_e32 v63, v63, v38, vcc_lo
	v_cmp_eq_u32_e32 vcc_lo, 5, v120
	;; [unrolled: 5-line block ×12, first 2 shown]
	v_cndmask_b32_e32 v63, v63, v59, vcc_lo
	v_cmp_eq_u32_e32 vcc_lo, 26, v120
	v_add_nc_u64_e32 v[120:121], 1, v[120:121]
	s_delay_alu instid0(VALU_DEP_3) | instskip(SKIP_2) | instid1(VALU_DEP_2)
	v_cndmask_b32_e32 v63, v63, v60, vcc_lo
	v_cmp_eq_u32_e32 vcc_lo, 0, v61
	s_wait_dscnt 0x0
	v_fmac_f32_e32 v124, v63, v64
	s_or_b32 s2, vcc_lo, s2
	s_delay_alu instid0(SALU_CYCLE_1)
	s_and_not1_b32 exec_lo, exec_lo, s2
	s_cbranch_execnz .LBB26_269
; %bb.270:
	s_or_b32 exec_lo, exec_lo, s2
.LBB26_271:
	s_delay_alu instid0(SALU_CYCLE_1)
	s_or_b32 exec_lo, exec_lo, s1
.LBB26_272:
	s_delay_alu instid0(SALU_CYCLE_1)
	s_or_b32 exec_lo, exec_lo, s5
	v_mov_b32_e32 v42, 0
	ds_load_b32 v42, v42 offset:32
	s_wait_dscnt 0x0
	v_mul_f32_e32 v42, v124, v42
.LBB26_273:
	s_or_b32 exec_lo, exec_lo, s4
	v_cmp_lt_u32_e64 s1, 7, v0
	ds_store_b32 v123, v41
	s_wait_dscnt 0x0
	s_barrier_signal -1
	s_barrier_wait -1
	s_and_saveexec_b32 s4, s1
	s_cbranch_execz .LBB26_289
; %bb.274:
	s_and_not1_b32 vcc_lo, exec_lo, s27
	s_cbranch_vccnz .LBB26_276
; %bb.275:
	v_cmp_eq_u32_e32 vcc_lo, 1, v0
	ds_load_b32 v121, v123
	v_cndmask_b32_e32 v120, v34, v35, vcc_lo
	v_cmp_eq_u32_e32 vcc_lo, 2, v0
	s_delay_alu instid0(VALU_DEP_2) | instskip(SKIP_1) | instid1(VALU_DEP_2)
	v_cndmask_b32_e32 v120, v120, v36, vcc_lo
	v_cmp_eq_u32_e32 vcc_lo, 3, v0
	v_cndmask_b32_e32 v120, v120, v37, vcc_lo
	v_cmp_eq_u32_e32 vcc_lo, 4, v0
	s_delay_alu instid0(VALU_DEP_2) | instskip(SKIP_1) | instid1(VALU_DEP_2)
	v_cndmask_b32_e32 v120, v120, v38, vcc_lo
	v_cmp_eq_u32_e32 vcc_lo, 5, v0
	;; [unrolled: 5-line block ×12, first 2 shown]
	v_cndmask_b32_e32 v120, v120, v59, vcc_lo
	v_cmp_eq_u32_e32 vcc_lo, 26, v0
	s_delay_alu instid0(VALU_DEP_2) | instskip(SKIP_1) | instid1(VALU_DEP_1)
	v_cndmask_b32_e32 v120, v120, v60, vcc_lo
	s_wait_dscnt 0x0
	v_mul_f32_e32 v124, v120, v121
	s_cbranch_execz .LBB26_277
	s_branch .LBB26_278
.LBB26_276:
                                        ; implicit-def: $vgpr124
.LBB26_277:
	ds_load_b32 v124, v123
.LBB26_278:
	s_and_saveexec_b32 s5, s0
	s_cbranch_execz .LBB26_288
; %bb.279:
	v_add_nc_u32_e32 v120, -9, v0
	s_delay_alu instid0(VALU_DEP_1)
	v_cmp_lt_u32_e32 vcc_lo, 6, v120
	v_mov_b32_e32 v120, 8
	s_and_saveexec_b32 s0, vcc_lo
	s_cbranch_execz .LBB26_283
; %bb.280:
	v_and_b32_e32 v120, 24, v0
	s_mov_b32 s6, 0
	s_mov_b64 s[2:3], 15
	s_movk_i32 s7, 0x90
	s_delay_alu instid0(VALU_DEP_1)
	v_sub_nc_u32_e32 v122, 0, v120
.LBB26_281:                             ; =>This Inner Loop Header: Depth=1
	s_add_co_i32 m0, s2, -7
	v_movrels_b32_e32 v121, v34
	v_mov_b32_e32 v120, s7
	s_add_co_i32 m0, s2, -6
	s_add_co_i32 s7, s7, 32
	v_movrels_b32_e32 v125, v34
	s_add_co_i32 m0, s2, -5
	ds_load_b128 v[126:129], v120
	ds_load_b128 v[130:133], v120 offset:16
	v_movrels_b32_e32 v120, v34
	s_add_co_i32 m0, s2, -4
	s_wait_dscnt 0x1
	v_fmac_f32_e32 v124, v121, v126
	v_movrels_b32_e32 v121, v34
	s_add_co_i32 m0, s2, -3
	s_delay_alu instid0(VALU_DEP_2) | instskip(NEXT) | instid1(VALU_DEP_1)
	v_fmac_f32_e32 v124, v125, v127
	v_fmac_f32_e32 v124, v120, v128
	v_movrels_b32_e32 v120, v34
	s_add_co_i32 m0, s2, -2
	s_delay_alu instid0(VALU_DEP_2) | instskip(SKIP_3) | instid1(VALU_DEP_2)
	v_fmac_f32_e32 v124, v121, v129
	v_movrels_b32_e32 v121, v34
	s_add_co_i32 m0, s2, -1
	s_wait_dscnt 0x0
	v_fmac_f32_e32 v124, v120, v130
	v_movrels_b32_e32 v120, v34
	s_mov_b32 m0, s2
	s_add_nc_u64 s[2:3], s[2:3], 8
	v_movrels_b32_e32 v125, v34
	v_dual_fmac_f32 v124, v121, v131 :: v_dual_add_nc_u32 v121, s2, v122
	s_add_co_i32 s8, s2, -7
	s_delay_alu instid0(VALU_DEP_1) | instskip(NEXT) | instid1(VALU_DEP_2)
	v_fmac_f32_e32 v124, v120, v132
	v_cmp_eq_u32_e32 vcc_lo, 7, v121
	s_delay_alu instid0(VALU_DEP_2) | instskip(SKIP_1) | instid1(SALU_CYCLE_1)
	v_dual_mov_b32 v120, s8 :: v_dual_fmac_f32 v124, v125, v133
	s_or_b32 s6, vcc_lo, s6
	s_and_not1_b32 exec_lo, exec_lo, s6
	s_cbranch_execnz .LBB26_281
; %bb.282:
	s_or_b32 exec_lo, exec_lo, s6
.LBB26_283:
	s_delay_alu instid0(SALU_CYCLE_1) | instskip(SKIP_3) | instid1(VALU_DEP_1)
	s_or_b32 exec_lo, exec_lo, s0
	v_and_b32_e32 v61, 7, v0
	s_mov_b32 s2, 0
	s_mov_b32 s0, exec_lo
	v_cmpx_ne_u32_e32 0, v61
	s_cbranch_execz .LBB26_287
; %bb.284:
	v_lshl_add_u32 v62, v120, 2, 0x70
	v_mov_b32_e32 v121, 0
.LBB26_285:                             ; =>This Inner Loop Header: Depth=1
	v_cmp_eq_u32_e32 vcc_lo, 1, v120
	ds_load_b32 v64, v62
	v_dual_add_nc_u32 v61, -1, v61 :: v_dual_add_nc_u32 v62, 4, v62
	v_cndmask_b32_e32 v63, v34, v35, vcc_lo
	v_cmp_eq_u32_e32 vcc_lo, 2, v120
	s_delay_alu instid0(VALU_DEP_2) | instskip(SKIP_1) | instid1(VALU_DEP_2)
	v_cndmask_b32_e32 v63, v63, v36, vcc_lo
	v_cmp_eq_u32_e32 vcc_lo, 3, v120
	v_cndmask_b32_e32 v63, v63, v37, vcc_lo
	v_cmp_eq_u32_e32 vcc_lo, 4, v120
	s_delay_alu instid0(VALU_DEP_2) | instskip(SKIP_1) | instid1(VALU_DEP_2)
	v_cndmask_b32_e32 v63, v63, v38, vcc_lo
	v_cmp_eq_u32_e32 vcc_lo, 5, v120
	;; [unrolled: 5-line block ×12, first 2 shown]
	v_cndmask_b32_e32 v63, v63, v59, vcc_lo
	v_cmp_eq_u32_e32 vcc_lo, 26, v120
	v_add_nc_u64_e32 v[120:121], 1, v[120:121]
	s_delay_alu instid0(VALU_DEP_3) | instskip(SKIP_2) | instid1(VALU_DEP_2)
	v_cndmask_b32_e32 v63, v63, v60, vcc_lo
	v_cmp_eq_u32_e32 vcc_lo, 0, v61
	s_wait_dscnt 0x0
	v_fmac_f32_e32 v124, v63, v64
	s_or_b32 s2, vcc_lo, s2
	s_delay_alu instid0(SALU_CYCLE_1)
	s_and_not1_b32 exec_lo, exec_lo, s2
	s_cbranch_execnz .LBB26_285
; %bb.286:
	s_or_b32 exec_lo, exec_lo, s2
.LBB26_287:
	s_delay_alu instid0(SALU_CYCLE_1)
	s_or_b32 exec_lo, exec_lo, s0
.LBB26_288:
	s_delay_alu instid0(SALU_CYCLE_1)
	s_or_b32 exec_lo, exec_lo, s5
	v_mov_b32_e32 v41, 0
	ds_load_b32 v41, v41 offset:28
	s_wait_dscnt 0x0
	v_mul_f32_e32 v41, v124, v41
.LBB26_289:
	s_or_b32 exec_lo, exec_lo, s4
	v_cmp_lt_u32_e64 s0, 6, v0
	ds_store_b32 v123, v40
	s_wait_dscnt 0x0
	s_barrier_signal -1
	s_barrier_wait -1
	s_and_saveexec_b32 s4, s0
	s_cbranch_execz .LBB26_305
; %bb.290:
	s_and_not1_b32 vcc_lo, exec_lo, s27
	s_cbranch_vccnz .LBB26_292
; %bb.291:
	v_cmp_eq_u32_e32 vcc_lo, 1, v0
	ds_load_b32 v121, v123
	v_cndmask_b32_e32 v120, v34, v35, vcc_lo
	v_cmp_eq_u32_e32 vcc_lo, 2, v0
	s_delay_alu instid0(VALU_DEP_2) | instskip(SKIP_1) | instid1(VALU_DEP_2)
	v_cndmask_b32_e32 v120, v120, v36, vcc_lo
	v_cmp_eq_u32_e32 vcc_lo, 3, v0
	v_cndmask_b32_e32 v120, v120, v37, vcc_lo
	v_cmp_eq_u32_e32 vcc_lo, 4, v0
	s_delay_alu instid0(VALU_DEP_2) | instskip(SKIP_1) | instid1(VALU_DEP_2)
	v_cndmask_b32_e32 v120, v120, v38, vcc_lo
	v_cmp_eq_u32_e32 vcc_lo, 5, v0
	;; [unrolled: 5-line block ×12, first 2 shown]
	v_cndmask_b32_e32 v120, v120, v59, vcc_lo
	v_cmp_eq_u32_e32 vcc_lo, 26, v0
	s_delay_alu instid0(VALU_DEP_2) | instskip(SKIP_1) | instid1(VALU_DEP_1)
	v_cndmask_b32_e32 v120, v120, v60, vcc_lo
	s_wait_dscnt 0x0
	v_mul_f32_e32 v124, v120, v121
	s_cbranch_execz .LBB26_293
	s_branch .LBB26_294
.LBB26_292:
                                        ; implicit-def: $vgpr124
.LBB26_293:
	ds_load_b32 v124, v123
.LBB26_294:
	s_and_saveexec_b32 s5, s1
	s_cbranch_execz .LBB26_304
; %bb.295:
	v_dual_add_nc_u32 v120, -8, v0 :: v_dual_add_nc_u32 v121, -7, v0
	s_delay_alu instid0(VALU_DEP_1)
	v_cmp_lt_u32_e32 vcc_lo, 6, v120
	v_mov_b32_e32 v120, 7
	s_and_saveexec_b32 s1, vcc_lo
	s_cbranch_execz .LBB26_299
; %bb.296:
	v_and_b32_e32 v120, -8, v121
	s_mov_b32 s6, 0
	s_mov_b64 s[2:3], 14
	s_movk_i32 s7, 0x8c
	s_delay_alu instid0(VALU_DEP_1)
	v_sub_nc_u32_e32 v122, 0, v120
.LBB26_297:                             ; =>This Inner Loop Header: Depth=1
	s_add_co_i32 m0, s2, -7
	v_movrels_b32_e32 v125, v34
	v_mov_b32_e32 v120, s7
	s_add_co_i32 m0, s2, -6
	s_add_co_i32 s7, s7, 32
	v_movrels_b32_e32 v134, v34
	ds_load_2addr_b32 v[126:127], v120 offset1:1
	ds_load_2addr_b32 v[128:129], v120 offset0:2 offset1:3
	s_add_co_i32 m0, s2, -5
	s_wait_dscnt 0x1
	v_fmac_f32_e32 v124, v125, v126
	ds_load_2addr_b32 v[130:131], v120 offset0:4 offset1:5
	ds_load_2addr_b32 v[132:133], v120 offset0:6 offset1:7
	v_movrels_b32_e32 v120, v34
	s_add_co_i32 m0, s2, -4
	v_fmac_f32_e32 v124, v134, v127
	v_movrels_b32_e32 v125, v34
	s_add_co_i32 m0, s2, -3
	s_wait_dscnt 0x2
	s_delay_alu instid0(VALU_DEP_2) | instskip(SKIP_2) | instid1(VALU_DEP_2)
	v_fmac_f32_e32 v124, v120, v128
	v_movrels_b32_e32 v120, v34
	s_add_co_i32 m0, s2, -2
	v_fmac_f32_e32 v124, v125, v129
	v_movrels_b32_e32 v125, v34
	s_add_co_i32 m0, s2, -1
	s_wait_dscnt 0x1
	s_delay_alu instid0(VALU_DEP_2)
	v_fmac_f32_e32 v124, v120, v130
	v_movrels_b32_e32 v120, v34
	s_mov_b32 m0, s2
	s_add_nc_u64 s[2:3], s[2:3], 8
	v_movrels_b32_e32 v126, v34
	v_dual_fmac_f32 v124, v125, v131 :: v_dual_add_nc_u32 v125, s2, v122
	s_add_co_i32 s8, s2, -7
	s_wait_dscnt 0x0
	s_delay_alu instid0(VALU_DEP_1) | instskip(NEXT) | instid1(VALU_DEP_2)
	v_fmac_f32_e32 v124, v120, v132
	v_cmp_eq_u32_e32 vcc_lo, 14, v125
	s_delay_alu instid0(VALU_DEP_2) | instskip(SKIP_1) | instid1(SALU_CYCLE_1)
	v_dual_mov_b32 v120, s8 :: v_dual_fmac_f32 v124, v126, v133
	s_or_b32 s6, vcc_lo, s6
	s_and_not1_b32 exec_lo, exec_lo, s6
	s_cbranch_execnz .LBB26_297
; %bb.298:
	s_or_b32 exec_lo, exec_lo, s6
.LBB26_299:
	s_delay_alu instid0(SALU_CYCLE_1) | instskip(SKIP_3) | instid1(VALU_DEP_1)
	s_or_b32 exec_lo, exec_lo, s1
	v_and_b32_e32 v61, 7, v121
	s_mov_b32 s2, 0
	s_mov_b32 s1, exec_lo
	v_cmpx_ne_u32_e32 0, v61
	s_cbranch_execz .LBB26_303
; %bb.300:
	v_lshl_add_u32 v62, v120, 2, 0x70
	v_mov_b32_e32 v121, 0
.LBB26_301:                             ; =>This Inner Loop Header: Depth=1
	v_cmp_eq_u32_e32 vcc_lo, 1, v120
	ds_load_b32 v64, v62
	v_dual_add_nc_u32 v61, -1, v61 :: v_dual_add_nc_u32 v62, 4, v62
	v_cndmask_b32_e32 v63, v34, v35, vcc_lo
	v_cmp_eq_u32_e32 vcc_lo, 2, v120
	s_delay_alu instid0(VALU_DEP_2) | instskip(SKIP_1) | instid1(VALU_DEP_2)
	v_cndmask_b32_e32 v63, v63, v36, vcc_lo
	v_cmp_eq_u32_e32 vcc_lo, 3, v120
	v_cndmask_b32_e32 v63, v63, v37, vcc_lo
	v_cmp_eq_u32_e32 vcc_lo, 4, v120
	s_delay_alu instid0(VALU_DEP_2) | instskip(SKIP_1) | instid1(VALU_DEP_2)
	v_cndmask_b32_e32 v63, v63, v38, vcc_lo
	v_cmp_eq_u32_e32 vcc_lo, 5, v120
	;; [unrolled: 5-line block ×12, first 2 shown]
	v_cndmask_b32_e32 v63, v63, v59, vcc_lo
	v_cmp_eq_u32_e32 vcc_lo, 26, v120
	v_add_nc_u64_e32 v[120:121], 1, v[120:121]
	s_delay_alu instid0(VALU_DEP_3) | instskip(SKIP_2) | instid1(VALU_DEP_2)
	v_cndmask_b32_e32 v63, v63, v60, vcc_lo
	v_cmp_eq_u32_e32 vcc_lo, 0, v61
	s_wait_dscnt 0x0
	v_fmac_f32_e32 v124, v63, v64
	s_or_b32 s2, vcc_lo, s2
	s_delay_alu instid0(SALU_CYCLE_1)
	s_and_not1_b32 exec_lo, exec_lo, s2
	s_cbranch_execnz .LBB26_301
; %bb.302:
	s_or_b32 exec_lo, exec_lo, s2
.LBB26_303:
	s_delay_alu instid0(SALU_CYCLE_1)
	s_or_b32 exec_lo, exec_lo, s1
.LBB26_304:
	s_delay_alu instid0(SALU_CYCLE_1)
	s_or_b32 exec_lo, exec_lo, s5
	v_mov_b32_e32 v40, 0
	ds_load_b32 v40, v40 offset:24
	s_wait_dscnt 0x0
	v_mul_f32_e32 v40, v124, v40
.LBB26_305:
	s_or_b32 exec_lo, exec_lo, s4
	v_cmp_lt_u32_e64 s1, 5, v0
	ds_store_b32 v123, v39
	s_wait_dscnt 0x0
	s_barrier_signal -1
	s_barrier_wait -1
	s_and_saveexec_b32 s4, s1
	s_cbranch_execz .LBB26_321
; %bb.306:
	s_and_not1_b32 vcc_lo, exec_lo, s27
	s_cbranch_vccnz .LBB26_308
; %bb.307:
	v_cmp_eq_u32_e32 vcc_lo, 1, v0
	ds_load_b32 v121, v123
	v_cndmask_b32_e32 v120, v34, v35, vcc_lo
	v_cmp_eq_u32_e32 vcc_lo, 2, v0
	s_delay_alu instid0(VALU_DEP_2) | instskip(SKIP_1) | instid1(VALU_DEP_2)
	v_cndmask_b32_e32 v120, v120, v36, vcc_lo
	v_cmp_eq_u32_e32 vcc_lo, 3, v0
	v_cndmask_b32_e32 v120, v120, v37, vcc_lo
	v_cmp_eq_u32_e32 vcc_lo, 4, v0
	s_delay_alu instid0(VALU_DEP_2) | instskip(SKIP_1) | instid1(VALU_DEP_2)
	v_cndmask_b32_e32 v120, v120, v38, vcc_lo
	v_cmp_eq_u32_e32 vcc_lo, 5, v0
	;; [unrolled: 5-line block ×12, first 2 shown]
	v_cndmask_b32_e32 v120, v120, v59, vcc_lo
	v_cmp_eq_u32_e32 vcc_lo, 26, v0
	s_delay_alu instid0(VALU_DEP_2) | instskip(SKIP_1) | instid1(VALU_DEP_1)
	v_cndmask_b32_e32 v120, v120, v60, vcc_lo
	s_wait_dscnt 0x0
	v_mul_f32_e32 v124, v120, v121
	s_cbranch_execz .LBB26_309
	s_branch .LBB26_310
.LBB26_308:
                                        ; implicit-def: $vgpr124
.LBB26_309:
	ds_load_b32 v124, v123
.LBB26_310:
	s_and_saveexec_b32 s5, s0
	s_cbranch_execz .LBB26_320
; %bb.311:
	v_dual_add_nc_u32 v122, -7, v0 :: v_dual_add_nc_u32 v121, -6, v0
	v_mov_b32_e32 v120, 6
	s_mov_b32 s0, exec_lo
	s_delay_alu instid0(VALU_DEP_2)
	v_cmpx_lt_u32_e32 6, v122
	s_cbranch_execz .LBB26_315
; %bb.312:
	v_and_b32_e32 v120, -8, v121
	s_mov_b32 s6, 0
	s_mov_b64 s[2:3], 13
	s_movk_i32 s7, 0x88
	s_delay_alu instid0(VALU_DEP_1)
	v_sub_nc_u32_e32 v122, 0, v120
.LBB26_313:                             ; =>This Inner Loop Header: Depth=1
	s_add_co_i32 m0, s2, -7
	v_movrels_b32_e32 v125, v34
	v_mov_b32_e32 v120, s7
	s_add_co_i32 m0, s2, -6
	s_add_co_i32 s7, s7, 32
	v_movrels_b32_e32 v134, v34
	s_add_co_i32 m0, s2, -5
	ds_load_2addr_b64 v[126:129], v120 offset1:1
	ds_load_2addr_b64 v[130:133], v120 offset0:2 offset1:3
	v_movrels_b32_e32 v120, v34
	s_add_co_i32 m0, s2, -4
	s_wait_dscnt 0x1
	v_fmac_f32_e32 v124, v125, v126
	v_movrels_b32_e32 v125, v34
	s_add_co_i32 m0, s2, -3
	s_delay_alu instid0(VALU_DEP_2) | instskip(NEXT) | instid1(VALU_DEP_1)
	v_fmac_f32_e32 v124, v134, v127
	v_fmac_f32_e32 v124, v120, v128
	v_movrels_b32_e32 v120, v34
	s_add_co_i32 m0, s2, -2
	s_delay_alu instid0(VALU_DEP_2) | instskip(SKIP_3) | instid1(VALU_DEP_2)
	v_fmac_f32_e32 v124, v125, v129
	v_movrels_b32_e32 v125, v34
	s_add_co_i32 m0, s2, -1
	s_wait_dscnt 0x0
	v_fmac_f32_e32 v124, v120, v130
	v_movrels_b32_e32 v120, v34
	s_mov_b32 m0, s2
	s_add_nc_u64 s[2:3], s[2:3], 8
	v_movrels_b32_e32 v126, v34
	v_dual_fmac_f32 v124, v125, v131 :: v_dual_add_nc_u32 v125, s2, v122
	s_add_co_i32 s8, s2, -7
	s_delay_alu instid0(VALU_DEP_1) | instskip(NEXT) | instid1(VALU_DEP_2)
	v_fmac_f32_e32 v124, v120, v132
	v_cmp_eq_u32_e32 vcc_lo, 13, v125
	s_delay_alu instid0(VALU_DEP_2) | instskip(SKIP_1) | instid1(SALU_CYCLE_1)
	v_dual_mov_b32 v120, s8 :: v_dual_fmac_f32 v124, v126, v133
	s_or_b32 s6, vcc_lo, s6
	s_and_not1_b32 exec_lo, exec_lo, s6
	s_cbranch_execnz .LBB26_313
; %bb.314:
	s_or_b32 exec_lo, exec_lo, s6
.LBB26_315:
	s_delay_alu instid0(SALU_CYCLE_1) | instskip(SKIP_3) | instid1(VALU_DEP_1)
	s_or_b32 exec_lo, exec_lo, s0
	v_and_b32_e32 v61, 7, v121
	s_mov_b32 s2, 0
	s_mov_b32 s0, exec_lo
	v_cmpx_ne_u32_e32 0, v61
	s_cbranch_execz .LBB26_319
; %bb.316:
	v_lshl_add_u32 v62, v120, 2, 0x70
	v_mov_b32_e32 v121, 0
.LBB26_317:                             ; =>This Inner Loop Header: Depth=1
	v_cmp_eq_u32_e32 vcc_lo, 1, v120
	ds_load_b32 v64, v62
	v_dual_add_nc_u32 v61, -1, v61 :: v_dual_add_nc_u32 v62, 4, v62
	v_cndmask_b32_e32 v63, v34, v35, vcc_lo
	v_cmp_eq_u32_e32 vcc_lo, 2, v120
	s_delay_alu instid0(VALU_DEP_2) | instskip(SKIP_1) | instid1(VALU_DEP_2)
	v_cndmask_b32_e32 v63, v63, v36, vcc_lo
	v_cmp_eq_u32_e32 vcc_lo, 3, v120
	v_cndmask_b32_e32 v63, v63, v37, vcc_lo
	v_cmp_eq_u32_e32 vcc_lo, 4, v120
	s_delay_alu instid0(VALU_DEP_2) | instskip(SKIP_1) | instid1(VALU_DEP_2)
	v_cndmask_b32_e32 v63, v63, v38, vcc_lo
	v_cmp_eq_u32_e32 vcc_lo, 5, v120
	v_cndmask_b32_e32 v63, v63, v39, vcc_lo
	v_cmp_eq_u32_e32 vcc_lo, 6, v120
	s_delay_alu instid0(VALU_DEP_2) | instskip(SKIP_1) | instid1(VALU_DEP_2)
	v_cndmask_b32_e32 v63, v63, v40, vcc_lo
	v_cmp_eq_u32_e32 vcc_lo, 7, v120
	v_cndmask_b32_e32 v63, v63, v41, vcc_lo
	v_cmp_eq_u32_e32 vcc_lo, 8, v120
	s_delay_alu instid0(VALU_DEP_2) | instskip(SKIP_1) | instid1(VALU_DEP_2)
	v_cndmask_b32_e32 v63, v63, v42, vcc_lo
	v_cmp_eq_u32_e32 vcc_lo, 9, v120
	v_cndmask_b32_e32 v63, v63, v43, vcc_lo
	v_cmp_eq_u32_e32 vcc_lo, 10, v120
	s_delay_alu instid0(VALU_DEP_2) | instskip(SKIP_1) | instid1(VALU_DEP_2)
	v_cndmask_b32_e32 v63, v63, v44, vcc_lo
	v_cmp_eq_u32_e32 vcc_lo, 11, v120
	v_cndmask_b32_e32 v63, v63, v45, vcc_lo
	v_cmp_eq_u32_e32 vcc_lo, 12, v120
	s_delay_alu instid0(VALU_DEP_2) | instskip(SKIP_1) | instid1(VALU_DEP_2)
	v_cndmask_b32_e32 v63, v63, v46, vcc_lo
	v_cmp_eq_u32_e32 vcc_lo, 13, v120
	v_cndmask_b32_e32 v63, v63, v47, vcc_lo
	v_cmp_eq_u32_e32 vcc_lo, 14, v120
	s_delay_alu instid0(VALU_DEP_2) | instskip(SKIP_1) | instid1(VALU_DEP_2)
	v_cndmask_b32_e32 v63, v63, v48, vcc_lo
	v_cmp_eq_u32_e32 vcc_lo, 15, v120
	v_cndmask_b32_e32 v63, v63, v49, vcc_lo
	v_cmp_eq_u32_e32 vcc_lo, 16, v120
	s_delay_alu instid0(VALU_DEP_2) | instskip(SKIP_1) | instid1(VALU_DEP_2)
	v_cndmask_b32_e32 v63, v63, v50, vcc_lo
	v_cmp_eq_u32_e32 vcc_lo, 17, v120
	v_cndmask_b32_e32 v63, v63, v51, vcc_lo
	v_cmp_eq_u32_e32 vcc_lo, 18, v120
	s_delay_alu instid0(VALU_DEP_2) | instskip(SKIP_1) | instid1(VALU_DEP_2)
	v_cndmask_b32_e32 v63, v63, v52, vcc_lo
	v_cmp_eq_u32_e32 vcc_lo, 19, v120
	v_cndmask_b32_e32 v63, v63, v53, vcc_lo
	v_cmp_eq_u32_e32 vcc_lo, 20, v120
	s_delay_alu instid0(VALU_DEP_2) | instskip(SKIP_1) | instid1(VALU_DEP_2)
	v_cndmask_b32_e32 v63, v63, v54, vcc_lo
	v_cmp_eq_u32_e32 vcc_lo, 21, v120
	v_cndmask_b32_e32 v63, v63, v55, vcc_lo
	v_cmp_eq_u32_e32 vcc_lo, 22, v120
	s_delay_alu instid0(VALU_DEP_2) | instskip(SKIP_1) | instid1(VALU_DEP_2)
	v_cndmask_b32_e32 v63, v63, v56, vcc_lo
	v_cmp_eq_u32_e32 vcc_lo, 23, v120
	v_cndmask_b32_e32 v63, v63, v57, vcc_lo
	v_cmp_eq_u32_e32 vcc_lo, 24, v120
	s_delay_alu instid0(VALU_DEP_2) | instskip(SKIP_1) | instid1(VALU_DEP_2)
	v_cndmask_b32_e32 v63, v63, v58, vcc_lo
	v_cmp_eq_u32_e32 vcc_lo, 25, v120
	v_cndmask_b32_e32 v63, v63, v59, vcc_lo
	v_cmp_eq_u32_e32 vcc_lo, 26, v120
	v_add_nc_u64_e32 v[120:121], 1, v[120:121]
	s_delay_alu instid0(VALU_DEP_3) | instskip(SKIP_2) | instid1(VALU_DEP_2)
	v_cndmask_b32_e32 v63, v63, v60, vcc_lo
	v_cmp_eq_u32_e32 vcc_lo, 0, v61
	s_wait_dscnt 0x0
	v_fmac_f32_e32 v124, v63, v64
	s_or_b32 s2, vcc_lo, s2
	s_delay_alu instid0(SALU_CYCLE_1)
	s_and_not1_b32 exec_lo, exec_lo, s2
	s_cbranch_execnz .LBB26_317
; %bb.318:
	s_or_b32 exec_lo, exec_lo, s2
.LBB26_319:
	s_delay_alu instid0(SALU_CYCLE_1)
	s_or_b32 exec_lo, exec_lo, s0
.LBB26_320:
	s_delay_alu instid0(SALU_CYCLE_1)
	s_or_b32 exec_lo, exec_lo, s5
	v_mov_b32_e32 v39, 0
	ds_load_b32 v39, v39 offset:20
	s_wait_dscnt 0x0
	v_mul_f32_e32 v39, v124, v39
.LBB26_321:
	s_or_b32 exec_lo, exec_lo, s4
	v_cmp_lt_u32_e64 s0, 4, v0
	ds_store_b32 v123, v38
	s_wait_dscnt 0x0
	s_barrier_signal -1
	s_barrier_wait -1
	s_and_saveexec_b32 s4, s0
	s_cbranch_execz .LBB26_337
; %bb.322:
	s_and_not1_b32 vcc_lo, exec_lo, s27
	s_cbranch_vccnz .LBB26_324
; %bb.323:
	v_cmp_eq_u32_e32 vcc_lo, 1, v0
	ds_load_b32 v121, v123
	v_cndmask_b32_e32 v120, v34, v35, vcc_lo
	v_cmp_eq_u32_e32 vcc_lo, 2, v0
	s_delay_alu instid0(VALU_DEP_2) | instskip(SKIP_1) | instid1(VALU_DEP_2)
	v_cndmask_b32_e32 v120, v120, v36, vcc_lo
	v_cmp_eq_u32_e32 vcc_lo, 3, v0
	v_cndmask_b32_e32 v120, v120, v37, vcc_lo
	v_cmp_eq_u32_e32 vcc_lo, 4, v0
	s_delay_alu instid0(VALU_DEP_2) | instskip(SKIP_1) | instid1(VALU_DEP_2)
	v_cndmask_b32_e32 v120, v120, v38, vcc_lo
	v_cmp_eq_u32_e32 vcc_lo, 5, v0
	;; [unrolled: 5-line block ×12, first 2 shown]
	v_cndmask_b32_e32 v120, v120, v59, vcc_lo
	v_cmp_eq_u32_e32 vcc_lo, 26, v0
	s_delay_alu instid0(VALU_DEP_2) | instskip(SKIP_1) | instid1(VALU_DEP_1)
	v_cndmask_b32_e32 v120, v120, v60, vcc_lo
	s_wait_dscnt 0x0
	v_mul_f32_e32 v124, v120, v121
	s_cbranch_execz .LBB26_325
	s_branch .LBB26_326
.LBB26_324:
                                        ; implicit-def: $vgpr124
.LBB26_325:
	ds_load_b32 v124, v123
.LBB26_326:
	s_and_saveexec_b32 s5, s1
	s_cbranch_execz .LBB26_336
; %bb.327:
	v_dual_add_nc_u32 v120, -6, v0 :: v_dual_add_nc_u32 v121, -5, v0
	s_delay_alu instid0(VALU_DEP_1)
	v_cmp_lt_u32_e32 vcc_lo, 6, v120
	v_mov_b32_e32 v120, 5
	s_and_saveexec_b32 s1, vcc_lo
	s_cbranch_execz .LBB26_331
; %bb.328:
	v_and_b32_e32 v120, -8, v121
	s_mov_b32 s6, 0
	s_mov_b64 s[2:3], 12
	s_movk_i32 s7, 0x84
	s_delay_alu instid0(VALU_DEP_1)
	v_sub_nc_u32_e32 v122, 0, v120
.LBB26_329:                             ; =>This Inner Loop Header: Depth=1
	s_add_co_i32 m0, s2, -7
	v_movrels_b32_e32 v125, v34
	v_mov_b32_e32 v120, s7
	s_add_co_i32 m0, s2, -6
	s_add_co_i32 s7, s7, 32
	v_movrels_b32_e32 v134, v34
	ds_load_2addr_b32 v[126:127], v120 offset1:1
	ds_load_2addr_b32 v[128:129], v120 offset0:2 offset1:3
	s_add_co_i32 m0, s2, -5
	s_wait_dscnt 0x1
	v_fmac_f32_e32 v124, v125, v126
	ds_load_2addr_b32 v[130:131], v120 offset0:4 offset1:5
	ds_load_2addr_b32 v[132:133], v120 offset0:6 offset1:7
	v_movrels_b32_e32 v120, v34
	s_add_co_i32 m0, s2, -4
	v_fmac_f32_e32 v124, v134, v127
	v_movrels_b32_e32 v125, v34
	s_add_co_i32 m0, s2, -3
	s_wait_dscnt 0x2
	s_delay_alu instid0(VALU_DEP_2) | instskip(SKIP_2) | instid1(VALU_DEP_2)
	v_fmac_f32_e32 v124, v120, v128
	v_movrels_b32_e32 v120, v34
	s_add_co_i32 m0, s2, -2
	v_fmac_f32_e32 v124, v125, v129
	v_movrels_b32_e32 v125, v34
	s_add_co_i32 m0, s2, -1
	s_wait_dscnt 0x1
	s_delay_alu instid0(VALU_DEP_2)
	v_fmac_f32_e32 v124, v120, v130
	v_movrels_b32_e32 v120, v34
	s_mov_b32 m0, s2
	s_add_nc_u64 s[2:3], s[2:3], 8
	v_movrels_b32_e32 v126, v34
	v_dual_fmac_f32 v124, v125, v131 :: v_dual_add_nc_u32 v125, s2, v122
	s_add_co_i32 s8, s2, -7
	s_wait_dscnt 0x0
	s_delay_alu instid0(VALU_DEP_1) | instskip(NEXT) | instid1(VALU_DEP_2)
	v_fmac_f32_e32 v124, v120, v132
	v_cmp_eq_u32_e32 vcc_lo, 12, v125
	s_delay_alu instid0(VALU_DEP_2) | instskip(SKIP_1) | instid1(SALU_CYCLE_1)
	v_dual_mov_b32 v120, s8 :: v_dual_fmac_f32 v124, v126, v133
	s_or_b32 s6, vcc_lo, s6
	s_and_not1_b32 exec_lo, exec_lo, s6
	s_cbranch_execnz .LBB26_329
; %bb.330:
	s_or_b32 exec_lo, exec_lo, s6
.LBB26_331:
	s_delay_alu instid0(SALU_CYCLE_1) | instskip(SKIP_3) | instid1(VALU_DEP_1)
	s_or_b32 exec_lo, exec_lo, s1
	v_and_b32_e32 v61, 7, v121
	s_mov_b32 s2, 0
	s_mov_b32 s1, exec_lo
	v_cmpx_ne_u32_e32 0, v61
	s_cbranch_execz .LBB26_335
; %bb.332:
	v_lshl_add_u32 v62, v120, 2, 0x70
	v_mov_b32_e32 v121, 0
.LBB26_333:                             ; =>This Inner Loop Header: Depth=1
	v_cmp_eq_u32_e32 vcc_lo, 1, v120
	ds_load_b32 v64, v62
	v_dual_add_nc_u32 v61, -1, v61 :: v_dual_add_nc_u32 v62, 4, v62
	v_cndmask_b32_e32 v63, v34, v35, vcc_lo
	v_cmp_eq_u32_e32 vcc_lo, 2, v120
	s_delay_alu instid0(VALU_DEP_2) | instskip(SKIP_1) | instid1(VALU_DEP_2)
	v_cndmask_b32_e32 v63, v63, v36, vcc_lo
	v_cmp_eq_u32_e32 vcc_lo, 3, v120
	v_cndmask_b32_e32 v63, v63, v37, vcc_lo
	v_cmp_eq_u32_e32 vcc_lo, 4, v120
	s_delay_alu instid0(VALU_DEP_2) | instskip(SKIP_1) | instid1(VALU_DEP_2)
	v_cndmask_b32_e32 v63, v63, v38, vcc_lo
	v_cmp_eq_u32_e32 vcc_lo, 5, v120
	;; [unrolled: 5-line block ×12, first 2 shown]
	v_cndmask_b32_e32 v63, v63, v59, vcc_lo
	v_cmp_eq_u32_e32 vcc_lo, 26, v120
	v_add_nc_u64_e32 v[120:121], 1, v[120:121]
	s_delay_alu instid0(VALU_DEP_3) | instskip(SKIP_2) | instid1(VALU_DEP_2)
	v_cndmask_b32_e32 v63, v63, v60, vcc_lo
	v_cmp_eq_u32_e32 vcc_lo, 0, v61
	s_wait_dscnt 0x0
	v_fmac_f32_e32 v124, v63, v64
	s_or_b32 s2, vcc_lo, s2
	s_delay_alu instid0(SALU_CYCLE_1)
	s_and_not1_b32 exec_lo, exec_lo, s2
	s_cbranch_execnz .LBB26_333
; %bb.334:
	s_or_b32 exec_lo, exec_lo, s2
.LBB26_335:
	s_delay_alu instid0(SALU_CYCLE_1)
	s_or_b32 exec_lo, exec_lo, s1
.LBB26_336:
	s_delay_alu instid0(SALU_CYCLE_1)
	s_or_b32 exec_lo, exec_lo, s5
	v_mov_b32_e32 v38, 0
	ds_load_b32 v38, v38 offset:16
	s_wait_dscnt 0x0
	v_mul_f32_e32 v38, v124, v38
.LBB26_337:
	s_or_b32 exec_lo, exec_lo, s4
	v_cmp_lt_u32_e64 s1, 3, v0
	ds_store_b32 v123, v37
	s_wait_dscnt 0x0
	s_barrier_signal -1
	s_barrier_wait -1
	s_and_saveexec_b32 s4, s1
	s_cbranch_execz .LBB26_353
; %bb.338:
	s_and_not1_b32 vcc_lo, exec_lo, s27
	s_cbranch_vccnz .LBB26_340
; %bb.339:
	v_cmp_eq_u32_e32 vcc_lo, 1, v0
	ds_load_b32 v121, v123
	v_cndmask_b32_e32 v120, v34, v35, vcc_lo
	v_cmp_eq_u32_e32 vcc_lo, 2, v0
	s_delay_alu instid0(VALU_DEP_2) | instskip(SKIP_1) | instid1(VALU_DEP_2)
	v_cndmask_b32_e32 v120, v120, v36, vcc_lo
	v_cmp_eq_u32_e32 vcc_lo, 3, v0
	v_cndmask_b32_e32 v120, v120, v37, vcc_lo
	v_cmp_eq_u32_e32 vcc_lo, 4, v0
	s_delay_alu instid0(VALU_DEP_2) | instskip(SKIP_1) | instid1(VALU_DEP_2)
	v_cndmask_b32_e32 v120, v120, v38, vcc_lo
	v_cmp_eq_u32_e32 vcc_lo, 5, v0
	;; [unrolled: 5-line block ×12, first 2 shown]
	v_cndmask_b32_e32 v120, v120, v59, vcc_lo
	v_cmp_eq_u32_e32 vcc_lo, 26, v0
	s_delay_alu instid0(VALU_DEP_2) | instskip(SKIP_1) | instid1(VALU_DEP_1)
	v_cndmask_b32_e32 v120, v120, v60, vcc_lo
	s_wait_dscnt 0x0
	v_mul_f32_e32 v124, v120, v121
	s_cbranch_execz .LBB26_341
	s_branch .LBB26_342
.LBB26_340:
                                        ; implicit-def: $vgpr124
.LBB26_341:
	ds_load_b32 v124, v123
.LBB26_342:
	s_and_saveexec_b32 s5, s0
	s_cbranch_execz .LBB26_352
; %bb.343:
	v_dual_add_nc_u32 v120, -5, v0 :: v_dual_add_nc_u32 v121, -4, v0
	s_delay_alu instid0(VALU_DEP_1)
	v_cmp_lt_u32_e32 vcc_lo, 6, v120
	v_mov_b32_e32 v120, 4
	s_and_saveexec_b32 s0, vcc_lo
	s_cbranch_execz .LBB26_347
; %bb.344:
	v_and_b32_e32 v120, -8, v121
	s_mov_b32 s6, 0
	s_mov_b64 s[2:3], 5
	s_movk_i32 s7, 0x80
	s_delay_alu instid0(VALU_DEP_1)
	v_sub_nc_u32_e32 v122, 0, v120
.LBB26_345:                             ; =>This Inner Loop Header: Depth=1
	s_add_co_i32 m0, s2, -1
	v_movrels_b32_e32 v125, v34
	v_mov_b32_e32 v120, s7
	s_mov_b32 m0, s2
	s_add_co_i32 s7, s7, 32
	v_movrels_b32_e32 v134, v34
	s_add_co_i32 m0, s2, 1
	ds_load_b128 v[126:129], v120
	ds_load_b128 v[130:133], v120 offset:16
	v_movrels_b32_e32 v120, v34
	s_add_co_i32 m0, s2, 2
	s_wait_dscnt 0x1
	v_fmac_f32_e32 v124, v125, v126
	v_movrels_b32_e32 v125, v34
	s_add_co_i32 m0, s2, 3
	s_delay_alu instid0(VALU_DEP_2) | instskip(NEXT) | instid1(VALU_DEP_1)
	v_fmac_f32_e32 v124, v134, v127
	v_fmac_f32_e32 v124, v120, v128
	v_movrels_b32_e32 v120, v34
	s_add_co_i32 m0, s2, 4
	s_delay_alu instid0(VALU_DEP_2) | instskip(SKIP_3) | instid1(VALU_DEP_2)
	v_fmac_f32_e32 v124, v125, v129
	v_movrels_b32_e32 v125, v34
	s_add_co_i32 m0, s2, 5
	s_wait_dscnt 0x0
	v_fmac_f32_e32 v124, v120, v130
	v_movrels_b32_e32 v120, v34
	s_add_co_i32 m0, s2, 6
	s_add_nc_u64 s[2:3], s[2:3], 8
	v_movrels_b32_e32 v126, v34
	v_dual_fmac_f32 v124, v125, v131 :: v_dual_add_nc_u32 v125, s2, v122
	s_add_co_i32 s8, s2, -1
	s_delay_alu instid0(VALU_DEP_1) | instskip(NEXT) | instid1(VALU_DEP_2)
	v_fmac_f32_e32 v124, v120, v132
	v_cmp_eq_u32_e32 vcc_lo, 5, v125
	s_delay_alu instid0(VALU_DEP_2) | instskip(SKIP_1) | instid1(SALU_CYCLE_1)
	v_dual_mov_b32 v120, s8 :: v_dual_fmac_f32 v124, v126, v133
	s_or_b32 s6, vcc_lo, s6
	s_and_not1_b32 exec_lo, exec_lo, s6
	s_cbranch_execnz .LBB26_345
; %bb.346:
	s_or_b32 exec_lo, exec_lo, s6
.LBB26_347:
	s_delay_alu instid0(SALU_CYCLE_1) | instskip(SKIP_3) | instid1(VALU_DEP_1)
	s_or_b32 exec_lo, exec_lo, s0
	v_and_b32_e32 v61, 7, v121
	s_mov_b32 s2, 0
	s_mov_b32 s0, exec_lo
	v_cmpx_ne_u32_e32 0, v61
	s_cbranch_execz .LBB26_351
; %bb.348:
	v_lshl_add_u32 v62, v120, 2, 0x70
	v_mov_b32_e32 v121, 0
.LBB26_349:                             ; =>This Inner Loop Header: Depth=1
	v_cmp_eq_u32_e32 vcc_lo, 1, v120
	ds_load_b32 v64, v62
	v_dual_add_nc_u32 v61, -1, v61 :: v_dual_add_nc_u32 v62, 4, v62
	v_cndmask_b32_e32 v63, v34, v35, vcc_lo
	v_cmp_eq_u32_e32 vcc_lo, 2, v120
	s_delay_alu instid0(VALU_DEP_2) | instskip(SKIP_1) | instid1(VALU_DEP_2)
	v_cndmask_b32_e32 v63, v63, v36, vcc_lo
	v_cmp_eq_u32_e32 vcc_lo, 3, v120
	v_cndmask_b32_e32 v63, v63, v37, vcc_lo
	v_cmp_eq_u32_e32 vcc_lo, 4, v120
	s_delay_alu instid0(VALU_DEP_2) | instskip(SKIP_1) | instid1(VALU_DEP_2)
	v_cndmask_b32_e32 v63, v63, v38, vcc_lo
	v_cmp_eq_u32_e32 vcc_lo, 5, v120
	;; [unrolled: 5-line block ×12, first 2 shown]
	v_cndmask_b32_e32 v63, v63, v59, vcc_lo
	v_cmp_eq_u32_e32 vcc_lo, 26, v120
	v_add_nc_u64_e32 v[120:121], 1, v[120:121]
	s_delay_alu instid0(VALU_DEP_3) | instskip(SKIP_2) | instid1(VALU_DEP_2)
	v_cndmask_b32_e32 v63, v63, v60, vcc_lo
	v_cmp_eq_u32_e32 vcc_lo, 0, v61
	s_wait_dscnt 0x0
	v_fmac_f32_e32 v124, v63, v64
	s_or_b32 s2, vcc_lo, s2
	s_delay_alu instid0(SALU_CYCLE_1)
	s_and_not1_b32 exec_lo, exec_lo, s2
	s_cbranch_execnz .LBB26_349
; %bb.350:
	s_or_b32 exec_lo, exec_lo, s2
.LBB26_351:
	s_delay_alu instid0(SALU_CYCLE_1)
	s_or_b32 exec_lo, exec_lo, s0
.LBB26_352:
	s_delay_alu instid0(SALU_CYCLE_1)
	s_or_b32 exec_lo, exec_lo, s5
	v_mov_b32_e32 v37, 0
	ds_load_b32 v37, v37 offset:12
	s_wait_dscnt 0x0
	v_mul_f32_e32 v37, v124, v37
.LBB26_353:
	s_or_b32 exec_lo, exec_lo, s4
	v_cmp_lt_u32_e64 s0, 2, v0
	ds_store_b32 v123, v36
	s_wait_dscnt 0x0
	s_barrier_signal -1
	s_barrier_wait -1
	s_and_saveexec_b32 s4, s0
	s_cbranch_execz .LBB26_369
; %bb.354:
	s_and_not1_b32 vcc_lo, exec_lo, s27
	s_cbranch_vccnz .LBB26_356
; %bb.355:
	v_cmp_eq_u32_e32 vcc_lo, 1, v0
	ds_load_b32 v121, v123
	v_cndmask_b32_e32 v120, v34, v35, vcc_lo
	v_cmp_eq_u32_e32 vcc_lo, 2, v0
	s_delay_alu instid0(VALU_DEP_2) | instskip(SKIP_1) | instid1(VALU_DEP_2)
	v_cndmask_b32_e32 v120, v120, v36, vcc_lo
	v_cmp_eq_u32_e32 vcc_lo, 3, v0
	v_cndmask_b32_e32 v120, v120, v37, vcc_lo
	v_cmp_eq_u32_e32 vcc_lo, 4, v0
	s_delay_alu instid0(VALU_DEP_2) | instskip(SKIP_1) | instid1(VALU_DEP_2)
	v_cndmask_b32_e32 v120, v120, v38, vcc_lo
	v_cmp_eq_u32_e32 vcc_lo, 5, v0
	v_cndmask_b32_e32 v120, v120, v39, vcc_lo
	v_cmp_eq_u32_e32 vcc_lo, 6, v0
	s_delay_alu instid0(VALU_DEP_2) | instskip(SKIP_1) | instid1(VALU_DEP_2)
	v_cndmask_b32_e32 v120, v120, v40, vcc_lo
	v_cmp_eq_u32_e32 vcc_lo, 7, v0
	v_cndmask_b32_e32 v120, v120, v41, vcc_lo
	v_cmp_eq_u32_e32 vcc_lo, 8, v0
	s_delay_alu instid0(VALU_DEP_2) | instskip(SKIP_1) | instid1(VALU_DEP_2)
	v_cndmask_b32_e32 v120, v120, v42, vcc_lo
	v_cmp_eq_u32_e32 vcc_lo, 9, v0
	v_cndmask_b32_e32 v120, v120, v43, vcc_lo
	v_cmp_eq_u32_e32 vcc_lo, 10, v0
	s_delay_alu instid0(VALU_DEP_2) | instskip(SKIP_1) | instid1(VALU_DEP_2)
	v_cndmask_b32_e32 v120, v120, v44, vcc_lo
	v_cmp_eq_u32_e32 vcc_lo, 11, v0
	v_cndmask_b32_e32 v120, v120, v45, vcc_lo
	v_cmp_eq_u32_e32 vcc_lo, 12, v0
	s_delay_alu instid0(VALU_DEP_2) | instskip(SKIP_1) | instid1(VALU_DEP_2)
	v_cndmask_b32_e32 v120, v120, v46, vcc_lo
	v_cmp_eq_u32_e32 vcc_lo, 13, v0
	v_cndmask_b32_e32 v120, v120, v47, vcc_lo
	v_cmp_eq_u32_e32 vcc_lo, 14, v0
	s_delay_alu instid0(VALU_DEP_2) | instskip(SKIP_1) | instid1(VALU_DEP_2)
	v_cndmask_b32_e32 v120, v120, v48, vcc_lo
	v_cmp_eq_u32_e32 vcc_lo, 15, v0
	v_cndmask_b32_e32 v120, v120, v49, vcc_lo
	v_cmp_eq_u32_e32 vcc_lo, 16, v0
	s_delay_alu instid0(VALU_DEP_2) | instskip(SKIP_1) | instid1(VALU_DEP_2)
	v_cndmask_b32_e32 v120, v120, v50, vcc_lo
	v_cmp_eq_u32_e32 vcc_lo, 17, v0
	v_cndmask_b32_e32 v120, v120, v51, vcc_lo
	v_cmp_eq_u32_e32 vcc_lo, 18, v0
	s_delay_alu instid0(VALU_DEP_2) | instskip(SKIP_1) | instid1(VALU_DEP_2)
	v_cndmask_b32_e32 v120, v120, v52, vcc_lo
	v_cmp_eq_u32_e32 vcc_lo, 19, v0
	v_cndmask_b32_e32 v120, v120, v53, vcc_lo
	v_cmp_eq_u32_e32 vcc_lo, 20, v0
	s_delay_alu instid0(VALU_DEP_2) | instskip(SKIP_1) | instid1(VALU_DEP_2)
	v_cndmask_b32_e32 v120, v120, v54, vcc_lo
	v_cmp_eq_u32_e32 vcc_lo, 21, v0
	v_cndmask_b32_e32 v120, v120, v55, vcc_lo
	v_cmp_eq_u32_e32 vcc_lo, 22, v0
	s_delay_alu instid0(VALU_DEP_2) | instskip(SKIP_1) | instid1(VALU_DEP_2)
	v_cndmask_b32_e32 v120, v120, v56, vcc_lo
	v_cmp_eq_u32_e32 vcc_lo, 23, v0
	v_cndmask_b32_e32 v120, v120, v57, vcc_lo
	v_cmp_eq_u32_e32 vcc_lo, 24, v0
	s_delay_alu instid0(VALU_DEP_2) | instskip(SKIP_1) | instid1(VALU_DEP_2)
	v_cndmask_b32_e32 v120, v120, v58, vcc_lo
	v_cmp_eq_u32_e32 vcc_lo, 25, v0
	v_cndmask_b32_e32 v120, v120, v59, vcc_lo
	v_cmp_eq_u32_e32 vcc_lo, 26, v0
	s_delay_alu instid0(VALU_DEP_2) | instskip(SKIP_1) | instid1(VALU_DEP_1)
	v_cndmask_b32_e32 v120, v120, v60, vcc_lo
	s_wait_dscnt 0x0
	v_mul_f32_e32 v124, v120, v121
	s_cbranch_execz .LBB26_357
	s_branch .LBB26_358
.LBB26_356:
                                        ; implicit-def: $vgpr124
.LBB26_357:
	ds_load_b32 v124, v123
.LBB26_358:
	s_and_saveexec_b32 s5, s1
	s_cbranch_execz .LBB26_368
; %bb.359:
	v_dual_add_nc_u32 v120, -4, v0 :: v_dual_add_nc_u32 v121, -3, v0
	s_delay_alu instid0(VALU_DEP_1)
	v_cmp_lt_u32_e32 vcc_lo, 6, v120
	v_mov_b32_e32 v120, 3
	s_and_saveexec_b32 s1, vcc_lo
	s_cbranch_execz .LBB26_363
; %bb.360:
	v_and_b32_e32 v120, -8, v121
	s_mov_b32 s6, 0
	s_mov_b64 s[2:3], 10
	s_movk_i32 s7, 0x7c
	s_delay_alu instid0(VALU_DEP_1)
	v_sub_nc_u32_e32 v122, 0, v120
.LBB26_361:                             ; =>This Inner Loop Header: Depth=1
	s_add_co_i32 m0, s2, -7
	v_movrels_b32_e32 v125, v34
	v_mov_b32_e32 v120, s7
	s_add_co_i32 m0, s2, -6
	s_add_co_i32 s7, s7, 32
	v_movrels_b32_e32 v134, v34
	ds_load_2addr_b32 v[126:127], v120 offset1:1
	ds_load_2addr_b32 v[128:129], v120 offset0:2 offset1:3
	s_add_co_i32 m0, s2, -5
	s_wait_dscnt 0x1
	v_fmac_f32_e32 v124, v125, v126
	ds_load_2addr_b32 v[130:131], v120 offset0:4 offset1:5
	ds_load_2addr_b32 v[132:133], v120 offset0:6 offset1:7
	v_movrels_b32_e32 v120, v34
	s_add_co_i32 m0, s2, -4
	v_fmac_f32_e32 v124, v134, v127
	v_movrels_b32_e32 v125, v34
	s_add_co_i32 m0, s2, -3
	s_wait_dscnt 0x2
	s_delay_alu instid0(VALU_DEP_2) | instskip(SKIP_2) | instid1(VALU_DEP_2)
	v_fmac_f32_e32 v124, v120, v128
	v_movrels_b32_e32 v120, v34
	s_add_co_i32 m0, s2, -2
	v_fmac_f32_e32 v124, v125, v129
	v_movrels_b32_e32 v125, v34
	s_add_co_i32 m0, s2, -1
	s_wait_dscnt 0x1
	s_delay_alu instid0(VALU_DEP_2)
	v_fmac_f32_e32 v124, v120, v130
	v_movrels_b32_e32 v120, v34
	s_mov_b32 m0, s2
	s_add_nc_u64 s[2:3], s[2:3], 8
	v_movrels_b32_e32 v126, v34
	v_dual_fmac_f32 v124, v125, v131 :: v_dual_add_nc_u32 v125, s2, v122
	s_add_co_i32 s8, s2, -7
	s_wait_dscnt 0x0
	s_delay_alu instid0(VALU_DEP_1) | instskip(NEXT) | instid1(VALU_DEP_2)
	v_fmac_f32_e32 v124, v120, v132
	v_cmp_eq_u32_e32 vcc_lo, 10, v125
	s_delay_alu instid0(VALU_DEP_2) | instskip(SKIP_1) | instid1(SALU_CYCLE_1)
	v_dual_mov_b32 v120, s8 :: v_dual_fmac_f32 v124, v126, v133
	s_or_b32 s6, vcc_lo, s6
	s_and_not1_b32 exec_lo, exec_lo, s6
	s_cbranch_execnz .LBB26_361
; %bb.362:
	s_or_b32 exec_lo, exec_lo, s6
.LBB26_363:
	s_delay_alu instid0(SALU_CYCLE_1) | instskip(SKIP_3) | instid1(VALU_DEP_1)
	s_or_b32 exec_lo, exec_lo, s1
	v_and_b32_e32 v61, 7, v121
	s_mov_b32 s2, 0
	s_mov_b32 s1, exec_lo
	v_cmpx_ne_u32_e32 0, v61
	s_cbranch_execz .LBB26_367
; %bb.364:
	v_lshl_add_u32 v62, v120, 2, 0x70
	v_mov_b32_e32 v121, 0
.LBB26_365:                             ; =>This Inner Loop Header: Depth=1
	v_cmp_eq_u32_e32 vcc_lo, 1, v120
	ds_load_b32 v64, v62
	v_dual_add_nc_u32 v61, -1, v61 :: v_dual_add_nc_u32 v62, 4, v62
	v_cndmask_b32_e32 v63, v34, v35, vcc_lo
	v_cmp_eq_u32_e32 vcc_lo, 2, v120
	s_delay_alu instid0(VALU_DEP_2) | instskip(SKIP_1) | instid1(VALU_DEP_2)
	v_cndmask_b32_e32 v63, v63, v36, vcc_lo
	v_cmp_eq_u32_e32 vcc_lo, 3, v120
	v_cndmask_b32_e32 v63, v63, v37, vcc_lo
	v_cmp_eq_u32_e32 vcc_lo, 4, v120
	s_delay_alu instid0(VALU_DEP_2) | instskip(SKIP_1) | instid1(VALU_DEP_2)
	v_cndmask_b32_e32 v63, v63, v38, vcc_lo
	v_cmp_eq_u32_e32 vcc_lo, 5, v120
	;; [unrolled: 5-line block ×12, first 2 shown]
	v_cndmask_b32_e32 v63, v63, v59, vcc_lo
	v_cmp_eq_u32_e32 vcc_lo, 26, v120
	v_add_nc_u64_e32 v[120:121], 1, v[120:121]
	s_delay_alu instid0(VALU_DEP_3) | instskip(SKIP_2) | instid1(VALU_DEP_2)
	v_cndmask_b32_e32 v63, v63, v60, vcc_lo
	v_cmp_eq_u32_e32 vcc_lo, 0, v61
	s_wait_dscnt 0x0
	v_fmac_f32_e32 v124, v63, v64
	s_or_b32 s2, vcc_lo, s2
	s_delay_alu instid0(SALU_CYCLE_1)
	s_and_not1_b32 exec_lo, exec_lo, s2
	s_cbranch_execnz .LBB26_365
; %bb.366:
	s_or_b32 exec_lo, exec_lo, s2
.LBB26_367:
	s_delay_alu instid0(SALU_CYCLE_1)
	s_or_b32 exec_lo, exec_lo, s1
.LBB26_368:
	s_delay_alu instid0(SALU_CYCLE_1)
	s_or_b32 exec_lo, exec_lo, s5
	v_mov_b32_e32 v36, 0
	ds_load_b32 v36, v36 offset:8
	s_wait_dscnt 0x0
	v_mul_f32_e32 v36, v124, v36
.LBB26_369:
	s_or_b32 exec_lo, exec_lo, s4
	v_cmp_lt_u32_e64 s1, 1, v0
	ds_store_b32 v123, v35
	s_wait_dscnt 0x0
	s_barrier_signal -1
	s_barrier_wait -1
	s_and_saveexec_b32 s4, s1
	s_cbranch_execz .LBB26_385
; %bb.370:
	s_and_not1_b32 vcc_lo, exec_lo, s27
	s_cbranch_vccnz .LBB26_372
; %bb.371:
	v_cmp_eq_u32_e32 vcc_lo, 1, v0
	ds_load_b32 v121, v123
	v_cndmask_b32_e32 v120, v34, v35, vcc_lo
	v_cmp_eq_u32_e32 vcc_lo, 2, v0
	s_delay_alu instid0(VALU_DEP_2) | instskip(SKIP_1) | instid1(VALU_DEP_2)
	v_cndmask_b32_e32 v120, v120, v36, vcc_lo
	v_cmp_eq_u32_e32 vcc_lo, 3, v0
	v_cndmask_b32_e32 v120, v120, v37, vcc_lo
	v_cmp_eq_u32_e32 vcc_lo, 4, v0
	s_delay_alu instid0(VALU_DEP_2) | instskip(SKIP_1) | instid1(VALU_DEP_2)
	v_cndmask_b32_e32 v120, v120, v38, vcc_lo
	v_cmp_eq_u32_e32 vcc_lo, 5, v0
	;; [unrolled: 5-line block ×12, first 2 shown]
	v_cndmask_b32_e32 v120, v120, v59, vcc_lo
	v_cmp_eq_u32_e32 vcc_lo, 26, v0
	s_delay_alu instid0(VALU_DEP_2) | instskip(SKIP_1) | instid1(VALU_DEP_1)
	v_cndmask_b32_e32 v120, v120, v60, vcc_lo
	s_wait_dscnt 0x0
	v_mul_f32_e32 v124, v120, v121
	s_cbranch_execz .LBB26_373
	s_branch .LBB26_374
.LBB26_372:
                                        ; implicit-def: $vgpr124
.LBB26_373:
	ds_load_b32 v124, v123
.LBB26_374:
	s_and_saveexec_b32 s5, s0
	s_cbranch_execz .LBB26_384
; %bb.375:
	v_dual_add_nc_u32 v120, -3, v0 :: v_dual_add_nc_u32 v121, -2, v0
	s_delay_alu instid0(VALU_DEP_1)
	v_cmp_lt_u32_e32 vcc_lo, 6, v120
	v_mov_b32_e32 v120, 2
	s_and_saveexec_b32 s0, vcc_lo
	s_cbranch_execz .LBB26_379
; %bb.376:
	v_and_b32_e32 v120, -8, v121
	s_mov_b32 s6, 0
	s_mov_b64 s[2:3], 9
	s_movk_i32 s7, 0x78
	s_delay_alu instid0(VALU_DEP_1)
	v_sub_nc_u32_e32 v122, 0, v120
.LBB26_377:                             ; =>This Inner Loop Header: Depth=1
	s_add_co_i32 m0, s2, -7
	v_movrels_b32_e32 v125, v34
	v_mov_b32_e32 v120, s7
	s_add_co_i32 m0, s2, -6
	s_add_co_i32 s7, s7, 32
	v_movrels_b32_e32 v134, v34
	s_add_co_i32 m0, s2, -5
	ds_load_2addr_b64 v[126:129], v120 offset1:1
	ds_load_2addr_b64 v[130:133], v120 offset0:2 offset1:3
	v_movrels_b32_e32 v120, v34
	s_add_co_i32 m0, s2, -4
	s_wait_dscnt 0x1
	v_fmac_f32_e32 v124, v125, v126
	v_movrels_b32_e32 v125, v34
	s_add_co_i32 m0, s2, -3
	s_delay_alu instid0(VALU_DEP_2) | instskip(NEXT) | instid1(VALU_DEP_1)
	v_fmac_f32_e32 v124, v134, v127
	v_fmac_f32_e32 v124, v120, v128
	v_movrels_b32_e32 v120, v34
	s_add_co_i32 m0, s2, -2
	s_delay_alu instid0(VALU_DEP_2) | instskip(SKIP_3) | instid1(VALU_DEP_2)
	v_fmac_f32_e32 v124, v125, v129
	v_movrels_b32_e32 v125, v34
	s_add_co_i32 m0, s2, -1
	s_wait_dscnt 0x0
	v_fmac_f32_e32 v124, v120, v130
	v_movrels_b32_e32 v120, v34
	s_mov_b32 m0, s2
	s_add_nc_u64 s[2:3], s[2:3], 8
	v_movrels_b32_e32 v126, v34
	v_dual_fmac_f32 v124, v125, v131 :: v_dual_add_nc_u32 v125, s2, v122
	s_add_co_i32 s8, s2, -7
	s_delay_alu instid0(VALU_DEP_1) | instskip(NEXT) | instid1(VALU_DEP_2)
	v_fmac_f32_e32 v124, v120, v132
	v_cmp_eq_u32_e32 vcc_lo, 9, v125
	s_delay_alu instid0(VALU_DEP_2) | instskip(SKIP_1) | instid1(SALU_CYCLE_1)
	v_dual_mov_b32 v120, s8 :: v_dual_fmac_f32 v124, v126, v133
	s_or_b32 s6, vcc_lo, s6
	s_and_not1_b32 exec_lo, exec_lo, s6
	s_cbranch_execnz .LBB26_377
; %bb.378:
	s_or_b32 exec_lo, exec_lo, s6
.LBB26_379:
	s_delay_alu instid0(SALU_CYCLE_1) | instskip(SKIP_3) | instid1(VALU_DEP_1)
	s_or_b32 exec_lo, exec_lo, s0
	v_and_b32_e32 v61, 7, v121
	s_mov_b32 s2, 0
	s_mov_b32 s0, exec_lo
	v_cmpx_ne_u32_e32 0, v61
	s_cbranch_execz .LBB26_383
; %bb.380:
	v_lshl_add_u32 v62, v120, 2, 0x70
	v_mov_b32_e32 v121, 0
.LBB26_381:                             ; =>This Inner Loop Header: Depth=1
	v_cmp_eq_u32_e32 vcc_lo, 1, v120
	ds_load_b32 v64, v62
	v_dual_add_nc_u32 v61, -1, v61 :: v_dual_add_nc_u32 v62, 4, v62
	v_cndmask_b32_e32 v63, v34, v35, vcc_lo
	v_cmp_eq_u32_e32 vcc_lo, 2, v120
	s_delay_alu instid0(VALU_DEP_2) | instskip(SKIP_1) | instid1(VALU_DEP_2)
	v_cndmask_b32_e32 v63, v63, v36, vcc_lo
	v_cmp_eq_u32_e32 vcc_lo, 3, v120
	v_cndmask_b32_e32 v63, v63, v37, vcc_lo
	v_cmp_eq_u32_e32 vcc_lo, 4, v120
	s_delay_alu instid0(VALU_DEP_2) | instskip(SKIP_1) | instid1(VALU_DEP_2)
	v_cndmask_b32_e32 v63, v63, v38, vcc_lo
	v_cmp_eq_u32_e32 vcc_lo, 5, v120
	;; [unrolled: 5-line block ×12, first 2 shown]
	v_cndmask_b32_e32 v63, v63, v59, vcc_lo
	v_cmp_eq_u32_e32 vcc_lo, 26, v120
	v_add_nc_u64_e32 v[120:121], 1, v[120:121]
	s_delay_alu instid0(VALU_DEP_3) | instskip(SKIP_2) | instid1(VALU_DEP_2)
	v_cndmask_b32_e32 v63, v63, v60, vcc_lo
	v_cmp_eq_u32_e32 vcc_lo, 0, v61
	s_wait_dscnt 0x0
	v_fmac_f32_e32 v124, v63, v64
	s_or_b32 s2, vcc_lo, s2
	s_delay_alu instid0(SALU_CYCLE_1)
	s_and_not1_b32 exec_lo, exec_lo, s2
	s_cbranch_execnz .LBB26_381
; %bb.382:
	s_or_b32 exec_lo, exec_lo, s2
.LBB26_383:
	s_delay_alu instid0(SALU_CYCLE_1)
	s_or_b32 exec_lo, exec_lo, s0
.LBB26_384:
	s_delay_alu instid0(SALU_CYCLE_1)
	s_or_b32 exec_lo, exec_lo, s5
	v_mov_b32_e32 v35, 0
	ds_load_b32 v35, v35 offset:4
	s_wait_dscnt 0x0
	v_mul_f32_e32 v35, v124, v35
.LBB26_385:
	s_or_b32 exec_lo, exec_lo, s4
	s_mov_b32 s2, 0
	s_mov_b32 s3, exec_lo
	ds_store_b32 v123, v34
	s_wait_dscnt 0x0
	s_barrier_signal -1
	s_barrier_wait -1
	v_cmpx_ne_u32_e32 0, v0
	s_cbranch_execz .LBB26_401
; %bb.386:
	s_and_not1_b32 vcc_lo, exec_lo, s27
	s_cbranch_vccnz .LBB26_388
; %bb.387:
	v_cmp_eq_u32_e32 vcc_lo, 1, v0
	ds_load_b32 v121, v123
	v_cndmask_b32_e32 v120, v34, v35, vcc_lo
	v_cmp_eq_u32_e32 vcc_lo, 2, v0
	s_delay_alu instid0(VALU_DEP_2) | instskip(SKIP_1) | instid1(VALU_DEP_2)
	v_cndmask_b32_e32 v120, v120, v36, vcc_lo
	v_cmp_eq_u32_e32 vcc_lo, 3, v0
	v_cndmask_b32_e32 v120, v120, v37, vcc_lo
	v_cmp_eq_u32_e32 vcc_lo, 4, v0
	s_delay_alu instid0(VALU_DEP_2) | instskip(SKIP_1) | instid1(VALU_DEP_2)
	v_cndmask_b32_e32 v120, v120, v38, vcc_lo
	v_cmp_eq_u32_e32 vcc_lo, 5, v0
	;; [unrolled: 5-line block ×12, first 2 shown]
	v_cndmask_b32_e32 v120, v120, v59, vcc_lo
	v_cmp_eq_u32_e32 vcc_lo, 26, v0
	s_delay_alu instid0(VALU_DEP_2) | instskip(SKIP_1) | instid1(VALU_DEP_1)
	v_cndmask_b32_e32 v120, v120, v60, vcc_lo
	s_wait_dscnt 0x0
	v_mul_f32_e32 v124, v120, v121
	s_cbranch_execz .LBB26_389
	s_branch .LBB26_390
.LBB26_388:
                                        ; implicit-def: $vgpr124
.LBB26_389:
	ds_load_b32 v124, v123
.LBB26_390:
	s_and_saveexec_b32 s4, s1
	s_cbranch_execz .LBB26_400
; %bb.391:
	v_dual_add_nc_u32 v120, -2, v0 :: v_dual_add_nc_u32 v121, -1, v0
	s_delay_alu instid0(VALU_DEP_1)
	v_cmp_lt_u32_e32 vcc_lo, 6, v120
	v_mov_b32_e32 v120, 1
	s_and_saveexec_b32 s5, vcc_lo
	s_cbranch_execz .LBB26_395
; %bb.392:
	v_and_b32_e32 v120, -8, v121
	s_mov_b32 s6, 0
	s_mov_b64 s[0:1], 8
	s_movk_i32 s7, 0x74
	s_delay_alu instid0(VALU_DEP_1)
	v_sub_nc_u32_e32 v122, 0, v120
.LBB26_393:                             ; =>This Inner Loop Header: Depth=1
	s_add_co_i32 m0, s0, -7
	v_movrels_b32_e32 v125, v34
	v_mov_b32_e32 v120, s7
	s_add_co_i32 m0, s0, -6
	s_add_co_i32 s7, s7, 32
	v_movrels_b32_e32 v134, v34
	ds_load_2addr_b32 v[126:127], v120 offset1:1
	ds_load_2addr_b32 v[128:129], v120 offset0:2 offset1:3
	s_add_co_i32 m0, s0, -5
	s_wait_dscnt 0x1
	v_fmac_f32_e32 v124, v125, v126
	ds_load_2addr_b32 v[130:131], v120 offset0:4 offset1:5
	ds_load_2addr_b32 v[132:133], v120 offset0:6 offset1:7
	v_movrels_b32_e32 v120, v34
	s_add_co_i32 m0, s0, -4
	v_fmac_f32_e32 v124, v134, v127
	v_movrels_b32_e32 v125, v34
	s_add_co_i32 m0, s0, -3
	s_wait_dscnt 0x2
	s_delay_alu instid0(VALU_DEP_2) | instskip(SKIP_2) | instid1(VALU_DEP_2)
	v_fmac_f32_e32 v124, v120, v128
	v_movrels_b32_e32 v120, v34
	s_add_co_i32 m0, s0, -2
	v_fmac_f32_e32 v124, v125, v129
	v_movrels_b32_e32 v125, v34
	s_add_co_i32 m0, s0, -1
	s_wait_dscnt 0x1
	s_delay_alu instid0(VALU_DEP_2)
	v_fmac_f32_e32 v124, v120, v130
	v_movrels_b32_e32 v120, v34
	s_mov_b32 m0, s0
	s_add_nc_u64 s[0:1], s[0:1], 8
	v_movrels_b32_e32 v126, v34
	v_dual_fmac_f32 v124, v125, v131 :: v_dual_add_nc_u32 v125, s0, v122
	s_add_co_i32 s8, s0, -7
	s_wait_dscnt 0x0
	s_delay_alu instid0(VALU_DEP_1) | instskip(NEXT) | instid1(VALU_DEP_2)
	v_fmac_f32_e32 v124, v120, v132
	v_cmp_eq_u32_e32 vcc_lo, 8, v125
	s_delay_alu instid0(VALU_DEP_2) | instskip(SKIP_1) | instid1(SALU_CYCLE_1)
	v_dual_mov_b32 v120, s8 :: v_dual_fmac_f32 v124, v126, v133
	s_or_b32 s6, vcc_lo, s6
	s_and_not1_b32 exec_lo, exec_lo, s6
	s_cbranch_execnz .LBB26_393
; %bb.394:
	s_or_b32 exec_lo, exec_lo, s6
.LBB26_395:
	s_delay_alu instid0(SALU_CYCLE_1) | instskip(SKIP_3) | instid1(VALU_DEP_1)
	s_or_b32 exec_lo, exec_lo, s5
	v_and_b32_e32 v61, 7, v121
	s_mov_b32 s1, 0
	s_mov_b32 s0, exec_lo
	v_cmpx_ne_u32_e32 0, v61
	s_cbranch_execz .LBB26_399
; %bb.396:
	v_lshl_add_u32 v62, v120, 2, 0x70
	v_mov_b32_e32 v121, 0
.LBB26_397:                             ; =>This Inner Loop Header: Depth=1
	v_cmp_eq_u32_e32 vcc_lo, 1, v120
	ds_load_b32 v64, v62
	v_dual_add_nc_u32 v61, -1, v61 :: v_dual_add_nc_u32 v62, 4, v62
	v_cndmask_b32_e32 v63, v34, v35, vcc_lo
	v_cmp_eq_u32_e32 vcc_lo, 2, v120
	s_delay_alu instid0(VALU_DEP_2) | instskip(SKIP_1) | instid1(VALU_DEP_2)
	v_cndmask_b32_e32 v63, v63, v36, vcc_lo
	v_cmp_eq_u32_e32 vcc_lo, 3, v120
	v_cndmask_b32_e32 v63, v63, v37, vcc_lo
	v_cmp_eq_u32_e32 vcc_lo, 4, v120
	s_delay_alu instid0(VALU_DEP_2) | instskip(SKIP_1) | instid1(VALU_DEP_2)
	v_cndmask_b32_e32 v63, v63, v38, vcc_lo
	v_cmp_eq_u32_e32 vcc_lo, 5, v120
	;; [unrolled: 5-line block ×12, first 2 shown]
	v_cndmask_b32_e32 v63, v63, v59, vcc_lo
	v_cmp_eq_u32_e32 vcc_lo, 26, v120
	v_add_nc_u64_e32 v[120:121], 1, v[120:121]
	s_delay_alu instid0(VALU_DEP_3) | instskip(SKIP_2) | instid1(VALU_DEP_2)
	v_cndmask_b32_e32 v63, v63, v60, vcc_lo
	v_cmp_eq_u32_e32 vcc_lo, 0, v61
	s_wait_dscnt 0x0
	v_fmac_f32_e32 v124, v63, v64
	s_or_b32 s1, vcc_lo, s1
	s_delay_alu instid0(SALU_CYCLE_1)
	s_and_not1_b32 exec_lo, exec_lo, s1
	s_cbranch_execnz .LBB26_397
; %bb.398:
	s_or_b32 exec_lo, exec_lo, s1
.LBB26_399:
	s_delay_alu instid0(SALU_CYCLE_1)
	s_or_b32 exec_lo, exec_lo, s0
.LBB26_400:
	s_delay_alu instid0(SALU_CYCLE_1)
	s_or_b32 exec_lo, exec_lo, s4
	v_mov_b32_e32 v34, 0
	ds_load_b32 v34, v34
	s_wait_dscnt 0x0
	v_mul_f32_e32 v34, v124, v34
.LBB26_401:
	s_or_b32 exec_lo, exec_lo, s3
	s_delay_alu instid0(SALU_CYCLE_1)
	s_and_b32 vcc_lo, exec_lo, s2
	s_cbranch_vccz .LBB26_665
.LBB26_402:
	v_cmp_eq_u32_e64 s0, 0, v0
	s_wait_loadcnt 0x1a
	ds_store_b32 v123, v3
	s_wait_loadcnt_dscnt 0x0
	s_barrier_signal -1
	s_barrier_wait -1
	s_and_saveexec_b32 s1, s0
	s_cbranch_execz .LBB26_408
; %bb.403:
	s_and_b32 vcc_lo, exec_lo, s27
	s_cbranch_vccz .LBB26_405
; %bb.404:
	v_cmp_eq_u32_e32 vcc_lo, 1, v0
	ds_load_b32 v29, v123
	v_cndmask_b32_e32 v3, v2, v3, vcc_lo
	v_cmp_eq_u32_e32 vcc_lo, 2, v0
	s_delay_alu instid0(VALU_DEP_2) | instskip(SKIP_1) | instid1(VALU_DEP_2)
	v_cndmask_b32_e32 v3, v3, v4, vcc_lo
	v_cmp_eq_u32_e32 vcc_lo, 3, v0
	v_cndmask_b32_e32 v3, v3, v5, vcc_lo
	v_cmp_eq_u32_e32 vcc_lo, 4, v0
	s_delay_alu instid0(VALU_DEP_2) | instskip(SKIP_1) | instid1(VALU_DEP_2)
	v_cndmask_b32_e32 v3, v3, v6, vcc_lo
	v_cmp_eq_u32_e32 vcc_lo, 5, v0
	;; [unrolled: 5-line block ×12, first 2 shown]
	v_cndmask_b32_e32 v3, v3, v27, vcc_lo
	v_cmp_eq_u32_e32 vcc_lo, 26, v0
	s_delay_alu instid0(VALU_DEP_2) | instskip(SKIP_1) | instid1(VALU_DEP_1)
	v_cndmask_b32_e32 v3, v3, v28, vcc_lo
	s_wait_dscnt 0x0
	v_mul_f32_e32 v3, v3, v29
	s_cbranch_execz .LBB26_406
	s_branch .LBB26_407
.LBB26_405:
                                        ; implicit-def: $vgpr3
.LBB26_406:
	ds_load_b32 v3, v123
.LBB26_407:
	v_mov_b32_e32 v29, 0
	ds_load_b32 v29, v29 offset:4
	s_wait_dscnt 0x0
	v_mul_f32_e32 v3, v3, v29
.LBB26_408:
	s_or_b32 exec_lo, exec_lo, s1
	v_cndmask_b32_e64 v34, 0, 1, s27
	s_mov_b32 s1, exec_lo
	ds_store_b32 v123, v4
	s_wait_dscnt 0x0
	s_barrier_signal -1
	s_barrier_wait -1
	v_cmpx_gt_u32_e32 2, v0
	s_cbranch_execz .LBB26_414
; %bb.409:
	s_and_not1_b32 vcc_lo, exec_lo, s27
	s_cbranch_vccnz .LBB26_411
; %bb.410:
	v_cmp_eq_u32_e32 vcc_lo, 1, v0
	v_cndmask_b32_e32 v29, v2, v3, vcc_lo
	v_cmp_eq_u32_e32 vcc_lo, 2, v0
	s_delay_alu instid0(VALU_DEP_2) | instskip(SKIP_4) | instid1(VALU_DEP_2)
	v_cndmask_b32_e32 v4, v29, v4, vcc_lo
	v_cmp_eq_u32_e32 vcc_lo, 3, v0
	ds_load_b32 v29, v123
	v_cndmask_b32_e32 v4, v4, v5, vcc_lo
	v_cmp_eq_u32_e32 vcc_lo, 4, v0
	v_cndmask_b32_e32 v4, v4, v6, vcc_lo
	v_cmp_eq_u32_e32 vcc_lo, 5, v0
	s_delay_alu instid0(VALU_DEP_2) | instskip(SKIP_1) | instid1(VALU_DEP_2)
	v_cndmask_b32_e32 v4, v4, v7, vcc_lo
	v_cmp_eq_u32_e32 vcc_lo, 6, v0
	v_cndmask_b32_e32 v4, v4, v8, vcc_lo
	v_cmp_eq_u32_e32 vcc_lo, 7, v0
	s_delay_alu instid0(VALU_DEP_2) | instskip(SKIP_1) | instid1(VALU_DEP_2)
	;; [unrolled: 5-line block ×11, first 2 shown]
	v_cndmask_b32_e32 v4, v4, v27, vcc_lo
	v_cmp_eq_u32_e32 vcc_lo, 26, v0
	v_cndmask_b32_e32 v4, v4, v28, vcc_lo
	s_wait_dscnt 0x0
	s_delay_alu instid0(VALU_DEP_1)
	v_mul_f32_e32 v4, v4, v29
	s_cbranch_execz .LBB26_412
	s_branch .LBB26_413
.LBB26_411:
                                        ; implicit-def: $vgpr4
.LBB26_412:
	ds_load_b32 v4, v123
.LBB26_413:
	v_mov_b32_e32 v29, 0
	ds_load_2addr_b32 v[30:31], v29 offset0:2 offset1:29
	s_wait_dscnt 0x0
	v_fma_f32 v29, v3, v31, v4
	s_delay_alu instid0(VALU_DEP_1) | instskip(NEXT) | instid1(VALU_DEP_1)
	v_cndmask_b32_e64 v4, v4, v29, s0
	v_mul_f32_e32 v4, v4, v30
.LBB26_414:
	s_or_b32 exec_lo, exec_lo, s1
	v_add_nc_u32_e32 v35, 1, v0
	v_cmp_gt_u32_e64 s1, 3, v0
	ds_store_b32 v123, v5
	s_wait_dscnt 0x0
	s_barrier_signal -1
	s_barrier_wait -1
	s_and_saveexec_b32 s2, s1
	s_cbranch_execz .LBB26_422
; %bb.415:
	v_cmp_ne_u32_e32 vcc_lo, 1, v34
	s_cbranch_vccnz .LBB26_417
; %bb.416:
	v_cmp_eq_u32_e32 vcc_lo, 1, v0
	ds_load_b32 v30, v123
	v_cndmask_b32_e32 v29, v2, v3, vcc_lo
	v_cmp_eq_u32_e32 vcc_lo, 2, v0
	s_delay_alu instid0(VALU_DEP_2) | instskip(SKIP_1) | instid1(VALU_DEP_2)
	v_cndmask_b32_e32 v29, v29, v4, vcc_lo
	v_cmp_eq_u32_e32 vcc_lo, 3, v0
	v_cndmask_b32_e32 v29, v29, v5, vcc_lo
	v_cmp_eq_u32_e32 vcc_lo, 4, v0
	s_delay_alu instid0(VALU_DEP_2) | instskip(SKIP_1) | instid1(VALU_DEP_2)
	v_cndmask_b32_e32 v29, v29, v6, vcc_lo
	v_cmp_eq_u32_e32 vcc_lo, 5, v0
	;; [unrolled: 5-line block ×12, first 2 shown]
	v_cndmask_b32_e32 v29, v29, v27, vcc_lo
	v_cmp_eq_u32_e32 vcc_lo, 26, v0
	s_delay_alu instid0(VALU_DEP_2) | instskip(SKIP_1) | instid1(VALU_DEP_1)
	v_cndmask_b32_e32 v29, v29, v28, vcc_lo
	s_wait_dscnt 0x0
	v_mul_f32_e32 v29, v29, v30
	s_cbranch_execz .LBB26_418
	s_branch .LBB26_419
.LBB26_417:
                                        ; implicit-def: $vgpr29
.LBB26_418:
	ds_load_b32 v29, v123
.LBB26_419:
	s_mov_b32 s3, exec_lo
	v_cmpx_ne_u32_e32 2, v0
	s_cbranch_execz .LBB26_421
; %bb.420:
	v_cmp_eq_u32_e32 vcc_lo, 1, v35
	v_dual_mov_b32 v31, 0 :: v_dual_cndmask_b32 v30, v2, v3
	v_cmp_eq_u32_e32 vcc_lo, 2, v35
	ds_load_b32 v31, v31 offset:120
	v_cndmask_b32_e32 v30, v30, v4, vcc_lo
	v_cmp_eq_u32_e32 vcc_lo, 3, v35
	s_delay_alu instid0(VALU_DEP_2) | instskip(SKIP_4) | instid1(VALU_DEP_2)
	v_cndmask_b32_e32 v5, v30, v5, vcc_lo
	v_cmp_eq_u32_e32 vcc_lo, 4, v35
	ds_load_b32 v30, v123 offset:4
	v_cndmask_b32_e32 v5, v5, v6, vcc_lo
	v_cmp_eq_u32_e32 vcc_lo, 5, v35
	v_cndmask_b32_e32 v5, v5, v7, vcc_lo
	v_cmp_eq_u32_e32 vcc_lo, 6, v35
	s_delay_alu instid0(VALU_DEP_2) | instskip(SKIP_1) | instid1(VALU_DEP_2)
	v_cndmask_b32_e32 v5, v5, v8, vcc_lo
	v_cmp_eq_u32_e32 vcc_lo, 7, v35
	v_cndmask_b32_e32 v5, v5, v9, vcc_lo
	v_cmp_eq_u32_e32 vcc_lo, 8, v35
	s_delay_alu instid0(VALU_DEP_2) | instskip(SKIP_1) | instid1(VALU_DEP_2)
	;; [unrolled: 5-line block ×10, first 2 shown]
	v_cndmask_b32_e32 v5, v5, v26, vcc_lo
	v_cmp_eq_u32_e32 vcc_lo, 25, v35
	v_cndmask_b32_e32 v5, v5, v27, vcc_lo
	v_cmp_eq_u32_e32 vcc_lo, 26, v35
	s_delay_alu instid0(VALU_DEP_2) | instskip(SKIP_1) | instid1(VALU_DEP_1)
	v_cndmask_b32_e32 v5, v5, v28, vcc_lo
	s_wait_dscnt 0x0
	v_fmac_f32_e32 v29, v5, v30
	s_delay_alu instid0(VALU_DEP_1) | instskip(NEXT) | instid1(VALU_DEP_1)
	v_fma_f32 v5, v4, v31, v29
	v_cndmask_b32_e64 v29, v29, v5, s0
.LBB26_421:
	s_or_b32 exec_lo, exec_lo, s3
	v_mov_b32_e32 v5, 0
	ds_load_b32 v5, v5 offset:12
	s_wait_dscnt 0x0
	v_mul_f32_e32 v5, v29, v5
.LBB26_422:
	s_or_b32 exec_lo, exec_lo, s2
	s_delay_alu instid0(SALU_CYCLE_1)
	s_mov_b32 s2, exec_lo
	ds_store_b32 v123, v6
	s_wait_dscnt 0x0
	s_barrier_signal -1
	s_barrier_wait -1
	v_cmpx_gt_u32_e32 4, v0
	s_cbranch_execz .LBB26_432
; %bb.423:
	v_cmp_ne_u32_e32 vcc_lo, 1, v34
	s_cbranch_vccnz .LBB26_425
; %bb.424:
	v_cmp_eq_u32_e32 vcc_lo, 1, v0
	ds_load_b32 v30, v123
	v_cndmask_b32_e32 v29, v2, v3, vcc_lo
	v_cmp_eq_u32_e32 vcc_lo, 2, v0
	s_delay_alu instid0(VALU_DEP_2) | instskip(SKIP_1) | instid1(VALU_DEP_2)
	v_cndmask_b32_e32 v29, v29, v4, vcc_lo
	v_cmp_eq_u32_e32 vcc_lo, 3, v0
	v_cndmask_b32_e32 v29, v29, v5, vcc_lo
	v_cmp_eq_u32_e32 vcc_lo, 4, v0
	s_delay_alu instid0(VALU_DEP_2) | instskip(SKIP_1) | instid1(VALU_DEP_2)
	v_cndmask_b32_e32 v29, v29, v6, vcc_lo
	v_cmp_eq_u32_e32 vcc_lo, 5, v0
	v_cndmask_b32_e32 v29, v29, v7, vcc_lo
	v_cmp_eq_u32_e32 vcc_lo, 6, v0
	s_delay_alu instid0(VALU_DEP_2) | instskip(SKIP_1) | instid1(VALU_DEP_2)
	v_cndmask_b32_e32 v29, v29, v8, vcc_lo
	v_cmp_eq_u32_e32 vcc_lo, 7, v0
	v_cndmask_b32_e32 v29, v29, v9, vcc_lo
	v_cmp_eq_u32_e32 vcc_lo, 8, v0
	s_delay_alu instid0(VALU_DEP_2) | instskip(SKIP_1) | instid1(VALU_DEP_2)
	v_cndmask_b32_e32 v29, v29, v10, vcc_lo
	v_cmp_eq_u32_e32 vcc_lo, 9, v0
	v_cndmask_b32_e32 v29, v29, v11, vcc_lo
	v_cmp_eq_u32_e32 vcc_lo, 10, v0
	s_delay_alu instid0(VALU_DEP_2) | instskip(SKIP_1) | instid1(VALU_DEP_2)
	v_cndmask_b32_e32 v29, v29, v12, vcc_lo
	v_cmp_eq_u32_e32 vcc_lo, 11, v0
	v_cndmask_b32_e32 v29, v29, v13, vcc_lo
	v_cmp_eq_u32_e32 vcc_lo, 12, v0
	s_delay_alu instid0(VALU_DEP_2) | instskip(SKIP_1) | instid1(VALU_DEP_2)
	v_cndmask_b32_e32 v29, v29, v14, vcc_lo
	v_cmp_eq_u32_e32 vcc_lo, 13, v0
	v_cndmask_b32_e32 v29, v29, v15, vcc_lo
	v_cmp_eq_u32_e32 vcc_lo, 14, v0
	s_delay_alu instid0(VALU_DEP_2) | instskip(SKIP_1) | instid1(VALU_DEP_2)
	v_cndmask_b32_e32 v29, v29, v16, vcc_lo
	v_cmp_eq_u32_e32 vcc_lo, 15, v0
	v_cndmask_b32_e32 v29, v29, v17, vcc_lo
	v_cmp_eq_u32_e32 vcc_lo, 16, v0
	s_delay_alu instid0(VALU_DEP_2) | instskip(SKIP_1) | instid1(VALU_DEP_2)
	v_cndmask_b32_e32 v29, v29, v18, vcc_lo
	v_cmp_eq_u32_e32 vcc_lo, 17, v0
	v_cndmask_b32_e32 v29, v29, v19, vcc_lo
	v_cmp_eq_u32_e32 vcc_lo, 18, v0
	s_delay_alu instid0(VALU_DEP_2) | instskip(SKIP_1) | instid1(VALU_DEP_2)
	v_cndmask_b32_e32 v29, v29, v20, vcc_lo
	v_cmp_eq_u32_e32 vcc_lo, 19, v0
	v_cndmask_b32_e32 v29, v29, v21, vcc_lo
	v_cmp_eq_u32_e32 vcc_lo, 20, v0
	s_delay_alu instid0(VALU_DEP_2) | instskip(SKIP_1) | instid1(VALU_DEP_2)
	v_cndmask_b32_e32 v29, v29, v22, vcc_lo
	v_cmp_eq_u32_e32 vcc_lo, 21, v0
	v_cndmask_b32_e32 v29, v29, v23, vcc_lo
	v_cmp_eq_u32_e32 vcc_lo, 22, v0
	s_delay_alu instid0(VALU_DEP_2) | instskip(SKIP_1) | instid1(VALU_DEP_2)
	v_cndmask_b32_e32 v29, v29, v24, vcc_lo
	v_cmp_eq_u32_e32 vcc_lo, 23, v0
	v_cndmask_b32_e32 v29, v29, v25, vcc_lo
	v_cmp_eq_u32_e32 vcc_lo, 24, v0
	s_delay_alu instid0(VALU_DEP_2) | instskip(SKIP_1) | instid1(VALU_DEP_2)
	v_cndmask_b32_e32 v29, v29, v26, vcc_lo
	v_cmp_eq_u32_e32 vcc_lo, 25, v0
	v_cndmask_b32_e32 v29, v29, v27, vcc_lo
	v_cmp_eq_u32_e32 vcc_lo, 26, v0
	s_delay_alu instid0(VALU_DEP_2) | instskip(SKIP_1) | instid1(VALU_DEP_1)
	v_cndmask_b32_e32 v29, v29, v28, vcc_lo
	s_wait_dscnt 0x0
	v_mul_f32_e32 v29, v29, v30
	s_cbranch_execz .LBB26_426
	s_branch .LBB26_427
.LBB26_425:
                                        ; implicit-def: $vgpr29
.LBB26_426:
	ds_load_b32 v29, v123
.LBB26_427:
	s_mov_b32 s3, exec_lo
	v_cmpx_ne_u32_e32 3, v0
	s_cbranch_execz .LBB26_431
; %bb.428:
	v_mov_b64_e32 v[30:31], v[0:1]
	v_lshl_add_u32 v32, v0, 2, 0x74
	s_mov_b32 s4, 0
.LBB26_429:                             ; =>This Inner Loop Header: Depth=1
	s_delay_alu instid0(VALU_DEP_2)
	v_add_nc_u64_e32 v[30:31], 1, v[30:31]
	ds_load_b32 v36, v32
	v_add_nc_u32_e32 v32, 4, v32
	v_cmp_eq_u32_e32 vcc_lo, 1, v30
	v_cndmask_b32_e32 v33, v2, v3, vcc_lo
	v_cmp_eq_u32_e32 vcc_lo, 2, v30
	s_delay_alu instid0(VALU_DEP_2) | instskip(SKIP_1) | instid1(VALU_DEP_2)
	v_cndmask_b32_e32 v33, v33, v4, vcc_lo
	v_cmp_eq_u32_e32 vcc_lo, 3, v30
	v_cndmask_b32_e32 v33, v33, v5, vcc_lo
	v_cmp_eq_u32_e32 vcc_lo, 4, v30
	s_delay_alu instid0(VALU_DEP_2) | instskip(SKIP_1) | instid1(VALU_DEP_2)
	v_cndmask_b32_e32 v33, v33, v6, vcc_lo
	;; [unrolled: 5-line block ×12, first 2 shown]
	v_cmp_eq_u32_e32 vcc_lo, 25, v30
	v_cndmask_b32_e32 v33, v33, v27, vcc_lo
	v_cmp_eq_u32_e32 vcc_lo, 26, v30
	s_delay_alu instid0(VALU_DEP_2) | instskip(SKIP_2) | instid1(VALU_DEP_2)
	v_cndmask_b32_e32 v33, v33, v28, vcc_lo
	v_cmp_lt_u32_e32 vcc_lo, 2, v30
	s_wait_dscnt 0x0
	v_fmac_f32_e32 v29, v33, v36
	s_or_b32 s4, vcc_lo, s4
	s_delay_alu instid0(SALU_CYCLE_1)
	s_and_not1_b32 exec_lo, exec_lo, s4
	s_cbranch_execnz .LBB26_429
; %bb.430:
	s_or_b32 exec_lo, exec_lo, s4
.LBB26_431:
	s_delay_alu instid0(SALU_CYCLE_1)
	s_or_b32 exec_lo, exec_lo, s3
	v_mov_b32_e32 v6, 0
	ds_load_b32 v6, v6 offset:16
	s_wait_dscnt 0x0
	v_mul_f32_e32 v6, v29, v6
.LBB26_432:
	s_or_b32 exec_lo, exec_lo, s2
	v_cmp_gt_u32_e64 s2, 5, v0
	ds_store_b32 v123, v7
	s_wait_dscnt 0x0
	s_barrier_signal -1
	s_barrier_wait -1
	s_and_saveexec_b32 s3, s2
	s_cbranch_execz .LBB26_442
; %bb.433:
	v_cmp_ne_u32_e32 vcc_lo, 1, v34
	s_cbranch_vccnz .LBB26_435
; %bb.434:
	v_cmp_eq_u32_e32 vcc_lo, 1, v0
	ds_load_b32 v30, v123
	v_cndmask_b32_e32 v29, v2, v3, vcc_lo
	v_cmp_eq_u32_e32 vcc_lo, 2, v0
	s_delay_alu instid0(VALU_DEP_2) | instskip(SKIP_1) | instid1(VALU_DEP_2)
	v_cndmask_b32_e32 v29, v29, v4, vcc_lo
	v_cmp_eq_u32_e32 vcc_lo, 3, v0
	v_cndmask_b32_e32 v29, v29, v5, vcc_lo
	v_cmp_eq_u32_e32 vcc_lo, 4, v0
	s_delay_alu instid0(VALU_DEP_2) | instskip(SKIP_1) | instid1(VALU_DEP_2)
	v_cndmask_b32_e32 v29, v29, v6, vcc_lo
	v_cmp_eq_u32_e32 vcc_lo, 5, v0
	;; [unrolled: 5-line block ×12, first 2 shown]
	v_cndmask_b32_e32 v29, v29, v27, vcc_lo
	v_cmp_eq_u32_e32 vcc_lo, 26, v0
	s_delay_alu instid0(VALU_DEP_2) | instskip(SKIP_1) | instid1(VALU_DEP_1)
	v_cndmask_b32_e32 v29, v29, v28, vcc_lo
	s_wait_dscnt 0x0
	v_mul_f32_e32 v29, v29, v30
	s_cbranch_execz .LBB26_436
	s_branch .LBB26_437
.LBB26_435:
                                        ; implicit-def: $vgpr29
.LBB26_436:
	ds_load_b32 v29, v123
.LBB26_437:
	s_mov_b32 s4, exec_lo
	v_cmpx_ne_u32_e32 4, v0
	s_cbranch_execz .LBB26_441
; %bb.438:
	v_mov_b64_e32 v[30:31], v[0:1]
	v_lshl_add_u32 v32, v0, 2, 0x74
	s_mov_b32 s5, 0
.LBB26_439:                             ; =>This Inner Loop Header: Depth=1
	s_delay_alu instid0(VALU_DEP_2)
	v_add_nc_u64_e32 v[30:31], 1, v[30:31]
	ds_load_b32 v36, v32
	v_add_nc_u32_e32 v32, 4, v32
	v_cmp_eq_u32_e32 vcc_lo, 1, v30
	v_cndmask_b32_e32 v33, v2, v3, vcc_lo
	v_cmp_eq_u32_e32 vcc_lo, 2, v30
	s_delay_alu instid0(VALU_DEP_2) | instskip(SKIP_1) | instid1(VALU_DEP_2)
	v_cndmask_b32_e32 v33, v33, v4, vcc_lo
	v_cmp_eq_u32_e32 vcc_lo, 3, v30
	v_cndmask_b32_e32 v33, v33, v5, vcc_lo
	v_cmp_eq_u32_e32 vcc_lo, 4, v30
	s_delay_alu instid0(VALU_DEP_2) | instskip(SKIP_1) | instid1(VALU_DEP_2)
	v_cndmask_b32_e32 v33, v33, v6, vcc_lo
	;; [unrolled: 5-line block ×12, first 2 shown]
	v_cmp_eq_u32_e32 vcc_lo, 25, v30
	v_cndmask_b32_e32 v33, v33, v27, vcc_lo
	v_cmp_eq_u32_e32 vcc_lo, 26, v30
	s_delay_alu instid0(VALU_DEP_2) | instskip(SKIP_2) | instid1(VALU_DEP_2)
	v_cndmask_b32_e32 v33, v33, v28, vcc_lo
	v_cmp_lt_u32_e32 vcc_lo, 3, v30
	s_wait_dscnt 0x0
	v_fmac_f32_e32 v29, v33, v36
	s_or_b32 s5, vcc_lo, s5
	s_delay_alu instid0(SALU_CYCLE_1)
	s_and_not1_b32 exec_lo, exec_lo, s5
	s_cbranch_execnz .LBB26_439
; %bb.440:
	s_or_b32 exec_lo, exec_lo, s5
.LBB26_441:
	s_delay_alu instid0(SALU_CYCLE_1)
	s_or_b32 exec_lo, exec_lo, s4
	v_mov_b32_e32 v7, 0
	ds_load_b32 v7, v7 offset:20
	s_wait_dscnt 0x0
	v_mul_f32_e32 v7, v29, v7
.LBB26_442:
	s_or_b32 exec_lo, exec_lo, s3
	s_delay_alu instid0(SALU_CYCLE_1)
	s_mov_b32 s3, exec_lo
	ds_store_b32 v123, v8
	s_wait_dscnt 0x0
	s_barrier_signal -1
	s_barrier_wait -1
	v_cmpx_gt_u32_e32 6, v0
	s_cbranch_execz .LBB26_452
; %bb.443:
	v_cmp_ne_u32_e32 vcc_lo, 1, v34
	s_cbranch_vccnz .LBB26_445
; %bb.444:
	v_cmp_eq_u32_e32 vcc_lo, 1, v0
	ds_load_b32 v30, v123
	v_cndmask_b32_e32 v29, v2, v3, vcc_lo
	v_cmp_eq_u32_e32 vcc_lo, 2, v0
	s_delay_alu instid0(VALU_DEP_2) | instskip(SKIP_1) | instid1(VALU_DEP_2)
	v_cndmask_b32_e32 v29, v29, v4, vcc_lo
	v_cmp_eq_u32_e32 vcc_lo, 3, v0
	v_cndmask_b32_e32 v29, v29, v5, vcc_lo
	v_cmp_eq_u32_e32 vcc_lo, 4, v0
	s_delay_alu instid0(VALU_DEP_2) | instskip(SKIP_1) | instid1(VALU_DEP_2)
	v_cndmask_b32_e32 v29, v29, v6, vcc_lo
	v_cmp_eq_u32_e32 vcc_lo, 5, v0
	;; [unrolled: 5-line block ×12, first 2 shown]
	v_cndmask_b32_e32 v29, v29, v27, vcc_lo
	v_cmp_eq_u32_e32 vcc_lo, 26, v0
	s_delay_alu instid0(VALU_DEP_2) | instskip(SKIP_1) | instid1(VALU_DEP_1)
	v_cndmask_b32_e32 v29, v29, v28, vcc_lo
	s_wait_dscnt 0x0
	v_mul_f32_e32 v29, v29, v30
	s_cbranch_execz .LBB26_446
	s_branch .LBB26_447
.LBB26_445:
                                        ; implicit-def: $vgpr29
.LBB26_446:
	ds_load_b32 v29, v123
.LBB26_447:
	s_mov_b32 s4, exec_lo
	v_cmpx_ne_u32_e32 5, v0
	s_cbranch_execz .LBB26_451
; %bb.448:
	v_mov_b64_e32 v[30:31], v[0:1]
	v_lshl_add_u32 v32, v0, 2, 0x74
	s_mov_b32 s5, 0
.LBB26_449:                             ; =>This Inner Loop Header: Depth=1
	s_delay_alu instid0(VALU_DEP_2)
	v_add_nc_u64_e32 v[30:31], 1, v[30:31]
	ds_load_b32 v36, v32
	v_add_nc_u32_e32 v32, 4, v32
	v_cmp_eq_u32_e32 vcc_lo, 1, v30
	v_cndmask_b32_e32 v33, v2, v3, vcc_lo
	v_cmp_eq_u32_e32 vcc_lo, 2, v30
	s_delay_alu instid0(VALU_DEP_2) | instskip(SKIP_1) | instid1(VALU_DEP_2)
	v_cndmask_b32_e32 v33, v33, v4, vcc_lo
	v_cmp_eq_u32_e32 vcc_lo, 3, v30
	v_cndmask_b32_e32 v33, v33, v5, vcc_lo
	v_cmp_eq_u32_e32 vcc_lo, 4, v30
	s_delay_alu instid0(VALU_DEP_2) | instskip(SKIP_1) | instid1(VALU_DEP_2)
	v_cndmask_b32_e32 v33, v33, v6, vcc_lo
	;; [unrolled: 5-line block ×12, first 2 shown]
	v_cmp_eq_u32_e32 vcc_lo, 25, v30
	v_cndmask_b32_e32 v33, v33, v27, vcc_lo
	v_cmp_eq_u32_e32 vcc_lo, 26, v30
	s_delay_alu instid0(VALU_DEP_2) | instskip(SKIP_2) | instid1(VALU_DEP_2)
	v_cndmask_b32_e32 v33, v33, v28, vcc_lo
	v_cmp_lt_u32_e32 vcc_lo, 4, v30
	s_wait_dscnt 0x0
	v_fmac_f32_e32 v29, v33, v36
	s_or_b32 s5, vcc_lo, s5
	s_delay_alu instid0(SALU_CYCLE_1)
	s_and_not1_b32 exec_lo, exec_lo, s5
	s_cbranch_execnz .LBB26_449
; %bb.450:
	s_or_b32 exec_lo, exec_lo, s5
.LBB26_451:
	s_delay_alu instid0(SALU_CYCLE_1)
	s_or_b32 exec_lo, exec_lo, s4
	v_mov_b32_e32 v8, 0
	ds_load_b32 v8, v8 offset:24
	s_wait_dscnt 0x0
	v_mul_f32_e32 v8, v29, v8
.LBB26_452:
	s_or_b32 exec_lo, exec_lo, s3
	v_cmp_gt_u32_e64 s3, 7, v0
	ds_store_b32 v123, v9
	s_wait_dscnt 0x0
	s_barrier_signal -1
	s_barrier_wait -1
	s_and_saveexec_b32 s4, s3
	s_cbranch_execz .LBB26_462
; %bb.453:
	v_cmp_ne_u32_e32 vcc_lo, 1, v34
	s_cbranch_vccnz .LBB26_455
; %bb.454:
	v_cmp_eq_u32_e32 vcc_lo, 1, v0
	ds_load_b32 v30, v123
	v_cndmask_b32_e32 v29, v2, v3, vcc_lo
	v_cmp_eq_u32_e32 vcc_lo, 2, v0
	s_delay_alu instid0(VALU_DEP_2) | instskip(SKIP_1) | instid1(VALU_DEP_2)
	v_cndmask_b32_e32 v29, v29, v4, vcc_lo
	v_cmp_eq_u32_e32 vcc_lo, 3, v0
	v_cndmask_b32_e32 v29, v29, v5, vcc_lo
	v_cmp_eq_u32_e32 vcc_lo, 4, v0
	s_delay_alu instid0(VALU_DEP_2) | instskip(SKIP_1) | instid1(VALU_DEP_2)
	v_cndmask_b32_e32 v29, v29, v6, vcc_lo
	v_cmp_eq_u32_e32 vcc_lo, 5, v0
	;; [unrolled: 5-line block ×12, first 2 shown]
	v_cndmask_b32_e32 v29, v29, v27, vcc_lo
	v_cmp_eq_u32_e32 vcc_lo, 26, v0
	s_delay_alu instid0(VALU_DEP_2) | instskip(SKIP_1) | instid1(VALU_DEP_1)
	v_cndmask_b32_e32 v29, v29, v28, vcc_lo
	s_wait_dscnt 0x0
	v_mul_f32_e32 v29, v29, v30
	s_cbranch_execz .LBB26_456
	s_branch .LBB26_457
.LBB26_455:
                                        ; implicit-def: $vgpr29
.LBB26_456:
	ds_load_b32 v29, v123
.LBB26_457:
	s_mov_b32 s5, exec_lo
	v_cmpx_ne_u32_e32 6, v0
	s_cbranch_execz .LBB26_461
; %bb.458:
	v_mov_b64_e32 v[30:31], v[0:1]
	v_lshl_add_u32 v32, v0, 2, 0x74
	s_mov_b32 s6, 0
.LBB26_459:                             ; =>This Inner Loop Header: Depth=1
	s_delay_alu instid0(VALU_DEP_2)
	v_add_nc_u64_e32 v[30:31], 1, v[30:31]
	ds_load_b32 v36, v32
	v_add_nc_u32_e32 v32, 4, v32
	v_cmp_eq_u32_e32 vcc_lo, 1, v30
	v_cndmask_b32_e32 v33, v2, v3, vcc_lo
	v_cmp_eq_u32_e32 vcc_lo, 2, v30
	s_delay_alu instid0(VALU_DEP_2) | instskip(SKIP_1) | instid1(VALU_DEP_2)
	v_cndmask_b32_e32 v33, v33, v4, vcc_lo
	v_cmp_eq_u32_e32 vcc_lo, 3, v30
	v_cndmask_b32_e32 v33, v33, v5, vcc_lo
	v_cmp_eq_u32_e32 vcc_lo, 4, v30
	s_delay_alu instid0(VALU_DEP_2) | instskip(SKIP_1) | instid1(VALU_DEP_2)
	v_cndmask_b32_e32 v33, v33, v6, vcc_lo
	;; [unrolled: 5-line block ×12, first 2 shown]
	v_cmp_eq_u32_e32 vcc_lo, 25, v30
	v_cndmask_b32_e32 v33, v33, v27, vcc_lo
	v_cmp_eq_u32_e32 vcc_lo, 26, v30
	s_delay_alu instid0(VALU_DEP_2) | instskip(SKIP_2) | instid1(VALU_DEP_2)
	v_cndmask_b32_e32 v33, v33, v28, vcc_lo
	v_cmp_lt_u32_e32 vcc_lo, 5, v30
	s_wait_dscnt 0x0
	v_fmac_f32_e32 v29, v33, v36
	s_or_b32 s6, vcc_lo, s6
	s_delay_alu instid0(SALU_CYCLE_1)
	s_and_not1_b32 exec_lo, exec_lo, s6
	s_cbranch_execnz .LBB26_459
; %bb.460:
	s_or_b32 exec_lo, exec_lo, s6
.LBB26_461:
	s_delay_alu instid0(SALU_CYCLE_1)
	s_or_b32 exec_lo, exec_lo, s5
	v_mov_b32_e32 v9, 0
	ds_load_b32 v9, v9 offset:28
	s_wait_dscnt 0x0
	v_mul_f32_e32 v9, v29, v9
.LBB26_462:
	s_or_b32 exec_lo, exec_lo, s4
	s_delay_alu instid0(SALU_CYCLE_1)
	s_mov_b32 s4, exec_lo
	ds_store_b32 v123, v10
	s_wait_dscnt 0x0
	s_barrier_signal -1
	s_barrier_wait -1
	v_cmpx_gt_u32_e32 8, v0
	s_cbranch_execz .LBB26_472
; %bb.463:
	v_cmp_ne_u32_e32 vcc_lo, 1, v34
	s_cbranch_vccnz .LBB26_465
; %bb.464:
	v_cmp_eq_u32_e32 vcc_lo, 1, v0
	ds_load_b32 v30, v123
	v_cndmask_b32_e32 v29, v2, v3, vcc_lo
	v_cmp_eq_u32_e32 vcc_lo, 2, v0
	s_delay_alu instid0(VALU_DEP_2) | instskip(SKIP_1) | instid1(VALU_DEP_2)
	v_cndmask_b32_e32 v29, v29, v4, vcc_lo
	v_cmp_eq_u32_e32 vcc_lo, 3, v0
	v_cndmask_b32_e32 v29, v29, v5, vcc_lo
	v_cmp_eq_u32_e32 vcc_lo, 4, v0
	s_delay_alu instid0(VALU_DEP_2) | instskip(SKIP_1) | instid1(VALU_DEP_2)
	v_cndmask_b32_e32 v29, v29, v6, vcc_lo
	v_cmp_eq_u32_e32 vcc_lo, 5, v0
	;; [unrolled: 5-line block ×12, first 2 shown]
	v_cndmask_b32_e32 v29, v29, v27, vcc_lo
	v_cmp_eq_u32_e32 vcc_lo, 26, v0
	s_delay_alu instid0(VALU_DEP_2) | instskip(SKIP_1) | instid1(VALU_DEP_1)
	v_cndmask_b32_e32 v29, v29, v28, vcc_lo
	s_wait_dscnt 0x0
	v_mul_f32_e32 v29, v29, v30
	s_cbranch_execz .LBB26_466
	s_branch .LBB26_467
.LBB26_465:
                                        ; implicit-def: $vgpr29
.LBB26_466:
	ds_load_b32 v29, v123
.LBB26_467:
	s_mov_b32 s5, exec_lo
	v_cmpx_ne_u32_e32 7, v0
	s_cbranch_execz .LBB26_471
; %bb.468:
	v_mov_b64_e32 v[30:31], v[0:1]
	v_lshl_add_u32 v32, v0, 2, 0x74
	s_mov_b32 s6, 0
.LBB26_469:                             ; =>This Inner Loop Header: Depth=1
	s_delay_alu instid0(VALU_DEP_2)
	v_add_nc_u64_e32 v[30:31], 1, v[30:31]
	ds_load_b32 v36, v32
	v_add_nc_u32_e32 v32, 4, v32
	v_cmp_eq_u32_e32 vcc_lo, 1, v30
	v_cndmask_b32_e32 v33, v2, v3, vcc_lo
	v_cmp_eq_u32_e32 vcc_lo, 2, v30
	s_delay_alu instid0(VALU_DEP_2) | instskip(SKIP_1) | instid1(VALU_DEP_2)
	v_cndmask_b32_e32 v33, v33, v4, vcc_lo
	v_cmp_eq_u32_e32 vcc_lo, 3, v30
	v_cndmask_b32_e32 v33, v33, v5, vcc_lo
	v_cmp_eq_u32_e32 vcc_lo, 4, v30
	s_delay_alu instid0(VALU_DEP_2) | instskip(SKIP_1) | instid1(VALU_DEP_2)
	v_cndmask_b32_e32 v33, v33, v6, vcc_lo
	v_cmp_eq_u32_e32 vcc_lo, 5, v30
	v_cndmask_b32_e32 v33, v33, v7, vcc_lo
	v_cmp_eq_u32_e32 vcc_lo, 6, v30
	s_delay_alu instid0(VALU_DEP_2) | instskip(SKIP_1) | instid1(VALU_DEP_2)
	v_cndmask_b32_e32 v33, v33, v8, vcc_lo
	v_cmp_eq_u32_e32 vcc_lo, 7, v30
	v_cndmask_b32_e32 v33, v33, v9, vcc_lo
	v_cmp_eq_u32_e32 vcc_lo, 8, v30
	s_delay_alu instid0(VALU_DEP_2) | instskip(SKIP_1) | instid1(VALU_DEP_2)
	v_cndmask_b32_e32 v33, v33, v10, vcc_lo
	v_cmp_eq_u32_e32 vcc_lo, 9, v30
	v_cndmask_b32_e32 v33, v33, v11, vcc_lo
	v_cmp_eq_u32_e32 vcc_lo, 10, v30
	s_delay_alu instid0(VALU_DEP_2) | instskip(SKIP_1) | instid1(VALU_DEP_2)
	v_cndmask_b32_e32 v33, v33, v12, vcc_lo
	v_cmp_eq_u32_e32 vcc_lo, 11, v30
	v_cndmask_b32_e32 v33, v33, v13, vcc_lo
	v_cmp_eq_u32_e32 vcc_lo, 12, v30
	s_delay_alu instid0(VALU_DEP_2) | instskip(SKIP_1) | instid1(VALU_DEP_2)
	v_cndmask_b32_e32 v33, v33, v14, vcc_lo
	v_cmp_eq_u32_e32 vcc_lo, 13, v30
	v_cndmask_b32_e32 v33, v33, v15, vcc_lo
	v_cmp_eq_u32_e32 vcc_lo, 14, v30
	s_delay_alu instid0(VALU_DEP_2) | instskip(SKIP_1) | instid1(VALU_DEP_2)
	v_cndmask_b32_e32 v33, v33, v16, vcc_lo
	v_cmp_eq_u32_e32 vcc_lo, 15, v30
	v_cndmask_b32_e32 v33, v33, v17, vcc_lo
	v_cmp_eq_u32_e32 vcc_lo, 16, v30
	s_delay_alu instid0(VALU_DEP_2) | instskip(SKIP_1) | instid1(VALU_DEP_2)
	v_cndmask_b32_e32 v33, v33, v18, vcc_lo
	v_cmp_eq_u32_e32 vcc_lo, 17, v30
	v_cndmask_b32_e32 v33, v33, v19, vcc_lo
	v_cmp_eq_u32_e32 vcc_lo, 18, v30
	s_delay_alu instid0(VALU_DEP_2) | instskip(SKIP_1) | instid1(VALU_DEP_2)
	v_cndmask_b32_e32 v33, v33, v20, vcc_lo
	v_cmp_eq_u32_e32 vcc_lo, 19, v30
	v_cndmask_b32_e32 v33, v33, v21, vcc_lo
	v_cmp_eq_u32_e32 vcc_lo, 20, v30
	s_delay_alu instid0(VALU_DEP_2) | instskip(SKIP_1) | instid1(VALU_DEP_2)
	v_cndmask_b32_e32 v33, v33, v22, vcc_lo
	v_cmp_eq_u32_e32 vcc_lo, 21, v30
	v_cndmask_b32_e32 v33, v33, v23, vcc_lo
	v_cmp_eq_u32_e32 vcc_lo, 22, v30
	s_delay_alu instid0(VALU_DEP_2) | instskip(SKIP_1) | instid1(VALU_DEP_2)
	v_cndmask_b32_e32 v33, v33, v24, vcc_lo
	v_cmp_eq_u32_e32 vcc_lo, 23, v30
	v_cndmask_b32_e32 v33, v33, v25, vcc_lo
	v_cmp_eq_u32_e32 vcc_lo, 24, v30
	s_delay_alu instid0(VALU_DEP_2) | instskip(SKIP_1) | instid1(VALU_DEP_2)
	v_cndmask_b32_e32 v33, v33, v26, vcc_lo
	v_cmp_eq_u32_e32 vcc_lo, 25, v30
	v_cndmask_b32_e32 v33, v33, v27, vcc_lo
	v_cmp_eq_u32_e32 vcc_lo, 26, v30
	s_delay_alu instid0(VALU_DEP_2) | instskip(SKIP_2) | instid1(VALU_DEP_2)
	v_cndmask_b32_e32 v33, v33, v28, vcc_lo
	v_cmp_lt_u32_e32 vcc_lo, 6, v30
	s_wait_dscnt 0x0
	v_fmac_f32_e32 v29, v33, v36
	s_or_b32 s6, vcc_lo, s6
	s_delay_alu instid0(SALU_CYCLE_1)
	s_and_not1_b32 exec_lo, exec_lo, s6
	s_cbranch_execnz .LBB26_469
; %bb.470:
	s_or_b32 exec_lo, exec_lo, s6
.LBB26_471:
	s_delay_alu instid0(SALU_CYCLE_1)
	s_or_b32 exec_lo, exec_lo, s5
	v_mov_b32_e32 v10, 0
	ds_load_b32 v10, v10 offset:32
	s_wait_dscnt 0x0
	v_mul_f32_e32 v10, v29, v10
.LBB26_472:
	s_or_b32 exec_lo, exec_lo, s4
	s_delay_alu instid0(SALU_CYCLE_1)
	s_mov_b32 s4, exec_lo
	ds_store_b32 v123, v11
	s_wait_dscnt 0x0
	s_barrier_signal -1
	s_barrier_wait -1
	v_cmpx_gt_u32_e32 9, v0
	s_cbranch_execz .LBB26_494
; %bb.473:
	v_cmp_ne_u32_e32 vcc_lo, 1, v34
	s_cbranch_vccnz .LBB26_475
; %bb.474:
	v_cmp_eq_u32_e32 vcc_lo, 1, v0
	ds_load_b32 v30, v123
	v_cndmask_b32_e32 v29, v2, v3, vcc_lo
	v_cmp_eq_u32_e32 vcc_lo, 2, v0
	s_delay_alu instid0(VALU_DEP_2) | instskip(SKIP_1) | instid1(VALU_DEP_2)
	v_cndmask_b32_e32 v29, v29, v4, vcc_lo
	v_cmp_eq_u32_e32 vcc_lo, 3, v0
	v_cndmask_b32_e32 v29, v29, v5, vcc_lo
	v_cmp_eq_u32_e32 vcc_lo, 4, v0
	s_delay_alu instid0(VALU_DEP_2) | instskip(SKIP_1) | instid1(VALU_DEP_2)
	v_cndmask_b32_e32 v29, v29, v6, vcc_lo
	v_cmp_eq_u32_e32 vcc_lo, 5, v0
	;; [unrolled: 5-line block ×12, first 2 shown]
	v_cndmask_b32_e32 v29, v29, v27, vcc_lo
	v_cmp_eq_u32_e32 vcc_lo, 26, v0
	s_delay_alu instid0(VALU_DEP_2) | instskip(SKIP_1) | instid1(VALU_DEP_1)
	v_cndmask_b32_e32 v29, v29, v28, vcc_lo
	s_wait_dscnt 0x0
	v_mul_f32_e32 v29, v29, v30
	s_cbranch_execz .LBB26_476
	s_branch .LBB26_477
.LBB26_475:
                                        ; implicit-def: $vgpr29
.LBB26_476:
	ds_load_b32 v29, v123
.LBB26_477:
	s_mov_b32 s5, exec_lo
	v_cmpx_ne_u32_e32 8, v0
	s_cbranch_execz .LBB26_493
; %bb.478:
	v_cmp_eq_u32_e32 vcc_lo, 1, v35
	ds_load_b32 v31, v123 offset:4
	v_cndmask_b32_e32 v30, v2, v3, vcc_lo
	v_cmp_eq_u32_e32 vcc_lo, 2, v35
	s_delay_alu instid0(VALU_DEP_2) | instskip(SKIP_1) | instid1(VALU_DEP_2)
	v_cndmask_b32_e32 v30, v30, v4, vcc_lo
	v_cmp_eq_u32_e32 vcc_lo, 3, v35
	v_cndmask_b32_e32 v30, v30, v5, vcc_lo
	v_cmp_eq_u32_e32 vcc_lo, 4, v35
	s_delay_alu instid0(VALU_DEP_2) | instskip(SKIP_1) | instid1(VALU_DEP_2)
	v_cndmask_b32_e32 v30, v30, v6, vcc_lo
	v_cmp_eq_u32_e32 vcc_lo, 5, v35
	;; [unrolled: 5-line block ×12, first 2 shown]
	v_cndmask_b32_e32 v30, v30, v27, vcc_lo
	v_cmp_eq_u32_e32 vcc_lo, 26, v35
	s_delay_alu instid0(VALU_DEP_2) | instskip(SKIP_1) | instid1(VALU_DEP_1)
	v_cndmask_b32_e32 v30, v30, v28, vcc_lo
	s_wait_dscnt 0x0
	v_fmac_f32_e32 v29, v30, v31
	s_and_saveexec_b32 s6, s3
	s_cbranch_execz .LBB26_492
; %bb.479:
	v_add_nc_u32_e32 v30, 2, v0
	ds_load_b32 v32, v123 offset:8
	s_mov_b32 s3, exec_lo
	v_cmp_eq_u32_e32 vcc_lo, 1, v30
	v_cndmask_b32_e32 v31, v2, v3, vcc_lo
	v_cmp_eq_u32_e32 vcc_lo, 2, v30
	s_delay_alu instid0(VALU_DEP_2) | instskip(SKIP_1) | instid1(VALU_DEP_2)
	v_cndmask_b32_e32 v31, v31, v4, vcc_lo
	v_cmp_eq_u32_e32 vcc_lo, 3, v30
	v_cndmask_b32_e32 v31, v31, v5, vcc_lo
	v_cmp_eq_u32_e32 vcc_lo, 4, v30
	s_delay_alu instid0(VALU_DEP_2) | instskip(SKIP_1) | instid1(VALU_DEP_2)
	v_cndmask_b32_e32 v31, v31, v6, vcc_lo
	;; [unrolled: 5-line block ×12, first 2 shown]
	v_cmp_eq_u32_e32 vcc_lo, 25, v30
	v_cndmask_b32_e32 v31, v31, v27, vcc_lo
	v_cmp_eq_u32_e32 vcc_lo, 26, v30
	s_delay_alu instid0(VALU_DEP_2) | instskip(SKIP_1) | instid1(VALU_DEP_1)
	v_cndmask_b32_e32 v30, v31, v28, vcc_lo
	s_wait_dscnt 0x0
	v_fmac_f32_e32 v29, v30, v32
	v_cmpx_ne_u32_e32 6, v0
	s_cbranch_execz .LBB26_491
; %bb.480:
	v_add_nc_u32_e32 v30, 3, v0
	ds_load_b32 v32, v123 offset:12
	v_cmp_eq_u32_e32 vcc_lo, 1, v30
	v_cndmask_b32_e32 v31, v2, v3, vcc_lo
	v_cmp_eq_u32_e32 vcc_lo, 2, v30
	s_delay_alu instid0(VALU_DEP_2) | instskip(SKIP_1) | instid1(VALU_DEP_2)
	v_cndmask_b32_e32 v31, v31, v4, vcc_lo
	v_cmp_eq_u32_e32 vcc_lo, 3, v30
	v_cndmask_b32_e32 v31, v31, v5, vcc_lo
	v_cmp_eq_u32_e32 vcc_lo, 4, v30
	s_delay_alu instid0(VALU_DEP_2) | instskip(SKIP_1) | instid1(VALU_DEP_2)
	v_cndmask_b32_e32 v31, v31, v6, vcc_lo
	;; [unrolled: 5-line block ×12, first 2 shown]
	v_cmp_eq_u32_e32 vcc_lo, 25, v30
	v_cndmask_b32_e32 v31, v31, v27, vcc_lo
	v_cmp_eq_u32_e32 vcc_lo, 26, v30
	s_delay_alu instid0(VALU_DEP_2) | instskip(SKIP_1) | instid1(VALU_DEP_1)
	v_cndmask_b32_e32 v30, v31, v28, vcc_lo
	s_wait_dscnt 0x0
	v_fmac_f32_e32 v29, v30, v32
	s_and_saveexec_b32 s7, s2
	s_cbranch_execz .LBB26_490
; %bb.481:
	v_add_nc_u32_e32 v30, 4, v0
	ds_load_b32 v32, v123 offset:16
	s_mov_b32 s2, exec_lo
	v_cmp_eq_u32_e32 vcc_lo, 1, v30
	v_cndmask_b32_e32 v31, v2, v3, vcc_lo
	v_cmp_eq_u32_e32 vcc_lo, 2, v30
	s_delay_alu instid0(VALU_DEP_2) | instskip(SKIP_1) | instid1(VALU_DEP_2)
	v_cndmask_b32_e32 v31, v31, v4, vcc_lo
	v_cmp_eq_u32_e32 vcc_lo, 3, v30
	v_cndmask_b32_e32 v31, v31, v5, vcc_lo
	v_cmp_eq_u32_e32 vcc_lo, 4, v30
	s_delay_alu instid0(VALU_DEP_2) | instskip(SKIP_1) | instid1(VALU_DEP_2)
	v_cndmask_b32_e32 v31, v31, v6, vcc_lo
	;; [unrolled: 5-line block ×12, first 2 shown]
	v_cmp_eq_u32_e32 vcc_lo, 25, v30
	v_cndmask_b32_e32 v31, v31, v27, vcc_lo
	v_cmp_eq_u32_e32 vcc_lo, 26, v30
	s_delay_alu instid0(VALU_DEP_2) | instskip(SKIP_1) | instid1(VALU_DEP_1)
	v_cndmask_b32_e32 v30, v31, v28, vcc_lo
	s_wait_dscnt 0x0
	v_fmac_f32_e32 v29, v30, v32
	v_cmpx_ne_u32_e32 4, v0
	s_cbranch_execz .LBB26_489
; %bb.482:
	v_add_nc_u32_e32 v30, 5, v0
	ds_load_b32 v32, v123 offset:20
	v_cmp_eq_u32_e32 vcc_lo, 1, v30
	v_cndmask_b32_e32 v31, v2, v3, vcc_lo
	v_cmp_eq_u32_e32 vcc_lo, 2, v30
	s_delay_alu instid0(VALU_DEP_2) | instskip(SKIP_1) | instid1(VALU_DEP_2)
	v_cndmask_b32_e32 v31, v31, v4, vcc_lo
	v_cmp_eq_u32_e32 vcc_lo, 3, v30
	v_cndmask_b32_e32 v31, v31, v5, vcc_lo
	v_cmp_eq_u32_e32 vcc_lo, 4, v30
	s_delay_alu instid0(VALU_DEP_2) | instskip(SKIP_1) | instid1(VALU_DEP_2)
	v_cndmask_b32_e32 v31, v31, v6, vcc_lo
	;; [unrolled: 5-line block ×12, first 2 shown]
	v_cmp_eq_u32_e32 vcc_lo, 25, v30
	v_cndmask_b32_e32 v31, v31, v27, vcc_lo
	v_cmp_eq_u32_e32 vcc_lo, 26, v30
	s_delay_alu instid0(VALU_DEP_2) | instskip(SKIP_1) | instid1(VALU_DEP_1)
	v_cndmask_b32_e32 v30, v31, v28, vcc_lo
	s_wait_dscnt 0x0
	v_fmac_f32_e32 v29, v30, v32
	s_and_saveexec_b32 s8, s1
	s_cbranch_execz .LBB26_488
; %bb.483:
	v_add_nc_u32_e32 v30, 6, v0
	ds_load_b32 v32, v123 offset:24
	s_mov_b32 s1, exec_lo
	v_cmp_eq_u32_e32 vcc_lo, 1, v30
	v_cndmask_b32_e32 v31, v2, v3, vcc_lo
	v_cmp_eq_u32_e32 vcc_lo, 2, v30
	s_delay_alu instid0(VALU_DEP_2) | instskip(SKIP_1) | instid1(VALU_DEP_2)
	v_cndmask_b32_e32 v31, v31, v4, vcc_lo
	v_cmp_eq_u32_e32 vcc_lo, 3, v30
	v_cndmask_b32_e32 v31, v31, v5, vcc_lo
	v_cmp_eq_u32_e32 vcc_lo, 4, v30
	s_delay_alu instid0(VALU_DEP_2) | instskip(SKIP_1) | instid1(VALU_DEP_2)
	v_cndmask_b32_e32 v31, v31, v6, vcc_lo
	;; [unrolled: 5-line block ×12, first 2 shown]
	v_cmp_eq_u32_e32 vcc_lo, 25, v30
	v_cndmask_b32_e32 v31, v31, v27, vcc_lo
	v_cmp_eq_u32_e32 vcc_lo, 26, v30
	s_delay_alu instid0(VALU_DEP_2) | instskip(SKIP_1) | instid1(VALU_DEP_1)
	v_cndmask_b32_e32 v30, v31, v28, vcc_lo
	s_wait_dscnt 0x0
	v_fmac_f32_e32 v29, v30, v32
	v_cmpx_ne_u32_e32 2, v0
	s_cbranch_execz .LBB26_487
; %bb.484:
	v_add_nc_u32_e32 v30, 7, v0
	s_delay_alu instid0(VALU_DEP_1) | instskip(SKIP_2) | instid1(VALU_DEP_2)
	v_cmp_eq_u32_e32 vcc_lo, 1, v30
	v_cndmask_b32_e32 v31, v2, v3, vcc_lo
	v_cmp_eq_u32_e32 vcc_lo, 2, v30
	v_cndmask_b32_e32 v31, v31, v4, vcc_lo
	v_cmp_eq_u32_e32 vcc_lo, 3, v30
	s_delay_alu instid0(VALU_DEP_2) | instskip(SKIP_1) | instid1(VALU_DEP_2)
	v_cndmask_b32_e32 v31, v31, v5, vcc_lo
	v_cmp_eq_u32_e32 vcc_lo, 4, v30
	v_cndmask_b32_e32 v31, v31, v6, vcc_lo
	v_cmp_eq_u32_e32 vcc_lo, 5, v30
	s_delay_alu instid0(VALU_DEP_2) | instskip(SKIP_1) | instid1(VALU_DEP_2)
	;; [unrolled: 5-line block ×3, first 2 shown]
	v_cndmask_b32_e32 v31, v31, v9, vcc_lo
	v_cmp_eq_u32_e32 vcc_lo, 8, v30
	v_cndmask_b32_e32 v31, v31, v10, vcc_lo
	v_cmp_eq_u32_e32 vcc_lo, 9, v30
	s_delay_alu instid0(VALU_DEP_2) | instskip(SKIP_4) | instid1(VALU_DEP_2)
	v_cndmask_b32_e32 v11, v31, v11, vcc_lo
	v_cmp_eq_u32_e32 vcc_lo, 10, v30
	ds_load_b32 v31, v123 offset:28
	v_cndmask_b32_e32 v11, v11, v12, vcc_lo
	v_cmp_eq_u32_e32 vcc_lo, 11, v30
	v_cndmask_b32_e32 v11, v11, v13, vcc_lo
	v_cmp_eq_u32_e32 vcc_lo, 12, v30
	s_delay_alu instid0(VALU_DEP_2) | instskip(SKIP_1) | instid1(VALU_DEP_2)
	v_cndmask_b32_e32 v11, v11, v14, vcc_lo
	v_cmp_eq_u32_e32 vcc_lo, 13, v30
	v_cndmask_b32_e32 v11, v11, v15, vcc_lo
	v_cmp_eq_u32_e32 vcc_lo, 14, v30
	s_delay_alu instid0(VALU_DEP_2) | instskip(SKIP_1) | instid1(VALU_DEP_2)
	;; [unrolled: 5-line block ×7, first 2 shown]
	v_cndmask_b32_e32 v11, v11, v26, vcc_lo
	v_cmp_eq_u32_e32 vcc_lo, 25, v30
	v_cndmask_b32_e32 v11, v11, v27, vcc_lo
	v_cmp_eq_u32_e32 vcc_lo, 26, v30
	s_delay_alu instid0(VALU_DEP_2) | instskip(SKIP_1) | instid1(VALU_DEP_1)
	v_cndmask_b32_e32 v11, v11, v28, vcc_lo
	s_wait_dscnt 0x0
	v_fmac_f32_e32 v29, v11, v31
	s_and_saveexec_b32 s9, s0
	s_cbranch_execz .LBB26_486
; %bb.485:
	ds_load_b32 v11, v123 offset:32
	s_wait_dscnt 0x0
	v_fmac_f32_e32 v29, v10, v11
.LBB26_486:
	s_or_b32 exec_lo, exec_lo, s9
.LBB26_487:
	s_delay_alu instid0(SALU_CYCLE_1)
	s_or_b32 exec_lo, exec_lo, s1
.LBB26_488:
	s_delay_alu instid0(SALU_CYCLE_1)
	s_or_b32 exec_lo, exec_lo, s8
.LBB26_489:
	s_delay_alu instid0(SALU_CYCLE_1)
	s_or_b32 exec_lo, exec_lo, s2
.LBB26_490:
	s_delay_alu instid0(SALU_CYCLE_1)
	s_or_b32 exec_lo, exec_lo, s7
.LBB26_491:
	s_delay_alu instid0(SALU_CYCLE_1)
	s_or_b32 exec_lo, exec_lo, s3
.LBB26_492:
	s_delay_alu instid0(SALU_CYCLE_1)
	s_or_b32 exec_lo, exec_lo, s6
.LBB26_493:
	s_delay_alu instid0(SALU_CYCLE_1)
	s_or_b32 exec_lo, exec_lo, s5
	v_mov_b32_e32 v11, 0
	ds_load_b32 v11, v11 offset:36
	s_wait_dscnt 0x0
	v_mul_f32_e32 v11, v29, v11
.LBB26_494:
	s_or_b32 exec_lo, exec_lo, s4
	s_delay_alu instid0(SALU_CYCLE_1)
	s_mov_b32 s0, exec_lo
	ds_store_b32 v123, v12
	s_wait_dscnt 0x0
	s_barrier_signal -1
	s_barrier_wait -1
	v_cmpx_gt_u32_e32 10, v0
	s_cbranch_execz .LBB26_504
; %bb.495:
	v_cmp_ne_u32_e32 vcc_lo, 1, v34
	s_cbranch_vccnz .LBB26_497
; %bb.496:
	v_cmp_eq_u32_e32 vcc_lo, 1, v0
	ds_load_b32 v30, v123
	v_cndmask_b32_e32 v29, v2, v3, vcc_lo
	v_cmp_eq_u32_e32 vcc_lo, 2, v0
	s_delay_alu instid0(VALU_DEP_2) | instskip(SKIP_1) | instid1(VALU_DEP_2)
	v_cndmask_b32_e32 v29, v29, v4, vcc_lo
	v_cmp_eq_u32_e32 vcc_lo, 3, v0
	v_cndmask_b32_e32 v29, v29, v5, vcc_lo
	v_cmp_eq_u32_e32 vcc_lo, 4, v0
	s_delay_alu instid0(VALU_DEP_2) | instskip(SKIP_1) | instid1(VALU_DEP_2)
	v_cndmask_b32_e32 v29, v29, v6, vcc_lo
	v_cmp_eq_u32_e32 vcc_lo, 5, v0
	;; [unrolled: 5-line block ×12, first 2 shown]
	v_cndmask_b32_e32 v29, v29, v27, vcc_lo
	v_cmp_eq_u32_e32 vcc_lo, 26, v0
	s_delay_alu instid0(VALU_DEP_2) | instskip(SKIP_1) | instid1(VALU_DEP_1)
	v_cndmask_b32_e32 v29, v29, v28, vcc_lo
	s_wait_dscnt 0x0
	v_mul_f32_e32 v29, v29, v30
	s_cbranch_execz .LBB26_498
	s_branch .LBB26_499
.LBB26_497:
                                        ; implicit-def: $vgpr29
.LBB26_498:
	ds_load_b32 v29, v123
.LBB26_499:
	s_mov_b32 s1, exec_lo
	v_cmpx_ne_u32_e32 9, v0
	s_cbranch_execz .LBB26_503
; %bb.500:
	v_mov_b64_e32 v[30:31], v[0:1]
	v_lshl_add_u32 v32, v0, 2, 0x74
	s_mov_b32 s2, 0
.LBB26_501:                             ; =>This Inner Loop Header: Depth=1
	s_delay_alu instid0(VALU_DEP_2)
	v_add_nc_u64_e32 v[30:31], 1, v[30:31]
	ds_load_b32 v35, v32
	v_add_nc_u32_e32 v32, 4, v32
	v_cmp_eq_u32_e32 vcc_lo, 1, v30
	v_cndmask_b32_e32 v33, v2, v3, vcc_lo
	v_cmp_eq_u32_e32 vcc_lo, 2, v30
	s_delay_alu instid0(VALU_DEP_2) | instskip(SKIP_1) | instid1(VALU_DEP_2)
	v_cndmask_b32_e32 v33, v33, v4, vcc_lo
	v_cmp_eq_u32_e32 vcc_lo, 3, v30
	v_cndmask_b32_e32 v33, v33, v5, vcc_lo
	v_cmp_eq_u32_e32 vcc_lo, 4, v30
	s_delay_alu instid0(VALU_DEP_2) | instskip(SKIP_1) | instid1(VALU_DEP_2)
	v_cndmask_b32_e32 v33, v33, v6, vcc_lo
	;; [unrolled: 5-line block ×12, first 2 shown]
	v_cmp_eq_u32_e32 vcc_lo, 25, v30
	v_cndmask_b32_e32 v33, v33, v27, vcc_lo
	v_cmp_eq_u32_e32 vcc_lo, 26, v30
	s_delay_alu instid0(VALU_DEP_2) | instskip(SKIP_2) | instid1(VALU_DEP_2)
	v_cndmask_b32_e32 v33, v33, v28, vcc_lo
	v_cmp_lt_u32_e32 vcc_lo, 8, v30
	s_wait_dscnt 0x0
	v_fmac_f32_e32 v29, v33, v35
	s_or_b32 s2, vcc_lo, s2
	s_delay_alu instid0(SALU_CYCLE_1)
	s_and_not1_b32 exec_lo, exec_lo, s2
	s_cbranch_execnz .LBB26_501
; %bb.502:
	s_or_b32 exec_lo, exec_lo, s2
.LBB26_503:
	s_delay_alu instid0(SALU_CYCLE_1)
	s_or_b32 exec_lo, exec_lo, s1
	v_mov_b32_e32 v12, 0
	ds_load_b32 v12, v12 offset:40
	s_wait_dscnt 0x0
	v_mul_f32_e32 v12, v29, v12
.LBB26_504:
	s_or_b32 exec_lo, exec_lo, s0
	s_delay_alu instid0(SALU_CYCLE_1)
	s_mov_b32 s0, exec_lo
	ds_store_b32 v123, v13
	s_wait_dscnt 0x0
	s_barrier_signal -1
	s_barrier_wait -1
	v_cmpx_gt_u32_e32 11, v0
	s_cbranch_execz .LBB26_514
; %bb.505:
	v_cmp_ne_u32_e32 vcc_lo, 1, v34
	s_cbranch_vccnz .LBB26_507
; %bb.506:
	v_cmp_eq_u32_e32 vcc_lo, 1, v0
	ds_load_b32 v30, v123
	v_cndmask_b32_e32 v29, v2, v3, vcc_lo
	v_cmp_eq_u32_e32 vcc_lo, 2, v0
	s_delay_alu instid0(VALU_DEP_2) | instskip(SKIP_1) | instid1(VALU_DEP_2)
	v_cndmask_b32_e32 v29, v29, v4, vcc_lo
	v_cmp_eq_u32_e32 vcc_lo, 3, v0
	v_cndmask_b32_e32 v29, v29, v5, vcc_lo
	v_cmp_eq_u32_e32 vcc_lo, 4, v0
	s_delay_alu instid0(VALU_DEP_2) | instskip(SKIP_1) | instid1(VALU_DEP_2)
	v_cndmask_b32_e32 v29, v29, v6, vcc_lo
	v_cmp_eq_u32_e32 vcc_lo, 5, v0
	;; [unrolled: 5-line block ×12, first 2 shown]
	v_cndmask_b32_e32 v29, v29, v27, vcc_lo
	v_cmp_eq_u32_e32 vcc_lo, 26, v0
	s_delay_alu instid0(VALU_DEP_2) | instskip(SKIP_1) | instid1(VALU_DEP_1)
	v_cndmask_b32_e32 v29, v29, v28, vcc_lo
	s_wait_dscnt 0x0
	v_mul_f32_e32 v29, v29, v30
	s_cbranch_execz .LBB26_508
	s_branch .LBB26_509
.LBB26_507:
                                        ; implicit-def: $vgpr29
.LBB26_508:
	ds_load_b32 v29, v123
.LBB26_509:
	s_mov_b32 s1, exec_lo
	v_cmpx_ne_u32_e32 10, v0
	s_cbranch_execz .LBB26_513
; %bb.510:
	v_mov_b64_e32 v[30:31], v[0:1]
	v_lshl_add_u32 v32, v0, 2, 0x74
	s_mov_b32 s2, 0
.LBB26_511:                             ; =>This Inner Loop Header: Depth=1
	s_delay_alu instid0(VALU_DEP_2)
	v_add_nc_u64_e32 v[30:31], 1, v[30:31]
	ds_load_b32 v35, v32
	v_add_nc_u32_e32 v32, 4, v32
	v_cmp_eq_u32_e32 vcc_lo, 1, v30
	v_cndmask_b32_e32 v33, v2, v3, vcc_lo
	v_cmp_eq_u32_e32 vcc_lo, 2, v30
	s_delay_alu instid0(VALU_DEP_2) | instskip(SKIP_1) | instid1(VALU_DEP_2)
	v_cndmask_b32_e32 v33, v33, v4, vcc_lo
	v_cmp_eq_u32_e32 vcc_lo, 3, v30
	v_cndmask_b32_e32 v33, v33, v5, vcc_lo
	v_cmp_eq_u32_e32 vcc_lo, 4, v30
	s_delay_alu instid0(VALU_DEP_2) | instskip(SKIP_1) | instid1(VALU_DEP_2)
	v_cndmask_b32_e32 v33, v33, v6, vcc_lo
	;; [unrolled: 5-line block ×12, first 2 shown]
	v_cmp_eq_u32_e32 vcc_lo, 25, v30
	v_cndmask_b32_e32 v33, v33, v27, vcc_lo
	v_cmp_eq_u32_e32 vcc_lo, 26, v30
	s_delay_alu instid0(VALU_DEP_2) | instskip(SKIP_2) | instid1(VALU_DEP_2)
	v_cndmask_b32_e32 v33, v33, v28, vcc_lo
	v_cmp_lt_u32_e32 vcc_lo, 9, v30
	s_wait_dscnt 0x0
	v_fmac_f32_e32 v29, v33, v35
	s_or_b32 s2, vcc_lo, s2
	s_delay_alu instid0(SALU_CYCLE_1)
	s_and_not1_b32 exec_lo, exec_lo, s2
	s_cbranch_execnz .LBB26_511
; %bb.512:
	s_or_b32 exec_lo, exec_lo, s2
.LBB26_513:
	s_delay_alu instid0(SALU_CYCLE_1)
	s_or_b32 exec_lo, exec_lo, s1
	v_mov_b32_e32 v13, 0
	ds_load_b32 v13, v13 offset:44
	s_wait_dscnt 0x0
	v_mul_f32_e32 v13, v29, v13
.LBB26_514:
	s_or_b32 exec_lo, exec_lo, s0
	s_delay_alu instid0(SALU_CYCLE_1)
	s_mov_b32 s0, exec_lo
	ds_store_b32 v123, v14
	s_wait_dscnt 0x0
	s_barrier_signal -1
	s_barrier_wait -1
	v_cmpx_gt_u32_e32 12, v0
	s_cbranch_execz .LBB26_524
; %bb.515:
	v_cmp_ne_u32_e32 vcc_lo, 1, v34
	s_cbranch_vccnz .LBB26_517
; %bb.516:
	v_cmp_eq_u32_e32 vcc_lo, 1, v0
	ds_load_b32 v30, v123
	v_cndmask_b32_e32 v29, v2, v3, vcc_lo
	v_cmp_eq_u32_e32 vcc_lo, 2, v0
	s_delay_alu instid0(VALU_DEP_2) | instskip(SKIP_1) | instid1(VALU_DEP_2)
	v_cndmask_b32_e32 v29, v29, v4, vcc_lo
	v_cmp_eq_u32_e32 vcc_lo, 3, v0
	v_cndmask_b32_e32 v29, v29, v5, vcc_lo
	v_cmp_eq_u32_e32 vcc_lo, 4, v0
	s_delay_alu instid0(VALU_DEP_2) | instskip(SKIP_1) | instid1(VALU_DEP_2)
	v_cndmask_b32_e32 v29, v29, v6, vcc_lo
	v_cmp_eq_u32_e32 vcc_lo, 5, v0
	;; [unrolled: 5-line block ×12, first 2 shown]
	v_cndmask_b32_e32 v29, v29, v27, vcc_lo
	v_cmp_eq_u32_e32 vcc_lo, 26, v0
	s_delay_alu instid0(VALU_DEP_2) | instskip(SKIP_1) | instid1(VALU_DEP_1)
	v_cndmask_b32_e32 v29, v29, v28, vcc_lo
	s_wait_dscnt 0x0
	v_mul_f32_e32 v29, v29, v30
	s_cbranch_execz .LBB26_518
	s_branch .LBB26_519
.LBB26_517:
                                        ; implicit-def: $vgpr29
.LBB26_518:
	ds_load_b32 v29, v123
.LBB26_519:
	s_mov_b32 s1, exec_lo
	v_cmpx_ne_u32_e32 11, v0
	s_cbranch_execz .LBB26_523
; %bb.520:
	v_mov_b64_e32 v[30:31], v[0:1]
	v_lshl_add_u32 v32, v0, 2, 0x74
	s_mov_b32 s2, 0
.LBB26_521:                             ; =>This Inner Loop Header: Depth=1
	s_delay_alu instid0(VALU_DEP_2)
	v_add_nc_u64_e32 v[30:31], 1, v[30:31]
	ds_load_b32 v35, v32
	v_add_nc_u32_e32 v32, 4, v32
	v_cmp_eq_u32_e32 vcc_lo, 1, v30
	v_cndmask_b32_e32 v33, v2, v3, vcc_lo
	v_cmp_eq_u32_e32 vcc_lo, 2, v30
	s_delay_alu instid0(VALU_DEP_2) | instskip(SKIP_1) | instid1(VALU_DEP_2)
	v_cndmask_b32_e32 v33, v33, v4, vcc_lo
	v_cmp_eq_u32_e32 vcc_lo, 3, v30
	v_cndmask_b32_e32 v33, v33, v5, vcc_lo
	v_cmp_eq_u32_e32 vcc_lo, 4, v30
	s_delay_alu instid0(VALU_DEP_2) | instskip(SKIP_1) | instid1(VALU_DEP_2)
	v_cndmask_b32_e32 v33, v33, v6, vcc_lo
	;; [unrolled: 5-line block ×12, first 2 shown]
	v_cmp_eq_u32_e32 vcc_lo, 25, v30
	v_cndmask_b32_e32 v33, v33, v27, vcc_lo
	v_cmp_eq_u32_e32 vcc_lo, 26, v30
	s_delay_alu instid0(VALU_DEP_2) | instskip(SKIP_2) | instid1(VALU_DEP_2)
	v_cndmask_b32_e32 v33, v33, v28, vcc_lo
	v_cmp_lt_u32_e32 vcc_lo, 10, v30
	s_wait_dscnt 0x0
	v_fmac_f32_e32 v29, v33, v35
	s_or_b32 s2, vcc_lo, s2
	s_delay_alu instid0(SALU_CYCLE_1)
	s_and_not1_b32 exec_lo, exec_lo, s2
	s_cbranch_execnz .LBB26_521
; %bb.522:
	s_or_b32 exec_lo, exec_lo, s2
.LBB26_523:
	s_delay_alu instid0(SALU_CYCLE_1)
	s_or_b32 exec_lo, exec_lo, s1
	v_mov_b32_e32 v14, 0
	ds_load_b32 v14, v14 offset:48
	s_wait_dscnt 0x0
	v_mul_f32_e32 v14, v29, v14
.LBB26_524:
	s_or_b32 exec_lo, exec_lo, s0
	s_delay_alu instid0(SALU_CYCLE_1)
	s_mov_b32 s0, exec_lo
	ds_store_b32 v123, v15
	s_wait_dscnt 0x0
	s_barrier_signal -1
	s_barrier_wait -1
	v_cmpx_gt_u32_e32 13, v0
	s_cbranch_execz .LBB26_534
; %bb.525:
	v_cmp_ne_u32_e32 vcc_lo, 1, v34
	s_cbranch_vccnz .LBB26_527
; %bb.526:
	v_cmp_eq_u32_e32 vcc_lo, 1, v0
	ds_load_b32 v30, v123
	v_cndmask_b32_e32 v29, v2, v3, vcc_lo
	v_cmp_eq_u32_e32 vcc_lo, 2, v0
	s_delay_alu instid0(VALU_DEP_2) | instskip(SKIP_1) | instid1(VALU_DEP_2)
	v_cndmask_b32_e32 v29, v29, v4, vcc_lo
	v_cmp_eq_u32_e32 vcc_lo, 3, v0
	v_cndmask_b32_e32 v29, v29, v5, vcc_lo
	v_cmp_eq_u32_e32 vcc_lo, 4, v0
	s_delay_alu instid0(VALU_DEP_2) | instskip(SKIP_1) | instid1(VALU_DEP_2)
	v_cndmask_b32_e32 v29, v29, v6, vcc_lo
	v_cmp_eq_u32_e32 vcc_lo, 5, v0
	;; [unrolled: 5-line block ×12, first 2 shown]
	v_cndmask_b32_e32 v29, v29, v27, vcc_lo
	v_cmp_eq_u32_e32 vcc_lo, 26, v0
	s_delay_alu instid0(VALU_DEP_2) | instskip(SKIP_1) | instid1(VALU_DEP_1)
	v_cndmask_b32_e32 v29, v29, v28, vcc_lo
	s_wait_dscnt 0x0
	v_mul_f32_e32 v29, v29, v30
	s_cbranch_execz .LBB26_528
	s_branch .LBB26_529
.LBB26_527:
                                        ; implicit-def: $vgpr29
.LBB26_528:
	ds_load_b32 v29, v123
.LBB26_529:
	s_mov_b32 s1, exec_lo
	v_cmpx_ne_u32_e32 12, v0
	s_cbranch_execz .LBB26_533
; %bb.530:
	v_mov_b64_e32 v[30:31], v[0:1]
	v_lshl_add_u32 v32, v0, 2, 0x74
	s_mov_b32 s2, 0
.LBB26_531:                             ; =>This Inner Loop Header: Depth=1
	s_delay_alu instid0(VALU_DEP_2)
	v_add_nc_u64_e32 v[30:31], 1, v[30:31]
	ds_load_b32 v35, v32
	v_add_nc_u32_e32 v32, 4, v32
	v_cmp_eq_u32_e32 vcc_lo, 1, v30
	v_cndmask_b32_e32 v33, v2, v3, vcc_lo
	v_cmp_eq_u32_e32 vcc_lo, 2, v30
	s_delay_alu instid0(VALU_DEP_2) | instskip(SKIP_1) | instid1(VALU_DEP_2)
	v_cndmask_b32_e32 v33, v33, v4, vcc_lo
	v_cmp_eq_u32_e32 vcc_lo, 3, v30
	v_cndmask_b32_e32 v33, v33, v5, vcc_lo
	v_cmp_eq_u32_e32 vcc_lo, 4, v30
	s_delay_alu instid0(VALU_DEP_2) | instskip(SKIP_1) | instid1(VALU_DEP_2)
	v_cndmask_b32_e32 v33, v33, v6, vcc_lo
	;; [unrolled: 5-line block ×12, first 2 shown]
	v_cmp_eq_u32_e32 vcc_lo, 25, v30
	v_cndmask_b32_e32 v33, v33, v27, vcc_lo
	v_cmp_eq_u32_e32 vcc_lo, 26, v30
	s_delay_alu instid0(VALU_DEP_2) | instskip(SKIP_2) | instid1(VALU_DEP_2)
	v_cndmask_b32_e32 v33, v33, v28, vcc_lo
	v_cmp_lt_u32_e32 vcc_lo, 11, v30
	s_wait_dscnt 0x0
	v_fmac_f32_e32 v29, v33, v35
	s_or_b32 s2, vcc_lo, s2
	s_delay_alu instid0(SALU_CYCLE_1)
	s_and_not1_b32 exec_lo, exec_lo, s2
	s_cbranch_execnz .LBB26_531
; %bb.532:
	s_or_b32 exec_lo, exec_lo, s2
.LBB26_533:
	s_delay_alu instid0(SALU_CYCLE_1)
	s_or_b32 exec_lo, exec_lo, s1
	v_mov_b32_e32 v15, 0
	ds_load_b32 v15, v15 offset:52
	s_wait_dscnt 0x0
	v_mul_f32_e32 v15, v29, v15
.LBB26_534:
	s_or_b32 exec_lo, exec_lo, s0
	s_delay_alu instid0(SALU_CYCLE_1)
	s_mov_b32 s0, exec_lo
	ds_store_b32 v123, v16
	s_wait_dscnt 0x0
	s_barrier_signal -1
	s_barrier_wait -1
	v_cmpx_gt_u32_e32 14, v0
	s_cbranch_execz .LBB26_544
; %bb.535:
	v_cmp_ne_u32_e32 vcc_lo, 1, v34
	s_cbranch_vccnz .LBB26_537
; %bb.536:
	v_cmp_eq_u32_e32 vcc_lo, 1, v0
	ds_load_b32 v30, v123
	v_cndmask_b32_e32 v29, v2, v3, vcc_lo
	v_cmp_eq_u32_e32 vcc_lo, 2, v0
	s_delay_alu instid0(VALU_DEP_2) | instskip(SKIP_1) | instid1(VALU_DEP_2)
	v_cndmask_b32_e32 v29, v29, v4, vcc_lo
	v_cmp_eq_u32_e32 vcc_lo, 3, v0
	v_cndmask_b32_e32 v29, v29, v5, vcc_lo
	v_cmp_eq_u32_e32 vcc_lo, 4, v0
	s_delay_alu instid0(VALU_DEP_2) | instskip(SKIP_1) | instid1(VALU_DEP_2)
	v_cndmask_b32_e32 v29, v29, v6, vcc_lo
	v_cmp_eq_u32_e32 vcc_lo, 5, v0
	;; [unrolled: 5-line block ×12, first 2 shown]
	v_cndmask_b32_e32 v29, v29, v27, vcc_lo
	v_cmp_eq_u32_e32 vcc_lo, 26, v0
	s_delay_alu instid0(VALU_DEP_2) | instskip(SKIP_1) | instid1(VALU_DEP_1)
	v_cndmask_b32_e32 v29, v29, v28, vcc_lo
	s_wait_dscnt 0x0
	v_mul_f32_e32 v29, v29, v30
	s_cbranch_execz .LBB26_538
	s_branch .LBB26_539
.LBB26_537:
                                        ; implicit-def: $vgpr29
.LBB26_538:
	ds_load_b32 v29, v123
.LBB26_539:
	s_mov_b32 s1, exec_lo
	v_cmpx_ne_u32_e32 13, v0
	s_cbranch_execz .LBB26_543
; %bb.540:
	v_mov_b64_e32 v[30:31], v[0:1]
	v_lshl_add_u32 v32, v0, 2, 0x74
	s_mov_b32 s2, 0
.LBB26_541:                             ; =>This Inner Loop Header: Depth=1
	s_delay_alu instid0(VALU_DEP_2)
	v_add_nc_u64_e32 v[30:31], 1, v[30:31]
	ds_load_b32 v35, v32
	v_add_nc_u32_e32 v32, 4, v32
	v_cmp_eq_u32_e32 vcc_lo, 1, v30
	v_cndmask_b32_e32 v33, v2, v3, vcc_lo
	v_cmp_eq_u32_e32 vcc_lo, 2, v30
	s_delay_alu instid0(VALU_DEP_2) | instskip(SKIP_1) | instid1(VALU_DEP_2)
	v_cndmask_b32_e32 v33, v33, v4, vcc_lo
	v_cmp_eq_u32_e32 vcc_lo, 3, v30
	v_cndmask_b32_e32 v33, v33, v5, vcc_lo
	v_cmp_eq_u32_e32 vcc_lo, 4, v30
	s_delay_alu instid0(VALU_DEP_2) | instskip(SKIP_1) | instid1(VALU_DEP_2)
	v_cndmask_b32_e32 v33, v33, v6, vcc_lo
	;; [unrolled: 5-line block ×12, first 2 shown]
	v_cmp_eq_u32_e32 vcc_lo, 25, v30
	v_cndmask_b32_e32 v33, v33, v27, vcc_lo
	v_cmp_eq_u32_e32 vcc_lo, 26, v30
	s_delay_alu instid0(VALU_DEP_2) | instskip(SKIP_2) | instid1(VALU_DEP_2)
	v_cndmask_b32_e32 v33, v33, v28, vcc_lo
	v_cmp_lt_u32_e32 vcc_lo, 12, v30
	s_wait_dscnt 0x0
	v_fmac_f32_e32 v29, v33, v35
	s_or_b32 s2, vcc_lo, s2
	s_delay_alu instid0(SALU_CYCLE_1)
	s_and_not1_b32 exec_lo, exec_lo, s2
	s_cbranch_execnz .LBB26_541
; %bb.542:
	s_or_b32 exec_lo, exec_lo, s2
.LBB26_543:
	s_delay_alu instid0(SALU_CYCLE_1)
	s_or_b32 exec_lo, exec_lo, s1
	v_mov_b32_e32 v16, 0
	ds_load_b32 v16, v16 offset:56
	s_wait_dscnt 0x0
	v_mul_f32_e32 v16, v29, v16
.LBB26_544:
	s_or_b32 exec_lo, exec_lo, s0
	s_delay_alu instid0(SALU_CYCLE_1)
	s_mov_b32 s0, exec_lo
	ds_store_b32 v123, v17
	s_wait_dscnt 0x0
	s_barrier_signal -1
	s_barrier_wait -1
	v_cmpx_gt_u32_e32 15, v0
	s_cbranch_execz .LBB26_554
; %bb.545:
	v_cmp_ne_u32_e32 vcc_lo, 1, v34
	s_cbranch_vccnz .LBB26_547
; %bb.546:
	v_cmp_eq_u32_e32 vcc_lo, 1, v0
	ds_load_b32 v30, v123
	v_cndmask_b32_e32 v29, v2, v3, vcc_lo
	v_cmp_eq_u32_e32 vcc_lo, 2, v0
	s_delay_alu instid0(VALU_DEP_2) | instskip(SKIP_1) | instid1(VALU_DEP_2)
	v_cndmask_b32_e32 v29, v29, v4, vcc_lo
	v_cmp_eq_u32_e32 vcc_lo, 3, v0
	v_cndmask_b32_e32 v29, v29, v5, vcc_lo
	v_cmp_eq_u32_e32 vcc_lo, 4, v0
	s_delay_alu instid0(VALU_DEP_2) | instskip(SKIP_1) | instid1(VALU_DEP_2)
	v_cndmask_b32_e32 v29, v29, v6, vcc_lo
	v_cmp_eq_u32_e32 vcc_lo, 5, v0
	;; [unrolled: 5-line block ×12, first 2 shown]
	v_cndmask_b32_e32 v29, v29, v27, vcc_lo
	v_cmp_eq_u32_e32 vcc_lo, 26, v0
	s_delay_alu instid0(VALU_DEP_2) | instskip(SKIP_1) | instid1(VALU_DEP_1)
	v_cndmask_b32_e32 v29, v29, v28, vcc_lo
	s_wait_dscnt 0x0
	v_mul_f32_e32 v29, v29, v30
	s_cbranch_execz .LBB26_548
	s_branch .LBB26_549
.LBB26_547:
                                        ; implicit-def: $vgpr29
.LBB26_548:
	ds_load_b32 v29, v123
.LBB26_549:
	s_mov_b32 s1, exec_lo
	v_cmpx_ne_u32_e32 14, v0
	s_cbranch_execz .LBB26_553
; %bb.550:
	v_mov_b64_e32 v[30:31], v[0:1]
	v_lshl_add_u32 v32, v0, 2, 0x74
	s_mov_b32 s2, 0
.LBB26_551:                             ; =>This Inner Loop Header: Depth=1
	s_delay_alu instid0(VALU_DEP_2)
	v_add_nc_u64_e32 v[30:31], 1, v[30:31]
	ds_load_b32 v35, v32
	v_add_nc_u32_e32 v32, 4, v32
	v_cmp_eq_u32_e32 vcc_lo, 1, v30
	v_cndmask_b32_e32 v33, v2, v3, vcc_lo
	v_cmp_eq_u32_e32 vcc_lo, 2, v30
	s_delay_alu instid0(VALU_DEP_2) | instskip(SKIP_1) | instid1(VALU_DEP_2)
	v_cndmask_b32_e32 v33, v33, v4, vcc_lo
	v_cmp_eq_u32_e32 vcc_lo, 3, v30
	v_cndmask_b32_e32 v33, v33, v5, vcc_lo
	v_cmp_eq_u32_e32 vcc_lo, 4, v30
	s_delay_alu instid0(VALU_DEP_2) | instskip(SKIP_1) | instid1(VALU_DEP_2)
	v_cndmask_b32_e32 v33, v33, v6, vcc_lo
	;; [unrolled: 5-line block ×12, first 2 shown]
	v_cmp_eq_u32_e32 vcc_lo, 25, v30
	v_cndmask_b32_e32 v33, v33, v27, vcc_lo
	v_cmp_eq_u32_e32 vcc_lo, 26, v30
	s_delay_alu instid0(VALU_DEP_2) | instskip(SKIP_2) | instid1(VALU_DEP_2)
	v_cndmask_b32_e32 v33, v33, v28, vcc_lo
	v_cmp_lt_u32_e32 vcc_lo, 13, v30
	s_wait_dscnt 0x0
	v_fmac_f32_e32 v29, v33, v35
	s_or_b32 s2, vcc_lo, s2
	s_delay_alu instid0(SALU_CYCLE_1)
	s_and_not1_b32 exec_lo, exec_lo, s2
	s_cbranch_execnz .LBB26_551
; %bb.552:
	s_or_b32 exec_lo, exec_lo, s2
.LBB26_553:
	s_delay_alu instid0(SALU_CYCLE_1)
	s_or_b32 exec_lo, exec_lo, s1
	v_mov_b32_e32 v17, 0
	ds_load_b32 v17, v17 offset:60
	s_wait_dscnt 0x0
	v_mul_f32_e32 v17, v29, v17
.LBB26_554:
	s_or_b32 exec_lo, exec_lo, s0
	s_delay_alu instid0(SALU_CYCLE_1)
	s_mov_b32 s0, exec_lo
	ds_store_b32 v123, v18
	s_wait_dscnt 0x0
	s_barrier_signal -1
	s_barrier_wait -1
	v_cmpx_gt_u32_e32 16, v0
	s_cbranch_execz .LBB26_564
; %bb.555:
	v_cmp_ne_u32_e32 vcc_lo, 1, v34
	s_cbranch_vccnz .LBB26_557
; %bb.556:
	v_cmp_eq_u32_e32 vcc_lo, 1, v0
	ds_load_b32 v30, v123
	v_cndmask_b32_e32 v29, v2, v3, vcc_lo
	v_cmp_eq_u32_e32 vcc_lo, 2, v0
	s_delay_alu instid0(VALU_DEP_2) | instskip(SKIP_1) | instid1(VALU_DEP_2)
	v_cndmask_b32_e32 v29, v29, v4, vcc_lo
	v_cmp_eq_u32_e32 vcc_lo, 3, v0
	v_cndmask_b32_e32 v29, v29, v5, vcc_lo
	v_cmp_eq_u32_e32 vcc_lo, 4, v0
	s_delay_alu instid0(VALU_DEP_2) | instskip(SKIP_1) | instid1(VALU_DEP_2)
	v_cndmask_b32_e32 v29, v29, v6, vcc_lo
	v_cmp_eq_u32_e32 vcc_lo, 5, v0
	;; [unrolled: 5-line block ×12, first 2 shown]
	v_cndmask_b32_e32 v29, v29, v27, vcc_lo
	v_cmp_eq_u32_e32 vcc_lo, 26, v0
	s_delay_alu instid0(VALU_DEP_2) | instskip(SKIP_1) | instid1(VALU_DEP_1)
	v_cndmask_b32_e32 v29, v29, v28, vcc_lo
	s_wait_dscnt 0x0
	v_mul_f32_e32 v29, v29, v30
	s_cbranch_execz .LBB26_558
	s_branch .LBB26_559
.LBB26_557:
                                        ; implicit-def: $vgpr29
.LBB26_558:
	ds_load_b32 v29, v123
.LBB26_559:
	s_mov_b32 s1, exec_lo
	v_cmpx_ne_u32_e32 15, v0
	s_cbranch_execz .LBB26_563
; %bb.560:
	v_mov_b64_e32 v[30:31], v[0:1]
	v_lshl_add_u32 v32, v0, 2, 0x74
	s_mov_b32 s2, 0
.LBB26_561:                             ; =>This Inner Loop Header: Depth=1
	s_delay_alu instid0(VALU_DEP_2)
	v_add_nc_u64_e32 v[30:31], 1, v[30:31]
	ds_load_b32 v35, v32
	v_add_nc_u32_e32 v32, 4, v32
	v_cmp_eq_u32_e32 vcc_lo, 1, v30
	v_cndmask_b32_e32 v33, v2, v3, vcc_lo
	v_cmp_eq_u32_e32 vcc_lo, 2, v30
	s_delay_alu instid0(VALU_DEP_2) | instskip(SKIP_1) | instid1(VALU_DEP_2)
	v_cndmask_b32_e32 v33, v33, v4, vcc_lo
	v_cmp_eq_u32_e32 vcc_lo, 3, v30
	v_cndmask_b32_e32 v33, v33, v5, vcc_lo
	v_cmp_eq_u32_e32 vcc_lo, 4, v30
	s_delay_alu instid0(VALU_DEP_2) | instskip(SKIP_1) | instid1(VALU_DEP_2)
	v_cndmask_b32_e32 v33, v33, v6, vcc_lo
	v_cmp_eq_u32_e32 vcc_lo, 5, v30
	v_cndmask_b32_e32 v33, v33, v7, vcc_lo
	v_cmp_eq_u32_e32 vcc_lo, 6, v30
	s_delay_alu instid0(VALU_DEP_2) | instskip(SKIP_1) | instid1(VALU_DEP_2)
	v_cndmask_b32_e32 v33, v33, v8, vcc_lo
	v_cmp_eq_u32_e32 vcc_lo, 7, v30
	v_cndmask_b32_e32 v33, v33, v9, vcc_lo
	v_cmp_eq_u32_e32 vcc_lo, 8, v30
	s_delay_alu instid0(VALU_DEP_2) | instskip(SKIP_1) | instid1(VALU_DEP_2)
	v_cndmask_b32_e32 v33, v33, v10, vcc_lo
	v_cmp_eq_u32_e32 vcc_lo, 9, v30
	v_cndmask_b32_e32 v33, v33, v11, vcc_lo
	v_cmp_eq_u32_e32 vcc_lo, 10, v30
	s_delay_alu instid0(VALU_DEP_2) | instskip(SKIP_1) | instid1(VALU_DEP_2)
	v_cndmask_b32_e32 v33, v33, v12, vcc_lo
	v_cmp_eq_u32_e32 vcc_lo, 11, v30
	v_cndmask_b32_e32 v33, v33, v13, vcc_lo
	v_cmp_eq_u32_e32 vcc_lo, 12, v30
	s_delay_alu instid0(VALU_DEP_2) | instskip(SKIP_1) | instid1(VALU_DEP_2)
	v_cndmask_b32_e32 v33, v33, v14, vcc_lo
	v_cmp_eq_u32_e32 vcc_lo, 13, v30
	v_cndmask_b32_e32 v33, v33, v15, vcc_lo
	v_cmp_eq_u32_e32 vcc_lo, 14, v30
	s_delay_alu instid0(VALU_DEP_2) | instskip(SKIP_1) | instid1(VALU_DEP_2)
	v_cndmask_b32_e32 v33, v33, v16, vcc_lo
	v_cmp_eq_u32_e32 vcc_lo, 15, v30
	v_cndmask_b32_e32 v33, v33, v17, vcc_lo
	v_cmp_eq_u32_e32 vcc_lo, 16, v30
	s_delay_alu instid0(VALU_DEP_2) | instskip(SKIP_1) | instid1(VALU_DEP_2)
	v_cndmask_b32_e32 v33, v33, v18, vcc_lo
	v_cmp_eq_u32_e32 vcc_lo, 17, v30
	v_cndmask_b32_e32 v33, v33, v19, vcc_lo
	v_cmp_eq_u32_e32 vcc_lo, 18, v30
	s_delay_alu instid0(VALU_DEP_2) | instskip(SKIP_1) | instid1(VALU_DEP_2)
	v_cndmask_b32_e32 v33, v33, v20, vcc_lo
	v_cmp_eq_u32_e32 vcc_lo, 19, v30
	v_cndmask_b32_e32 v33, v33, v21, vcc_lo
	v_cmp_eq_u32_e32 vcc_lo, 20, v30
	s_delay_alu instid0(VALU_DEP_2) | instskip(SKIP_1) | instid1(VALU_DEP_2)
	v_cndmask_b32_e32 v33, v33, v22, vcc_lo
	v_cmp_eq_u32_e32 vcc_lo, 21, v30
	v_cndmask_b32_e32 v33, v33, v23, vcc_lo
	v_cmp_eq_u32_e32 vcc_lo, 22, v30
	s_delay_alu instid0(VALU_DEP_2) | instskip(SKIP_1) | instid1(VALU_DEP_2)
	v_cndmask_b32_e32 v33, v33, v24, vcc_lo
	v_cmp_eq_u32_e32 vcc_lo, 23, v30
	v_cndmask_b32_e32 v33, v33, v25, vcc_lo
	v_cmp_eq_u32_e32 vcc_lo, 24, v30
	s_delay_alu instid0(VALU_DEP_2) | instskip(SKIP_1) | instid1(VALU_DEP_2)
	v_cndmask_b32_e32 v33, v33, v26, vcc_lo
	v_cmp_eq_u32_e32 vcc_lo, 25, v30
	v_cndmask_b32_e32 v33, v33, v27, vcc_lo
	v_cmp_eq_u32_e32 vcc_lo, 26, v30
	s_delay_alu instid0(VALU_DEP_2) | instskip(SKIP_2) | instid1(VALU_DEP_2)
	v_cndmask_b32_e32 v33, v33, v28, vcc_lo
	v_cmp_lt_u32_e32 vcc_lo, 14, v30
	s_wait_dscnt 0x0
	v_fmac_f32_e32 v29, v33, v35
	s_or_b32 s2, vcc_lo, s2
	s_delay_alu instid0(SALU_CYCLE_1)
	s_and_not1_b32 exec_lo, exec_lo, s2
	s_cbranch_execnz .LBB26_561
; %bb.562:
	s_or_b32 exec_lo, exec_lo, s2
.LBB26_563:
	s_delay_alu instid0(SALU_CYCLE_1)
	s_or_b32 exec_lo, exec_lo, s1
	v_mov_b32_e32 v18, 0
	ds_load_b32 v18, v18 offset:64
	s_wait_dscnt 0x0
	v_mul_f32_e32 v18, v29, v18
.LBB26_564:
	s_or_b32 exec_lo, exec_lo, s0
	s_delay_alu instid0(SALU_CYCLE_1)
	s_mov_b32 s0, exec_lo
	ds_store_b32 v123, v19
	s_wait_dscnt 0x0
	s_barrier_signal -1
	s_barrier_wait -1
	v_cmpx_gt_u32_e32 17, v0
	s_cbranch_execz .LBB26_574
; %bb.565:
	v_cmp_ne_u32_e32 vcc_lo, 1, v34
	s_cbranch_vccnz .LBB26_567
; %bb.566:
	v_cmp_eq_u32_e32 vcc_lo, 1, v0
	ds_load_b32 v30, v123
	v_cndmask_b32_e32 v29, v2, v3, vcc_lo
	v_cmp_eq_u32_e32 vcc_lo, 2, v0
	s_delay_alu instid0(VALU_DEP_2) | instskip(SKIP_1) | instid1(VALU_DEP_2)
	v_cndmask_b32_e32 v29, v29, v4, vcc_lo
	v_cmp_eq_u32_e32 vcc_lo, 3, v0
	v_cndmask_b32_e32 v29, v29, v5, vcc_lo
	v_cmp_eq_u32_e32 vcc_lo, 4, v0
	s_delay_alu instid0(VALU_DEP_2) | instskip(SKIP_1) | instid1(VALU_DEP_2)
	v_cndmask_b32_e32 v29, v29, v6, vcc_lo
	v_cmp_eq_u32_e32 vcc_lo, 5, v0
	;; [unrolled: 5-line block ×12, first 2 shown]
	v_cndmask_b32_e32 v29, v29, v27, vcc_lo
	v_cmp_eq_u32_e32 vcc_lo, 26, v0
	s_delay_alu instid0(VALU_DEP_2) | instskip(SKIP_1) | instid1(VALU_DEP_1)
	v_cndmask_b32_e32 v29, v29, v28, vcc_lo
	s_wait_dscnt 0x0
	v_mul_f32_e32 v29, v29, v30
	s_cbranch_execz .LBB26_568
	s_branch .LBB26_569
.LBB26_567:
                                        ; implicit-def: $vgpr29
.LBB26_568:
	ds_load_b32 v29, v123
.LBB26_569:
	s_mov_b32 s1, exec_lo
	v_cmpx_ne_u32_e32 16, v0
	s_cbranch_execz .LBB26_573
; %bb.570:
	v_mov_b64_e32 v[30:31], v[0:1]
	v_lshl_add_u32 v32, v0, 2, 0x74
	s_mov_b32 s2, 0
.LBB26_571:                             ; =>This Inner Loop Header: Depth=1
	s_delay_alu instid0(VALU_DEP_2)
	v_add_nc_u64_e32 v[30:31], 1, v[30:31]
	ds_load_b32 v35, v32
	v_add_nc_u32_e32 v32, 4, v32
	v_cmp_eq_u32_e32 vcc_lo, 1, v30
	v_cndmask_b32_e32 v33, v2, v3, vcc_lo
	v_cmp_eq_u32_e32 vcc_lo, 2, v30
	s_delay_alu instid0(VALU_DEP_2) | instskip(SKIP_1) | instid1(VALU_DEP_2)
	v_cndmask_b32_e32 v33, v33, v4, vcc_lo
	v_cmp_eq_u32_e32 vcc_lo, 3, v30
	v_cndmask_b32_e32 v33, v33, v5, vcc_lo
	v_cmp_eq_u32_e32 vcc_lo, 4, v30
	s_delay_alu instid0(VALU_DEP_2) | instskip(SKIP_1) | instid1(VALU_DEP_2)
	v_cndmask_b32_e32 v33, v33, v6, vcc_lo
	;; [unrolled: 5-line block ×12, first 2 shown]
	v_cmp_eq_u32_e32 vcc_lo, 25, v30
	v_cndmask_b32_e32 v33, v33, v27, vcc_lo
	v_cmp_eq_u32_e32 vcc_lo, 26, v30
	s_delay_alu instid0(VALU_DEP_2) | instskip(SKIP_2) | instid1(VALU_DEP_2)
	v_cndmask_b32_e32 v33, v33, v28, vcc_lo
	v_cmp_lt_u32_e32 vcc_lo, 15, v30
	s_wait_dscnt 0x0
	v_fmac_f32_e32 v29, v33, v35
	s_or_b32 s2, vcc_lo, s2
	s_delay_alu instid0(SALU_CYCLE_1)
	s_and_not1_b32 exec_lo, exec_lo, s2
	s_cbranch_execnz .LBB26_571
; %bb.572:
	s_or_b32 exec_lo, exec_lo, s2
.LBB26_573:
	s_delay_alu instid0(SALU_CYCLE_1)
	s_or_b32 exec_lo, exec_lo, s1
	v_mov_b32_e32 v19, 0
	ds_load_b32 v19, v19 offset:68
	s_wait_dscnt 0x0
	v_mul_f32_e32 v19, v29, v19
.LBB26_574:
	s_or_b32 exec_lo, exec_lo, s0
	s_delay_alu instid0(SALU_CYCLE_1)
	s_mov_b32 s0, exec_lo
	ds_store_b32 v123, v20
	s_wait_dscnt 0x0
	s_barrier_signal -1
	s_barrier_wait -1
	v_cmpx_gt_u32_e32 18, v0
	s_cbranch_execz .LBB26_584
; %bb.575:
	v_cmp_ne_u32_e32 vcc_lo, 1, v34
	s_cbranch_vccnz .LBB26_577
; %bb.576:
	v_cmp_eq_u32_e32 vcc_lo, 1, v0
	ds_load_b32 v30, v123
	v_cndmask_b32_e32 v29, v2, v3, vcc_lo
	v_cmp_eq_u32_e32 vcc_lo, 2, v0
	s_delay_alu instid0(VALU_DEP_2) | instskip(SKIP_1) | instid1(VALU_DEP_2)
	v_cndmask_b32_e32 v29, v29, v4, vcc_lo
	v_cmp_eq_u32_e32 vcc_lo, 3, v0
	v_cndmask_b32_e32 v29, v29, v5, vcc_lo
	v_cmp_eq_u32_e32 vcc_lo, 4, v0
	s_delay_alu instid0(VALU_DEP_2) | instskip(SKIP_1) | instid1(VALU_DEP_2)
	v_cndmask_b32_e32 v29, v29, v6, vcc_lo
	v_cmp_eq_u32_e32 vcc_lo, 5, v0
	v_cndmask_b32_e32 v29, v29, v7, vcc_lo
	v_cmp_eq_u32_e32 vcc_lo, 6, v0
	s_delay_alu instid0(VALU_DEP_2) | instskip(SKIP_1) | instid1(VALU_DEP_2)
	v_cndmask_b32_e32 v29, v29, v8, vcc_lo
	v_cmp_eq_u32_e32 vcc_lo, 7, v0
	v_cndmask_b32_e32 v29, v29, v9, vcc_lo
	v_cmp_eq_u32_e32 vcc_lo, 8, v0
	s_delay_alu instid0(VALU_DEP_2) | instskip(SKIP_1) | instid1(VALU_DEP_2)
	v_cndmask_b32_e32 v29, v29, v10, vcc_lo
	v_cmp_eq_u32_e32 vcc_lo, 9, v0
	v_cndmask_b32_e32 v29, v29, v11, vcc_lo
	v_cmp_eq_u32_e32 vcc_lo, 10, v0
	s_delay_alu instid0(VALU_DEP_2) | instskip(SKIP_1) | instid1(VALU_DEP_2)
	v_cndmask_b32_e32 v29, v29, v12, vcc_lo
	v_cmp_eq_u32_e32 vcc_lo, 11, v0
	v_cndmask_b32_e32 v29, v29, v13, vcc_lo
	v_cmp_eq_u32_e32 vcc_lo, 12, v0
	s_delay_alu instid0(VALU_DEP_2) | instskip(SKIP_1) | instid1(VALU_DEP_2)
	v_cndmask_b32_e32 v29, v29, v14, vcc_lo
	v_cmp_eq_u32_e32 vcc_lo, 13, v0
	v_cndmask_b32_e32 v29, v29, v15, vcc_lo
	v_cmp_eq_u32_e32 vcc_lo, 14, v0
	s_delay_alu instid0(VALU_DEP_2) | instskip(SKIP_1) | instid1(VALU_DEP_2)
	v_cndmask_b32_e32 v29, v29, v16, vcc_lo
	v_cmp_eq_u32_e32 vcc_lo, 15, v0
	v_cndmask_b32_e32 v29, v29, v17, vcc_lo
	v_cmp_eq_u32_e32 vcc_lo, 16, v0
	s_delay_alu instid0(VALU_DEP_2) | instskip(SKIP_1) | instid1(VALU_DEP_2)
	v_cndmask_b32_e32 v29, v29, v18, vcc_lo
	v_cmp_eq_u32_e32 vcc_lo, 17, v0
	v_cndmask_b32_e32 v29, v29, v19, vcc_lo
	v_cmp_eq_u32_e32 vcc_lo, 18, v0
	s_delay_alu instid0(VALU_DEP_2) | instskip(SKIP_1) | instid1(VALU_DEP_2)
	v_cndmask_b32_e32 v29, v29, v20, vcc_lo
	v_cmp_eq_u32_e32 vcc_lo, 19, v0
	v_cndmask_b32_e32 v29, v29, v21, vcc_lo
	v_cmp_eq_u32_e32 vcc_lo, 20, v0
	s_delay_alu instid0(VALU_DEP_2) | instskip(SKIP_1) | instid1(VALU_DEP_2)
	v_cndmask_b32_e32 v29, v29, v22, vcc_lo
	v_cmp_eq_u32_e32 vcc_lo, 21, v0
	v_cndmask_b32_e32 v29, v29, v23, vcc_lo
	v_cmp_eq_u32_e32 vcc_lo, 22, v0
	s_delay_alu instid0(VALU_DEP_2) | instskip(SKIP_1) | instid1(VALU_DEP_2)
	v_cndmask_b32_e32 v29, v29, v24, vcc_lo
	v_cmp_eq_u32_e32 vcc_lo, 23, v0
	v_cndmask_b32_e32 v29, v29, v25, vcc_lo
	v_cmp_eq_u32_e32 vcc_lo, 24, v0
	s_delay_alu instid0(VALU_DEP_2) | instskip(SKIP_1) | instid1(VALU_DEP_2)
	v_cndmask_b32_e32 v29, v29, v26, vcc_lo
	v_cmp_eq_u32_e32 vcc_lo, 25, v0
	v_cndmask_b32_e32 v29, v29, v27, vcc_lo
	v_cmp_eq_u32_e32 vcc_lo, 26, v0
	s_delay_alu instid0(VALU_DEP_2) | instskip(SKIP_1) | instid1(VALU_DEP_1)
	v_cndmask_b32_e32 v29, v29, v28, vcc_lo
	s_wait_dscnt 0x0
	v_mul_f32_e32 v29, v29, v30
	s_cbranch_execz .LBB26_578
	s_branch .LBB26_579
.LBB26_577:
                                        ; implicit-def: $vgpr29
.LBB26_578:
	ds_load_b32 v29, v123
.LBB26_579:
	s_mov_b32 s1, exec_lo
	v_cmpx_ne_u32_e32 17, v0
	s_cbranch_execz .LBB26_583
; %bb.580:
	v_mov_b64_e32 v[30:31], v[0:1]
	v_lshl_add_u32 v32, v0, 2, 0x74
	s_mov_b32 s2, 0
.LBB26_581:                             ; =>This Inner Loop Header: Depth=1
	s_delay_alu instid0(VALU_DEP_2)
	v_add_nc_u64_e32 v[30:31], 1, v[30:31]
	ds_load_b32 v35, v32
	v_add_nc_u32_e32 v32, 4, v32
	v_cmp_eq_u32_e32 vcc_lo, 1, v30
	v_cndmask_b32_e32 v33, v2, v3, vcc_lo
	v_cmp_eq_u32_e32 vcc_lo, 2, v30
	s_delay_alu instid0(VALU_DEP_2) | instskip(SKIP_1) | instid1(VALU_DEP_2)
	v_cndmask_b32_e32 v33, v33, v4, vcc_lo
	v_cmp_eq_u32_e32 vcc_lo, 3, v30
	v_cndmask_b32_e32 v33, v33, v5, vcc_lo
	v_cmp_eq_u32_e32 vcc_lo, 4, v30
	s_delay_alu instid0(VALU_DEP_2) | instskip(SKIP_1) | instid1(VALU_DEP_2)
	v_cndmask_b32_e32 v33, v33, v6, vcc_lo
	;; [unrolled: 5-line block ×12, first 2 shown]
	v_cmp_eq_u32_e32 vcc_lo, 25, v30
	v_cndmask_b32_e32 v33, v33, v27, vcc_lo
	v_cmp_eq_u32_e32 vcc_lo, 26, v30
	s_delay_alu instid0(VALU_DEP_2) | instskip(SKIP_2) | instid1(VALU_DEP_2)
	v_cndmask_b32_e32 v33, v33, v28, vcc_lo
	v_cmp_lt_u32_e32 vcc_lo, 16, v30
	s_wait_dscnt 0x0
	v_fmac_f32_e32 v29, v33, v35
	s_or_b32 s2, vcc_lo, s2
	s_delay_alu instid0(SALU_CYCLE_1)
	s_and_not1_b32 exec_lo, exec_lo, s2
	s_cbranch_execnz .LBB26_581
; %bb.582:
	s_or_b32 exec_lo, exec_lo, s2
.LBB26_583:
	s_delay_alu instid0(SALU_CYCLE_1)
	s_or_b32 exec_lo, exec_lo, s1
	v_mov_b32_e32 v20, 0
	ds_load_b32 v20, v20 offset:72
	s_wait_dscnt 0x0
	v_mul_f32_e32 v20, v29, v20
.LBB26_584:
	s_or_b32 exec_lo, exec_lo, s0
	s_delay_alu instid0(SALU_CYCLE_1)
	s_mov_b32 s0, exec_lo
	ds_store_b32 v123, v21
	s_wait_dscnt 0x0
	s_barrier_signal -1
	s_barrier_wait -1
	v_cmpx_gt_u32_e32 19, v0
	s_cbranch_execz .LBB26_594
; %bb.585:
	v_cmp_ne_u32_e32 vcc_lo, 1, v34
	s_cbranch_vccnz .LBB26_587
; %bb.586:
	v_cmp_eq_u32_e32 vcc_lo, 1, v0
	ds_load_b32 v30, v123
	v_cndmask_b32_e32 v29, v2, v3, vcc_lo
	v_cmp_eq_u32_e32 vcc_lo, 2, v0
	s_delay_alu instid0(VALU_DEP_2) | instskip(SKIP_1) | instid1(VALU_DEP_2)
	v_cndmask_b32_e32 v29, v29, v4, vcc_lo
	v_cmp_eq_u32_e32 vcc_lo, 3, v0
	v_cndmask_b32_e32 v29, v29, v5, vcc_lo
	v_cmp_eq_u32_e32 vcc_lo, 4, v0
	s_delay_alu instid0(VALU_DEP_2) | instskip(SKIP_1) | instid1(VALU_DEP_2)
	v_cndmask_b32_e32 v29, v29, v6, vcc_lo
	v_cmp_eq_u32_e32 vcc_lo, 5, v0
	;; [unrolled: 5-line block ×12, first 2 shown]
	v_cndmask_b32_e32 v29, v29, v27, vcc_lo
	v_cmp_eq_u32_e32 vcc_lo, 26, v0
	s_delay_alu instid0(VALU_DEP_2) | instskip(SKIP_1) | instid1(VALU_DEP_1)
	v_cndmask_b32_e32 v29, v29, v28, vcc_lo
	s_wait_dscnt 0x0
	v_mul_f32_e32 v29, v29, v30
	s_cbranch_execz .LBB26_588
	s_branch .LBB26_589
.LBB26_587:
                                        ; implicit-def: $vgpr29
.LBB26_588:
	ds_load_b32 v29, v123
.LBB26_589:
	s_mov_b32 s1, exec_lo
	v_cmpx_ne_u32_e32 18, v0
	s_cbranch_execz .LBB26_593
; %bb.590:
	v_mov_b64_e32 v[30:31], v[0:1]
	v_lshl_add_u32 v32, v0, 2, 0x74
	s_mov_b32 s2, 0
.LBB26_591:                             ; =>This Inner Loop Header: Depth=1
	s_delay_alu instid0(VALU_DEP_2)
	v_add_nc_u64_e32 v[30:31], 1, v[30:31]
	ds_load_b32 v35, v32
	v_add_nc_u32_e32 v32, 4, v32
	v_cmp_eq_u32_e32 vcc_lo, 1, v30
	v_cndmask_b32_e32 v33, v2, v3, vcc_lo
	v_cmp_eq_u32_e32 vcc_lo, 2, v30
	s_delay_alu instid0(VALU_DEP_2) | instskip(SKIP_1) | instid1(VALU_DEP_2)
	v_cndmask_b32_e32 v33, v33, v4, vcc_lo
	v_cmp_eq_u32_e32 vcc_lo, 3, v30
	v_cndmask_b32_e32 v33, v33, v5, vcc_lo
	v_cmp_eq_u32_e32 vcc_lo, 4, v30
	s_delay_alu instid0(VALU_DEP_2) | instskip(SKIP_1) | instid1(VALU_DEP_2)
	v_cndmask_b32_e32 v33, v33, v6, vcc_lo
	v_cmp_eq_u32_e32 vcc_lo, 5, v30
	v_cndmask_b32_e32 v33, v33, v7, vcc_lo
	v_cmp_eq_u32_e32 vcc_lo, 6, v30
	s_delay_alu instid0(VALU_DEP_2) | instskip(SKIP_1) | instid1(VALU_DEP_2)
	v_cndmask_b32_e32 v33, v33, v8, vcc_lo
	v_cmp_eq_u32_e32 vcc_lo, 7, v30
	v_cndmask_b32_e32 v33, v33, v9, vcc_lo
	v_cmp_eq_u32_e32 vcc_lo, 8, v30
	s_delay_alu instid0(VALU_DEP_2) | instskip(SKIP_1) | instid1(VALU_DEP_2)
	v_cndmask_b32_e32 v33, v33, v10, vcc_lo
	v_cmp_eq_u32_e32 vcc_lo, 9, v30
	v_cndmask_b32_e32 v33, v33, v11, vcc_lo
	v_cmp_eq_u32_e32 vcc_lo, 10, v30
	s_delay_alu instid0(VALU_DEP_2) | instskip(SKIP_1) | instid1(VALU_DEP_2)
	v_cndmask_b32_e32 v33, v33, v12, vcc_lo
	v_cmp_eq_u32_e32 vcc_lo, 11, v30
	v_cndmask_b32_e32 v33, v33, v13, vcc_lo
	v_cmp_eq_u32_e32 vcc_lo, 12, v30
	s_delay_alu instid0(VALU_DEP_2) | instskip(SKIP_1) | instid1(VALU_DEP_2)
	v_cndmask_b32_e32 v33, v33, v14, vcc_lo
	v_cmp_eq_u32_e32 vcc_lo, 13, v30
	v_cndmask_b32_e32 v33, v33, v15, vcc_lo
	v_cmp_eq_u32_e32 vcc_lo, 14, v30
	s_delay_alu instid0(VALU_DEP_2) | instskip(SKIP_1) | instid1(VALU_DEP_2)
	v_cndmask_b32_e32 v33, v33, v16, vcc_lo
	v_cmp_eq_u32_e32 vcc_lo, 15, v30
	v_cndmask_b32_e32 v33, v33, v17, vcc_lo
	v_cmp_eq_u32_e32 vcc_lo, 16, v30
	s_delay_alu instid0(VALU_DEP_2) | instskip(SKIP_1) | instid1(VALU_DEP_2)
	v_cndmask_b32_e32 v33, v33, v18, vcc_lo
	v_cmp_eq_u32_e32 vcc_lo, 17, v30
	v_cndmask_b32_e32 v33, v33, v19, vcc_lo
	v_cmp_eq_u32_e32 vcc_lo, 18, v30
	s_delay_alu instid0(VALU_DEP_2) | instskip(SKIP_1) | instid1(VALU_DEP_2)
	v_cndmask_b32_e32 v33, v33, v20, vcc_lo
	v_cmp_eq_u32_e32 vcc_lo, 19, v30
	v_cndmask_b32_e32 v33, v33, v21, vcc_lo
	v_cmp_eq_u32_e32 vcc_lo, 20, v30
	s_delay_alu instid0(VALU_DEP_2) | instskip(SKIP_1) | instid1(VALU_DEP_2)
	v_cndmask_b32_e32 v33, v33, v22, vcc_lo
	v_cmp_eq_u32_e32 vcc_lo, 21, v30
	v_cndmask_b32_e32 v33, v33, v23, vcc_lo
	v_cmp_eq_u32_e32 vcc_lo, 22, v30
	s_delay_alu instid0(VALU_DEP_2) | instskip(SKIP_1) | instid1(VALU_DEP_2)
	v_cndmask_b32_e32 v33, v33, v24, vcc_lo
	v_cmp_eq_u32_e32 vcc_lo, 23, v30
	v_cndmask_b32_e32 v33, v33, v25, vcc_lo
	v_cmp_eq_u32_e32 vcc_lo, 24, v30
	s_delay_alu instid0(VALU_DEP_2) | instskip(SKIP_1) | instid1(VALU_DEP_2)
	v_cndmask_b32_e32 v33, v33, v26, vcc_lo
	v_cmp_eq_u32_e32 vcc_lo, 25, v30
	v_cndmask_b32_e32 v33, v33, v27, vcc_lo
	v_cmp_eq_u32_e32 vcc_lo, 26, v30
	s_delay_alu instid0(VALU_DEP_2) | instskip(SKIP_2) | instid1(VALU_DEP_2)
	v_cndmask_b32_e32 v33, v33, v28, vcc_lo
	v_cmp_lt_u32_e32 vcc_lo, 17, v30
	s_wait_dscnt 0x0
	v_fmac_f32_e32 v29, v33, v35
	s_or_b32 s2, vcc_lo, s2
	s_delay_alu instid0(SALU_CYCLE_1)
	s_and_not1_b32 exec_lo, exec_lo, s2
	s_cbranch_execnz .LBB26_591
; %bb.592:
	s_or_b32 exec_lo, exec_lo, s2
.LBB26_593:
	s_delay_alu instid0(SALU_CYCLE_1)
	s_or_b32 exec_lo, exec_lo, s1
	v_mov_b32_e32 v21, 0
	ds_load_b32 v21, v21 offset:76
	s_wait_dscnt 0x0
	v_mul_f32_e32 v21, v29, v21
.LBB26_594:
	s_or_b32 exec_lo, exec_lo, s0
	s_delay_alu instid0(SALU_CYCLE_1)
	s_mov_b32 s0, exec_lo
	ds_store_b32 v123, v22
	s_wait_dscnt 0x0
	s_barrier_signal -1
	s_barrier_wait -1
	v_cmpx_gt_u32_e32 20, v0
	s_cbranch_execz .LBB26_604
; %bb.595:
	v_cmp_ne_u32_e32 vcc_lo, 1, v34
	s_cbranch_vccnz .LBB26_597
; %bb.596:
	v_cmp_eq_u32_e32 vcc_lo, 1, v0
	ds_load_b32 v30, v123
	v_cndmask_b32_e32 v29, v2, v3, vcc_lo
	v_cmp_eq_u32_e32 vcc_lo, 2, v0
	s_delay_alu instid0(VALU_DEP_2) | instskip(SKIP_1) | instid1(VALU_DEP_2)
	v_cndmask_b32_e32 v29, v29, v4, vcc_lo
	v_cmp_eq_u32_e32 vcc_lo, 3, v0
	v_cndmask_b32_e32 v29, v29, v5, vcc_lo
	v_cmp_eq_u32_e32 vcc_lo, 4, v0
	s_delay_alu instid0(VALU_DEP_2) | instskip(SKIP_1) | instid1(VALU_DEP_2)
	v_cndmask_b32_e32 v29, v29, v6, vcc_lo
	v_cmp_eq_u32_e32 vcc_lo, 5, v0
	;; [unrolled: 5-line block ×12, first 2 shown]
	v_cndmask_b32_e32 v29, v29, v27, vcc_lo
	v_cmp_eq_u32_e32 vcc_lo, 26, v0
	s_delay_alu instid0(VALU_DEP_2) | instskip(SKIP_1) | instid1(VALU_DEP_1)
	v_cndmask_b32_e32 v29, v29, v28, vcc_lo
	s_wait_dscnt 0x0
	v_mul_f32_e32 v29, v29, v30
	s_cbranch_execz .LBB26_598
	s_branch .LBB26_599
.LBB26_597:
                                        ; implicit-def: $vgpr29
.LBB26_598:
	ds_load_b32 v29, v123
.LBB26_599:
	s_mov_b32 s1, exec_lo
	v_cmpx_ne_u32_e32 19, v0
	s_cbranch_execz .LBB26_603
; %bb.600:
	v_mov_b64_e32 v[30:31], v[0:1]
	v_lshl_add_u32 v32, v0, 2, 0x74
	s_mov_b32 s2, 0
.LBB26_601:                             ; =>This Inner Loop Header: Depth=1
	s_delay_alu instid0(VALU_DEP_2)
	v_add_nc_u64_e32 v[30:31], 1, v[30:31]
	ds_load_b32 v35, v32
	v_add_nc_u32_e32 v32, 4, v32
	v_cmp_eq_u32_e32 vcc_lo, 1, v30
	v_cndmask_b32_e32 v33, v2, v3, vcc_lo
	v_cmp_eq_u32_e32 vcc_lo, 2, v30
	s_delay_alu instid0(VALU_DEP_2) | instskip(SKIP_1) | instid1(VALU_DEP_2)
	v_cndmask_b32_e32 v33, v33, v4, vcc_lo
	v_cmp_eq_u32_e32 vcc_lo, 3, v30
	v_cndmask_b32_e32 v33, v33, v5, vcc_lo
	v_cmp_eq_u32_e32 vcc_lo, 4, v30
	s_delay_alu instid0(VALU_DEP_2) | instskip(SKIP_1) | instid1(VALU_DEP_2)
	v_cndmask_b32_e32 v33, v33, v6, vcc_lo
	;; [unrolled: 5-line block ×12, first 2 shown]
	v_cmp_eq_u32_e32 vcc_lo, 25, v30
	v_cndmask_b32_e32 v33, v33, v27, vcc_lo
	v_cmp_eq_u32_e32 vcc_lo, 26, v30
	s_delay_alu instid0(VALU_DEP_2) | instskip(SKIP_2) | instid1(VALU_DEP_2)
	v_cndmask_b32_e32 v33, v33, v28, vcc_lo
	v_cmp_lt_u32_e32 vcc_lo, 18, v30
	s_wait_dscnt 0x0
	v_fmac_f32_e32 v29, v33, v35
	s_or_b32 s2, vcc_lo, s2
	s_delay_alu instid0(SALU_CYCLE_1)
	s_and_not1_b32 exec_lo, exec_lo, s2
	s_cbranch_execnz .LBB26_601
; %bb.602:
	s_or_b32 exec_lo, exec_lo, s2
.LBB26_603:
	s_delay_alu instid0(SALU_CYCLE_1)
	s_or_b32 exec_lo, exec_lo, s1
	v_mov_b32_e32 v22, 0
	ds_load_b32 v22, v22 offset:80
	s_wait_dscnt 0x0
	v_mul_f32_e32 v22, v29, v22
.LBB26_604:
	s_or_b32 exec_lo, exec_lo, s0
	s_delay_alu instid0(SALU_CYCLE_1)
	s_mov_b32 s0, exec_lo
	ds_store_b32 v123, v23
	s_wait_dscnt 0x0
	s_barrier_signal -1
	s_barrier_wait -1
	v_cmpx_gt_u32_e32 21, v0
	s_cbranch_execz .LBB26_614
; %bb.605:
	v_cmp_ne_u32_e32 vcc_lo, 1, v34
	s_cbranch_vccnz .LBB26_607
; %bb.606:
	v_cmp_eq_u32_e32 vcc_lo, 1, v0
	ds_load_b32 v30, v123
	v_cndmask_b32_e32 v29, v2, v3, vcc_lo
	v_cmp_eq_u32_e32 vcc_lo, 2, v0
	s_delay_alu instid0(VALU_DEP_2) | instskip(SKIP_1) | instid1(VALU_DEP_2)
	v_cndmask_b32_e32 v29, v29, v4, vcc_lo
	v_cmp_eq_u32_e32 vcc_lo, 3, v0
	v_cndmask_b32_e32 v29, v29, v5, vcc_lo
	v_cmp_eq_u32_e32 vcc_lo, 4, v0
	s_delay_alu instid0(VALU_DEP_2) | instskip(SKIP_1) | instid1(VALU_DEP_2)
	v_cndmask_b32_e32 v29, v29, v6, vcc_lo
	v_cmp_eq_u32_e32 vcc_lo, 5, v0
	;; [unrolled: 5-line block ×12, first 2 shown]
	v_cndmask_b32_e32 v29, v29, v27, vcc_lo
	v_cmp_eq_u32_e32 vcc_lo, 26, v0
	s_delay_alu instid0(VALU_DEP_2) | instskip(SKIP_1) | instid1(VALU_DEP_1)
	v_cndmask_b32_e32 v29, v29, v28, vcc_lo
	s_wait_dscnt 0x0
	v_mul_f32_e32 v29, v29, v30
	s_cbranch_execz .LBB26_608
	s_branch .LBB26_609
.LBB26_607:
                                        ; implicit-def: $vgpr29
.LBB26_608:
	ds_load_b32 v29, v123
.LBB26_609:
	s_mov_b32 s1, exec_lo
	v_cmpx_ne_u32_e32 20, v0
	s_cbranch_execz .LBB26_613
; %bb.610:
	v_mov_b64_e32 v[30:31], v[0:1]
	v_lshl_add_u32 v32, v0, 2, 0x74
	s_mov_b32 s2, 0
.LBB26_611:                             ; =>This Inner Loop Header: Depth=1
	s_delay_alu instid0(VALU_DEP_2)
	v_add_nc_u64_e32 v[30:31], 1, v[30:31]
	ds_load_b32 v35, v32
	v_add_nc_u32_e32 v32, 4, v32
	v_cmp_eq_u32_e32 vcc_lo, 1, v30
	v_cndmask_b32_e32 v33, v2, v3, vcc_lo
	v_cmp_eq_u32_e32 vcc_lo, 2, v30
	s_delay_alu instid0(VALU_DEP_2) | instskip(SKIP_1) | instid1(VALU_DEP_2)
	v_cndmask_b32_e32 v33, v33, v4, vcc_lo
	v_cmp_eq_u32_e32 vcc_lo, 3, v30
	v_cndmask_b32_e32 v33, v33, v5, vcc_lo
	v_cmp_eq_u32_e32 vcc_lo, 4, v30
	s_delay_alu instid0(VALU_DEP_2) | instskip(SKIP_1) | instid1(VALU_DEP_2)
	v_cndmask_b32_e32 v33, v33, v6, vcc_lo
	;; [unrolled: 5-line block ×12, first 2 shown]
	v_cmp_eq_u32_e32 vcc_lo, 25, v30
	v_cndmask_b32_e32 v33, v33, v27, vcc_lo
	v_cmp_eq_u32_e32 vcc_lo, 26, v30
	s_delay_alu instid0(VALU_DEP_2) | instskip(SKIP_2) | instid1(VALU_DEP_2)
	v_cndmask_b32_e32 v33, v33, v28, vcc_lo
	v_cmp_lt_u32_e32 vcc_lo, 19, v30
	s_wait_dscnt 0x0
	v_fmac_f32_e32 v29, v33, v35
	s_or_b32 s2, vcc_lo, s2
	s_delay_alu instid0(SALU_CYCLE_1)
	s_and_not1_b32 exec_lo, exec_lo, s2
	s_cbranch_execnz .LBB26_611
; %bb.612:
	s_or_b32 exec_lo, exec_lo, s2
.LBB26_613:
	s_delay_alu instid0(SALU_CYCLE_1)
	s_or_b32 exec_lo, exec_lo, s1
	v_mov_b32_e32 v23, 0
	ds_load_b32 v23, v23 offset:84
	s_wait_dscnt 0x0
	v_mul_f32_e32 v23, v29, v23
.LBB26_614:
	s_or_b32 exec_lo, exec_lo, s0
	s_delay_alu instid0(SALU_CYCLE_1)
	s_mov_b32 s0, exec_lo
	ds_store_b32 v123, v24
	s_wait_dscnt 0x0
	s_barrier_signal -1
	s_barrier_wait -1
	v_cmpx_gt_u32_e32 22, v0
	s_cbranch_execz .LBB26_624
; %bb.615:
	v_cmp_ne_u32_e32 vcc_lo, 1, v34
	s_cbranch_vccnz .LBB26_617
; %bb.616:
	v_cmp_eq_u32_e32 vcc_lo, 1, v0
	ds_load_b32 v30, v123
	v_cndmask_b32_e32 v29, v2, v3, vcc_lo
	v_cmp_eq_u32_e32 vcc_lo, 2, v0
	s_delay_alu instid0(VALU_DEP_2) | instskip(SKIP_1) | instid1(VALU_DEP_2)
	v_cndmask_b32_e32 v29, v29, v4, vcc_lo
	v_cmp_eq_u32_e32 vcc_lo, 3, v0
	v_cndmask_b32_e32 v29, v29, v5, vcc_lo
	v_cmp_eq_u32_e32 vcc_lo, 4, v0
	s_delay_alu instid0(VALU_DEP_2) | instskip(SKIP_1) | instid1(VALU_DEP_2)
	v_cndmask_b32_e32 v29, v29, v6, vcc_lo
	v_cmp_eq_u32_e32 vcc_lo, 5, v0
	;; [unrolled: 5-line block ×12, first 2 shown]
	v_cndmask_b32_e32 v29, v29, v27, vcc_lo
	v_cmp_eq_u32_e32 vcc_lo, 26, v0
	s_delay_alu instid0(VALU_DEP_2) | instskip(SKIP_1) | instid1(VALU_DEP_1)
	v_cndmask_b32_e32 v29, v29, v28, vcc_lo
	s_wait_dscnt 0x0
	v_mul_f32_e32 v29, v29, v30
	s_cbranch_execz .LBB26_618
	s_branch .LBB26_619
.LBB26_617:
                                        ; implicit-def: $vgpr29
.LBB26_618:
	ds_load_b32 v29, v123
.LBB26_619:
	s_mov_b32 s1, exec_lo
	v_cmpx_ne_u32_e32 21, v0
	s_cbranch_execz .LBB26_623
; %bb.620:
	v_mov_b64_e32 v[30:31], v[0:1]
	v_lshl_add_u32 v32, v0, 2, 0x74
	s_mov_b32 s2, 0
.LBB26_621:                             ; =>This Inner Loop Header: Depth=1
	s_delay_alu instid0(VALU_DEP_2)
	v_add_nc_u64_e32 v[30:31], 1, v[30:31]
	ds_load_b32 v35, v32
	v_add_nc_u32_e32 v32, 4, v32
	v_cmp_eq_u32_e32 vcc_lo, 1, v30
	v_cndmask_b32_e32 v33, v2, v3, vcc_lo
	v_cmp_eq_u32_e32 vcc_lo, 2, v30
	s_delay_alu instid0(VALU_DEP_2) | instskip(SKIP_1) | instid1(VALU_DEP_2)
	v_cndmask_b32_e32 v33, v33, v4, vcc_lo
	v_cmp_eq_u32_e32 vcc_lo, 3, v30
	v_cndmask_b32_e32 v33, v33, v5, vcc_lo
	v_cmp_eq_u32_e32 vcc_lo, 4, v30
	s_delay_alu instid0(VALU_DEP_2) | instskip(SKIP_1) | instid1(VALU_DEP_2)
	v_cndmask_b32_e32 v33, v33, v6, vcc_lo
	;; [unrolled: 5-line block ×12, first 2 shown]
	v_cmp_eq_u32_e32 vcc_lo, 25, v30
	v_cndmask_b32_e32 v33, v33, v27, vcc_lo
	v_cmp_eq_u32_e32 vcc_lo, 26, v30
	s_delay_alu instid0(VALU_DEP_2) | instskip(SKIP_2) | instid1(VALU_DEP_2)
	v_cndmask_b32_e32 v33, v33, v28, vcc_lo
	v_cmp_lt_u32_e32 vcc_lo, 20, v30
	s_wait_dscnt 0x0
	v_fmac_f32_e32 v29, v33, v35
	s_or_b32 s2, vcc_lo, s2
	s_delay_alu instid0(SALU_CYCLE_1)
	s_and_not1_b32 exec_lo, exec_lo, s2
	s_cbranch_execnz .LBB26_621
; %bb.622:
	s_or_b32 exec_lo, exec_lo, s2
.LBB26_623:
	s_delay_alu instid0(SALU_CYCLE_1)
	s_or_b32 exec_lo, exec_lo, s1
	v_mov_b32_e32 v24, 0
	ds_load_b32 v24, v24 offset:88
	s_wait_dscnt 0x0
	v_mul_f32_e32 v24, v29, v24
.LBB26_624:
	s_or_b32 exec_lo, exec_lo, s0
	s_delay_alu instid0(SALU_CYCLE_1)
	s_mov_b32 s0, exec_lo
	ds_store_b32 v123, v25
	s_wait_dscnt 0x0
	s_barrier_signal -1
	s_barrier_wait -1
	v_cmpx_gt_u32_e32 23, v0
	s_cbranch_execz .LBB26_634
; %bb.625:
	v_cmp_ne_u32_e32 vcc_lo, 1, v34
	s_cbranch_vccnz .LBB26_627
; %bb.626:
	v_cmp_eq_u32_e32 vcc_lo, 1, v0
	ds_load_b32 v30, v123
	v_cndmask_b32_e32 v29, v2, v3, vcc_lo
	v_cmp_eq_u32_e32 vcc_lo, 2, v0
	s_delay_alu instid0(VALU_DEP_2) | instskip(SKIP_1) | instid1(VALU_DEP_2)
	v_cndmask_b32_e32 v29, v29, v4, vcc_lo
	v_cmp_eq_u32_e32 vcc_lo, 3, v0
	v_cndmask_b32_e32 v29, v29, v5, vcc_lo
	v_cmp_eq_u32_e32 vcc_lo, 4, v0
	s_delay_alu instid0(VALU_DEP_2) | instskip(SKIP_1) | instid1(VALU_DEP_2)
	v_cndmask_b32_e32 v29, v29, v6, vcc_lo
	v_cmp_eq_u32_e32 vcc_lo, 5, v0
	;; [unrolled: 5-line block ×12, first 2 shown]
	v_cndmask_b32_e32 v29, v29, v27, vcc_lo
	v_cmp_eq_u32_e32 vcc_lo, 26, v0
	s_delay_alu instid0(VALU_DEP_2) | instskip(SKIP_1) | instid1(VALU_DEP_1)
	v_cndmask_b32_e32 v29, v29, v28, vcc_lo
	s_wait_dscnt 0x0
	v_mul_f32_e32 v29, v29, v30
	s_cbranch_execz .LBB26_628
	s_branch .LBB26_629
.LBB26_627:
                                        ; implicit-def: $vgpr29
.LBB26_628:
	ds_load_b32 v29, v123
.LBB26_629:
	s_mov_b32 s1, exec_lo
	v_cmpx_ne_u32_e32 22, v0
	s_cbranch_execz .LBB26_633
; %bb.630:
	v_mov_b64_e32 v[30:31], v[0:1]
	v_lshl_add_u32 v32, v0, 2, 0x74
	s_mov_b32 s2, 0
.LBB26_631:                             ; =>This Inner Loop Header: Depth=1
	s_delay_alu instid0(VALU_DEP_2)
	v_add_nc_u64_e32 v[30:31], 1, v[30:31]
	ds_load_b32 v35, v32
	v_add_nc_u32_e32 v32, 4, v32
	v_cmp_eq_u32_e32 vcc_lo, 1, v30
	v_cndmask_b32_e32 v33, v2, v3, vcc_lo
	v_cmp_eq_u32_e32 vcc_lo, 2, v30
	s_delay_alu instid0(VALU_DEP_2) | instskip(SKIP_1) | instid1(VALU_DEP_2)
	v_cndmask_b32_e32 v33, v33, v4, vcc_lo
	v_cmp_eq_u32_e32 vcc_lo, 3, v30
	v_cndmask_b32_e32 v33, v33, v5, vcc_lo
	v_cmp_eq_u32_e32 vcc_lo, 4, v30
	s_delay_alu instid0(VALU_DEP_2) | instskip(SKIP_1) | instid1(VALU_DEP_2)
	v_cndmask_b32_e32 v33, v33, v6, vcc_lo
	;; [unrolled: 5-line block ×12, first 2 shown]
	v_cmp_eq_u32_e32 vcc_lo, 25, v30
	v_cndmask_b32_e32 v33, v33, v27, vcc_lo
	v_cmp_eq_u32_e32 vcc_lo, 26, v30
	s_delay_alu instid0(VALU_DEP_2) | instskip(SKIP_2) | instid1(VALU_DEP_2)
	v_cndmask_b32_e32 v33, v33, v28, vcc_lo
	v_cmp_lt_u32_e32 vcc_lo, 21, v30
	s_wait_dscnt 0x0
	v_fmac_f32_e32 v29, v33, v35
	s_or_b32 s2, vcc_lo, s2
	s_delay_alu instid0(SALU_CYCLE_1)
	s_and_not1_b32 exec_lo, exec_lo, s2
	s_cbranch_execnz .LBB26_631
; %bb.632:
	s_or_b32 exec_lo, exec_lo, s2
.LBB26_633:
	s_delay_alu instid0(SALU_CYCLE_1)
	s_or_b32 exec_lo, exec_lo, s1
	v_mov_b32_e32 v25, 0
	ds_load_b32 v25, v25 offset:92
	s_wait_dscnt 0x0
	v_mul_f32_e32 v25, v29, v25
.LBB26_634:
	s_or_b32 exec_lo, exec_lo, s0
	s_delay_alu instid0(SALU_CYCLE_1)
	s_mov_b32 s0, exec_lo
	ds_store_b32 v123, v26
	s_wait_dscnt 0x0
	s_barrier_signal -1
	s_barrier_wait -1
	v_cmpx_gt_u32_e32 24, v0
	s_cbranch_execz .LBB26_644
; %bb.635:
	v_cmp_ne_u32_e32 vcc_lo, 1, v34
	s_cbranch_vccnz .LBB26_637
; %bb.636:
	v_cmp_eq_u32_e32 vcc_lo, 1, v0
	ds_load_b32 v30, v123
	v_cndmask_b32_e32 v29, v2, v3, vcc_lo
	v_cmp_eq_u32_e32 vcc_lo, 2, v0
	s_delay_alu instid0(VALU_DEP_2) | instskip(SKIP_1) | instid1(VALU_DEP_2)
	v_cndmask_b32_e32 v29, v29, v4, vcc_lo
	v_cmp_eq_u32_e32 vcc_lo, 3, v0
	v_cndmask_b32_e32 v29, v29, v5, vcc_lo
	v_cmp_eq_u32_e32 vcc_lo, 4, v0
	s_delay_alu instid0(VALU_DEP_2) | instskip(SKIP_1) | instid1(VALU_DEP_2)
	v_cndmask_b32_e32 v29, v29, v6, vcc_lo
	v_cmp_eq_u32_e32 vcc_lo, 5, v0
	;; [unrolled: 5-line block ×12, first 2 shown]
	v_cndmask_b32_e32 v29, v29, v27, vcc_lo
	v_cmp_eq_u32_e32 vcc_lo, 26, v0
	s_delay_alu instid0(VALU_DEP_2) | instskip(SKIP_1) | instid1(VALU_DEP_1)
	v_cndmask_b32_e32 v29, v29, v28, vcc_lo
	s_wait_dscnt 0x0
	v_mul_f32_e32 v29, v29, v30
	s_cbranch_execz .LBB26_638
	s_branch .LBB26_639
.LBB26_637:
                                        ; implicit-def: $vgpr29
.LBB26_638:
	ds_load_b32 v29, v123
.LBB26_639:
	s_mov_b32 s1, exec_lo
	v_cmpx_ne_u32_e32 23, v0
	s_cbranch_execz .LBB26_643
; %bb.640:
	v_mov_b64_e32 v[30:31], v[0:1]
	v_lshl_add_u32 v32, v0, 2, 0x74
	s_mov_b32 s2, 0
.LBB26_641:                             ; =>This Inner Loop Header: Depth=1
	s_delay_alu instid0(VALU_DEP_2)
	v_add_nc_u64_e32 v[30:31], 1, v[30:31]
	ds_load_b32 v35, v32
	v_add_nc_u32_e32 v32, 4, v32
	v_cmp_eq_u32_e32 vcc_lo, 1, v30
	v_cndmask_b32_e32 v33, v2, v3, vcc_lo
	v_cmp_eq_u32_e32 vcc_lo, 2, v30
	s_delay_alu instid0(VALU_DEP_2) | instskip(SKIP_1) | instid1(VALU_DEP_2)
	v_cndmask_b32_e32 v33, v33, v4, vcc_lo
	v_cmp_eq_u32_e32 vcc_lo, 3, v30
	v_cndmask_b32_e32 v33, v33, v5, vcc_lo
	v_cmp_eq_u32_e32 vcc_lo, 4, v30
	s_delay_alu instid0(VALU_DEP_2) | instskip(SKIP_1) | instid1(VALU_DEP_2)
	v_cndmask_b32_e32 v33, v33, v6, vcc_lo
	;; [unrolled: 5-line block ×12, first 2 shown]
	v_cmp_eq_u32_e32 vcc_lo, 25, v30
	v_cndmask_b32_e32 v33, v33, v27, vcc_lo
	v_cmp_eq_u32_e32 vcc_lo, 26, v30
	s_delay_alu instid0(VALU_DEP_2) | instskip(SKIP_2) | instid1(VALU_DEP_2)
	v_cndmask_b32_e32 v33, v33, v28, vcc_lo
	v_cmp_lt_u32_e32 vcc_lo, 22, v30
	s_wait_dscnt 0x0
	v_fmac_f32_e32 v29, v33, v35
	s_or_b32 s2, vcc_lo, s2
	s_delay_alu instid0(SALU_CYCLE_1)
	s_and_not1_b32 exec_lo, exec_lo, s2
	s_cbranch_execnz .LBB26_641
; %bb.642:
	s_or_b32 exec_lo, exec_lo, s2
.LBB26_643:
	s_delay_alu instid0(SALU_CYCLE_1)
	s_or_b32 exec_lo, exec_lo, s1
	v_mov_b32_e32 v26, 0
	ds_load_b32 v26, v26 offset:96
	s_wait_dscnt 0x0
	v_mul_f32_e32 v26, v29, v26
.LBB26_644:
	s_or_b32 exec_lo, exec_lo, s0
	v_cmp_gt_u32_e64 s0, 25, v0
	ds_store_b32 v123, v27
	s_wait_dscnt 0x0
	s_barrier_signal -1
	s_barrier_wait -1
	s_and_saveexec_b32 s1, s0
	s_cbranch_execz .LBB26_654
; %bb.645:
	v_cmp_ne_u32_e32 vcc_lo, 1, v34
	s_cbranch_vccnz .LBB26_647
; %bb.646:
	v_cmp_eq_u32_e32 vcc_lo, 1, v0
	ds_load_b32 v30, v123
	v_cndmask_b32_e32 v29, v2, v3, vcc_lo
	v_cmp_eq_u32_e32 vcc_lo, 2, v0
	s_delay_alu instid0(VALU_DEP_2) | instskip(SKIP_1) | instid1(VALU_DEP_2)
	v_cndmask_b32_e32 v29, v29, v4, vcc_lo
	v_cmp_eq_u32_e32 vcc_lo, 3, v0
	v_cndmask_b32_e32 v29, v29, v5, vcc_lo
	v_cmp_eq_u32_e32 vcc_lo, 4, v0
	s_delay_alu instid0(VALU_DEP_2) | instskip(SKIP_1) | instid1(VALU_DEP_2)
	v_cndmask_b32_e32 v29, v29, v6, vcc_lo
	v_cmp_eq_u32_e32 vcc_lo, 5, v0
	;; [unrolled: 5-line block ×12, first 2 shown]
	v_cndmask_b32_e32 v29, v29, v27, vcc_lo
	v_cmp_eq_u32_e32 vcc_lo, 26, v0
	s_delay_alu instid0(VALU_DEP_2) | instskip(SKIP_1) | instid1(VALU_DEP_1)
	v_cndmask_b32_e32 v29, v29, v28, vcc_lo
	s_wait_dscnt 0x0
	v_mul_f32_e32 v29, v29, v30
	s_cbranch_execz .LBB26_648
	s_branch .LBB26_649
.LBB26_647:
                                        ; implicit-def: $vgpr29
.LBB26_648:
	ds_load_b32 v29, v123
.LBB26_649:
	s_mov_b32 s2, exec_lo
	v_cmpx_ne_u32_e32 24, v0
	s_cbranch_execz .LBB26_653
; %bb.650:
	v_mov_b64_e32 v[30:31], v[0:1]
	v_lshl_add_u32 v32, v0, 2, 0x74
	s_mov_b32 s3, 0
.LBB26_651:                             ; =>This Inner Loop Header: Depth=1
	s_delay_alu instid0(VALU_DEP_2)
	v_add_nc_u64_e32 v[30:31], 1, v[30:31]
	ds_load_b32 v35, v32
	v_add_nc_u32_e32 v32, 4, v32
	v_cmp_eq_u32_e32 vcc_lo, 1, v30
	v_cndmask_b32_e32 v33, v2, v3, vcc_lo
	v_cmp_eq_u32_e32 vcc_lo, 2, v30
	s_delay_alu instid0(VALU_DEP_2) | instskip(SKIP_1) | instid1(VALU_DEP_2)
	v_cndmask_b32_e32 v33, v33, v4, vcc_lo
	v_cmp_eq_u32_e32 vcc_lo, 3, v30
	v_cndmask_b32_e32 v33, v33, v5, vcc_lo
	v_cmp_eq_u32_e32 vcc_lo, 4, v30
	s_delay_alu instid0(VALU_DEP_2) | instskip(SKIP_1) | instid1(VALU_DEP_2)
	v_cndmask_b32_e32 v33, v33, v6, vcc_lo
	;; [unrolled: 5-line block ×12, first 2 shown]
	v_cmp_eq_u32_e32 vcc_lo, 25, v30
	v_cndmask_b32_e32 v33, v33, v27, vcc_lo
	v_cmp_eq_u32_e32 vcc_lo, 26, v30
	s_delay_alu instid0(VALU_DEP_2) | instskip(SKIP_2) | instid1(VALU_DEP_2)
	v_cndmask_b32_e32 v33, v33, v28, vcc_lo
	v_cmp_lt_u32_e32 vcc_lo, 23, v30
	s_wait_dscnt 0x0
	v_fmac_f32_e32 v29, v33, v35
	s_or_b32 s3, vcc_lo, s3
	s_delay_alu instid0(SALU_CYCLE_1)
	s_and_not1_b32 exec_lo, exec_lo, s3
	s_cbranch_execnz .LBB26_651
; %bb.652:
	s_or_b32 exec_lo, exec_lo, s3
.LBB26_653:
	s_delay_alu instid0(SALU_CYCLE_1)
	s_or_b32 exec_lo, exec_lo, s2
	v_mov_b32_e32 v27, 0
	ds_load_b32 v27, v27 offset:100
	s_wait_dscnt 0x0
	v_mul_f32_e32 v27, v29, v27
.LBB26_654:
	s_or_b32 exec_lo, exec_lo, s1
	s_delay_alu instid0(SALU_CYCLE_1)
	s_mov_b32 s1, exec_lo
	ds_store_b32 v123, v28
	s_wait_dscnt 0x0
	s_barrier_signal -1
	s_barrier_wait -1
	v_cmpx_ne_u32_e32 26, v0
	s_cbranch_execz .LBB26_664
; %bb.655:
	v_cmp_ne_u32_e32 vcc_lo, 1, v34
	s_cbranch_vccnz .LBB26_657
; %bb.656:
	v_cmp_eq_u32_e32 vcc_lo, 1, v0
	ds_load_b32 v30, v123
	v_cndmask_b32_e32 v29, v2, v3, vcc_lo
	v_cmp_eq_u32_e32 vcc_lo, 2, v0
	s_delay_alu instid0(VALU_DEP_2) | instskip(SKIP_1) | instid1(VALU_DEP_2)
	v_cndmask_b32_e32 v29, v29, v4, vcc_lo
	v_cmp_eq_u32_e32 vcc_lo, 3, v0
	v_cndmask_b32_e32 v29, v29, v5, vcc_lo
	v_cmp_eq_u32_e32 vcc_lo, 4, v0
	s_delay_alu instid0(VALU_DEP_2) | instskip(SKIP_1) | instid1(VALU_DEP_2)
	v_cndmask_b32_e32 v29, v29, v6, vcc_lo
	v_cmp_eq_u32_e32 vcc_lo, 5, v0
	;; [unrolled: 5-line block ×12, first 2 shown]
	v_cndmask_b32_e32 v29, v29, v27, vcc_lo
	v_cmp_eq_u32_e32 vcc_lo, 26, v0
	s_delay_alu instid0(VALU_DEP_2) | instskip(SKIP_1) | instid1(VALU_DEP_1)
	v_cndmask_b32_e32 v29, v29, v28, vcc_lo
	s_wait_dscnt 0x0
	v_mul_f32_e32 v29, v29, v30
	s_cbranch_execz .LBB26_658
	s_branch .LBB26_659
.LBB26_657:
                                        ; implicit-def: $vgpr29
.LBB26_658:
	ds_load_b32 v29, v123
.LBB26_659:
	s_and_saveexec_b32 s2, s0
	s_cbranch_execz .LBB26_663
; %bb.660:
	v_lshl_add_u32 v30, v0, 2, 0x74
	s_mov_b32 s0, 0
.LBB26_661:                             ; =>This Inner Loop Header: Depth=1
	v_add_nc_u64_e32 v[0:1], 1, v[0:1]
	ds_load_b32 v32, v30
	v_add_nc_u32_e32 v30, 4, v30
	v_cmp_eq_u32_e32 vcc_lo, 1, v0
	v_cndmask_b32_e32 v31, v2, v3, vcc_lo
	v_cmp_eq_u32_e32 vcc_lo, 2, v0
	s_delay_alu instid0(VALU_DEP_2) | instskip(SKIP_1) | instid1(VALU_DEP_2)
	v_cndmask_b32_e32 v31, v31, v4, vcc_lo
	v_cmp_eq_u32_e32 vcc_lo, 3, v0
	v_cndmask_b32_e32 v31, v31, v5, vcc_lo
	v_cmp_eq_u32_e32 vcc_lo, 4, v0
	s_delay_alu instid0(VALU_DEP_2) | instskip(SKIP_1) | instid1(VALU_DEP_2)
	v_cndmask_b32_e32 v31, v31, v6, vcc_lo
	;; [unrolled: 5-line block ×12, first 2 shown]
	v_cmp_eq_u32_e32 vcc_lo, 25, v0
	v_cndmask_b32_e32 v31, v31, v27, vcc_lo
	v_cmp_eq_u32_e32 vcc_lo, 26, v0
	s_delay_alu instid0(VALU_DEP_2) | instskip(SKIP_2) | instid1(VALU_DEP_2)
	v_cndmask_b32_e32 v31, v31, v28, vcc_lo
	v_cmp_lt_u32_e32 vcc_lo, 24, v0
	s_wait_dscnt 0x0
	v_fmac_f32_e32 v29, v31, v32
	s_or_b32 s0, vcc_lo, s0
	s_delay_alu instid0(SALU_CYCLE_1)
	s_and_not1_b32 exec_lo, exec_lo, s0
	s_cbranch_execnz .LBB26_661
; %bb.662:
	s_or_b32 exec_lo, exec_lo, s0
.LBB26_663:
	s_delay_alu instid0(SALU_CYCLE_1)
	s_or_b32 exec_lo, exec_lo, s2
	v_mov_b32_e32 v0, 0
	ds_load_b32 v0, v0 offset:104
	s_wait_dscnt 0x0
	v_mul_f32_e32 v28, v29, v0
.LBB26_664:
	s_or_b32 exec_lo, exec_lo, s1
	v_mov_b64_e32 v[64:65], v[32:33]
	s_delay_alu instid0(VALU_DEP_2)
	v_mov_b64_e32 v[60:61], v[28:29]
	v_mov_b64_e32 v[58:59], v[26:27]
	v_mov_b64_e32 v[56:57], v[24:25]
	v_mov_b64_e32 v[54:55], v[22:23]
	v_mov_b64_e32 v[52:53], v[20:21]
	v_mov_b64_e32 v[50:51], v[18:19]
	v_mov_b64_e32 v[48:49], v[16:17]
	v_mov_b64_e32 v[46:47], v[14:15]
	v_mov_b64_e32 v[44:45], v[12:13]
	v_mov_b64_e32 v[42:43], v[10:11]
	v_mov_b64_e32 v[40:41], v[8:9]
	v_mov_b64_e32 v[38:39], v[6:7]
	v_mov_b64_e32 v[36:37], v[4:5]
	v_mov_b64_e32 v[34:35], v[2:3]
	v_mov_b64_e32 v[62:63], v[30:31]
.LBB26_665:
	s_wait_xcnt 0x2
	v_lshl_add_u64 v[0:1], v[66:67], 2, s[28:29]
	s_wait_loadcnt 0x2
	v_lshl_add_u64 v[2:3], v[68:69], 2, s[28:29]
	v_lshl_add_u64 v[4:5], v[70:71], 2, s[28:29]
	;; [unrolled: 1-line block ×12, first 2 shown]
	s_wait_loadcnt 0x1
	v_lshl_add_u64 v[26:27], v[92:93], 2, s[28:29]
	s_wait_loadcnt 0x0
	v_lshl_add_u64 v[28:29], v[94:95], 2, s[28:29]
	v_lshl_add_u64 v[30:31], v[96:97], 2, s[28:29]
	;; [unrolled: 1-line block ×11, first 2 shown]
	s_clause 0x1a
	global_store_b32 v[102:103], v34, off
	global_store_b32 v[106:107], v35, off
	;; [unrolled: 1-line block ×27, first 2 shown]
.LBB26_666:
	s_sendmsg sendmsg(MSG_DEALLOC_VGPRS)
	s_endpgm
	.section	.rodata,"a",@progbits
	.p2align	6, 0x0
	.amdhsa_kernel _ZN9rocsolver6v33100L18trti2_kernel_smallILi27EfPfEEv13rocblas_fill_17rocblas_diagonal_T1_iil
		.amdhsa_group_segment_fixed_size 220
		.amdhsa_private_segment_fixed_size 0
		.amdhsa_kernarg_size 32
		.amdhsa_user_sgpr_count 2
		.amdhsa_user_sgpr_dispatch_ptr 0
		.amdhsa_user_sgpr_queue_ptr 0
		.amdhsa_user_sgpr_kernarg_segment_ptr 1
		.amdhsa_user_sgpr_dispatch_id 0
		.amdhsa_user_sgpr_kernarg_preload_length 0
		.amdhsa_user_sgpr_kernarg_preload_offset 0
		.amdhsa_user_sgpr_private_segment_size 0
		.amdhsa_wavefront_size32 1
		.amdhsa_uses_dynamic_stack 0
		.amdhsa_enable_private_segment 0
		.amdhsa_system_sgpr_workgroup_id_x 1
		.amdhsa_system_sgpr_workgroup_id_y 0
		.amdhsa_system_sgpr_workgroup_id_z 0
		.amdhsa_system_sgpr_workgroup_info 0
		.amdhsa_system_vgpr_workitem_id 0
		.amdhsa_next_free_vgpr 135
		.amdhsa_next_free_sgpr 44
		.amdhsa_named_barrier_count 0
		.amdhsa_reserve_vcc 1
		.amdhsa_float_round_mode_32 0
		.amdhsa_float_round_mode_16_64 0
		.amdhsa_float_denorm_mode_32 3
		.amdhsa_float_denorm_mode_16_64 3
		.amdhsa_fp16_overflow 0
		.amdhsa_memory_ordered 1
		.amdhsa_forward_progress 1
		.amdhsa_inst_pref_size 255
		.amdhsa_round_robin_scheduling 0
		.amdhsa_exception_fp_ieee_invalid_op 0
		.amdhsa_exception_fp_denorm_src 0
		.amdhsa_exception_fp_ieee_div_zero 0
		.amdhsa_exception_fp_ieee_overflow 0
		.amdhsa_exception_fp_ieee_underflow 0
		.amdhsa_exception_fp_ieee_inexact 0
		.amdhsa_exception_int_div_zero 0
	.end_amdhsa_kernel
	.section	.text._ZN9rocsolver6v33100L18trti2_kernel_smallILi27EfPfEEv13rocblas_fill_17rocblas_diagonal_T1_iil,"axG",@progbits,_ZN9rocsolver6v33100L18trti2_kernel_smallILi27EfPfEEv13rocblas_fill_17rocblas_diagonal_T1_iil,comdat
.Lfunc_end26:
	.size	_ZN9rocsolver6v33100L18trti2_kernel_smallILi27EfPfEEv13rocblas_fill_17rocblas_diagonal_T1_iil, .Lfunc_end26-_ZN9rocsolver6v33100L18trti2_kernel_smallILi27EfPfEEv13rocblas_fill_17rocblas_diagonal_T1_iil
                                        ; -- End function
	.set _ZN9rocsolver6v33100L18trti2_kernel_smallILi27EfPfEEv13rocblas_fill_17rocblas_diagonal_T1_iil.num_vgpr, 135
	.set _ZN9rocsolver6v33100L18trti2_kernel_smallILi27EfPfEEv13rocblas_fill_17rocblas_diagonal_T1_iil.num_agpr, 0
	.set _ZN9rocsolver6v33100L18trti2_kernel_smallILi27EfPfEEv13rocblas_fill_17rocblas_diagonal_T1_iil.numbered_sgpr, 44
	.set _ZN9rocsolver6v33100L18trti2_kernel_smallILi27EfPfEEv13rocblas_fill_17rocblas_diagonal_T1_iil.num_named_barrier, 0
	.set _ZN9rocsolver6v33100L18trti2_kernel_smallILi27EfPfEEv13rocblas_fill_17rocblas_diagonal_T1_iil.private_seg_size, 0
	.set _ZN9rocsolver6v33100L18trti2_kernel_smallILi27EfPfEEv13rocblas_fill_17rocblas_diagonal_T1_iil.uses_vcc, 1
	.set _ZN9rocsolver6v33100L18trti2_kernel_smallILi27EfPfEEv13rocblas_fill_17rocblas_diagonal_T1_iil.uses_flat_scratch, 0
	.set _ZN9rocsolver6v33100L18trti2_kernel_smallILi27EfPfEEv13rocblas_fill_17rocblas_diagonal_T1_iil.has_dyn_sized_stack, 0
	.set _ZN9rocsolver6v33100L18trti2_kernel_smallILi27EfPfEEv13rocblas_fill_17rocblas_diagonal_T1_iil.has_recursion, 0
	.set _ZN9rocsolver6v33100L18trti2_kernel_smallILi27EfPfEEv13rocblas_fill_17rocblas_diagonal_T1_iil.has_indirect_call, 0
	.section	.AMDGPU.csdata,"",@progbits
; Kernel info:
; codeLenInByte = 46540
; TotalNumSgprs: 46
; NumVgprs: 135
; ScratchSize: 0
; MemoryBound: 0
; FloatMode: 240
; IeeeMode: 1
; LDSByteSize: 220 bytes/workgroup (compile time only)
; SGPRBlocks: 0
; VGPRBlocks: 8
; NumSGPRsForWavesPerEU: 46
; NumVGPRsForWavesPerEU: 135
; NamedBarCnt: 0
; Occupancy: 7
; WaveLimiterHint : 0
; COMPUTE_PGM_RSRC2:SCRATCH_EN: 0
; COMPUTE_PGM_RSRC2:USER_SGPR: 2
; COMPUTE_PGM_RSRC2:TRAP_HANDLER: 0
; COMPUTE_PGM_RSRC2:TGID_X_EN: 1
; COMPUTE_PGM_RSRC2:TGID_Y_EN: 0
; COMPUTE_PGM_RSRC2:TGID_Z_EN: 0
; COMPUTE_PGM_RSRC2:TIDIG_COMP_CNT: 0
	.section	.text._ZN9rocsolver6v33100L18trti2_kernel_smallILi28EfPfEEv13rocblas_fill_17rocblas_diagonal_T1_iil,"axG",@progbits,_ZN9rocsolver6v33100L18trti2_kernel_smallILi28EfPfEEv13rocblas_fill_17rocblas_diagonal_T1_iil,comdat
	.globl	_ZN9rocsolver6v33100L18trti2_kernel_smallILi28EfPfEEv13rocblas_fill_17rocblas_diagonal_T1_iil ; -- Begin function _ZN9rocsolver6v33100L18trti2_kernel_smallILi28EfPfEEv13rocblas_fill_17rocblas_diagonal_T1_iil
	.p2align	8
	.type	_ZN9rocsolver6v33100L18trti2_kernel_smallILi28EfPfEEv13rocblas_fill_17rocblas_diagonal_T1_iil,@function
_ZN9rocsolver6v33100L18trti2_kernel_smallILi28EfPfEEv13rocblas_fill_17rocblas_diagonal_T1_iil: ; @_ZN9rocsolver6v33100L18trti2_kernel_smallILi28EfPfEEv13rocblas_fill_17rocblas_diagonal_T1_iil
; %bb.0:
	s_mov_b32 s2, exec_lo
	v_cmpx_gt_u32_e32 28, v0
	s_cbranch_execz .LBB27_692
; %bb.1:
	s_load_b256 s[36:43], s[0:1], 0x0
	s_wait_xcnt 0x0
	s_bfe_u32 s0, ttmp6, 0x4000c
	s_and_b32 s1, ttmp6, 15
	s_add_co_i32 s0, s0, 1
	s_getreg_b32 s2, hwreg(HW_REG_IB_STS2, 6, 4)
	s_mul_i32 s0, ttmp9, s0
	v_mov_b32_e32 v1, 0
	s_add_co_i32 s0, s1, s0
	s_delay_alu instid0(VALU_DEP_1)
	v_mov_b32_e32 v35, v1
	s_wait_kmcnt 0x0
	v_add3_u32 v66, s41, s41, v0
	s_ashr_i32 s1, s40, 31
	s_cmp_eq_u32 s2, 0
	s_cselect_b32 s2, ttmp9, s0
	s_delay_alu instid0(VALU_DEP_1)
	v_add_nc_u32_e32 v68, s41, v66
	s_ashr_i32 s3, s2, 31
	s_mov_b32 s0, s40
	s_mul_u64 s[2:3], s[42:43], s[2:3]
	s_lshl_b64 s[0:1], s[0:1], 2
	v_add_nc_u32_e32 v70, s41, v68
	s_lshl_b64 s[2:3], s[2:3], 2
	s_delay_alu instid0(SALU_CYCLE_1) | instskip(NEXT) | instid1(VALU_DEP_1)
	s_add_nc_u64 s[2:3], s[38:39], s[2:3]
	v_add_nc_u32_e32 v72, s41, v70
	s_add_nc_u64 s[28:29], s[2:3], s[0:1]
	s_mov_b32 s0, s41
	s_ashr_i32 s1, s41, 31
	s_cmp_lg_u32 s37, 0x84
	v_add_nc_u32_e32 v74, s41, v72
	s_cselect_b32 s30, -1, 0
	s_cmp_eq_u32 s37, 0x84
	s_delay_alu instid0(VALU_DEP_1) | instskip(NEXT) | instid1(VALU_DEP_1)
	v_add_nc_u32_e32 v76, s41, v74
	v_add_nc_u32_e32 v78, s41, v76
	s_delay_alu instid0(VALU_DEP_1) | instskip(NEXT) | instid1(VALU_DEP_1)
	v_add_nc_u32_e32 v80, s41, v78
	v_add_nc_u32_e32 v82, s41, v80
	;; [unrolled: 3-line block ×7, first 2 shown]
	s_delay_alu instid0(VALU_DEP_1) | instskip(NEXT) | instid1(VALU_DEP_1)
	v_dual_lshlrev_b32 v34, 2, v0 :: v_dual_add_nc_u32 v106, s41, v102
	v_add_nc_u64_e32 v[104:105], s[28:29], v[34:35]
	s_delay_alu instid0(VALU_DEP_2) | instskip(NEXT) | instid1(VALU_DEP_2)
	v_dual_mov_b32 v35, -1.0 :: v_dual_add_nc_u32 v110, s41, v106
	v_lshl_add_u64 v[108:109], s[0:1], 2, v[104:105]
	s_clause 0x7
	global_load_b32 v3, v[108:109], off
	global_load_b32 v4, v66, s[28:29] scale_offset
	global_load_b32 v5, v68, s[28:29] scale_offset
	;; [unrolled: 1-line block ×7, first 2 shown]
	v_add_nc_u32_e32 v112, s41, v110
	s_clause 0x7
	global_load_b32 v11, v80, s[28:29] scale_offset
	global_load_b32 v12, v82, s[28:29] scale_offset
	;; [unrolled: 1-line block ×8, first 2 shown]
	v_cmp_eq_u32_e64 s0, 0, v0
	v_add_nc_u32_e32 v114, s41, v112
	s_delay_alu instid0(VALU_DEP_1) | instskip(NEXT) | instid1(VALU_DEP_1)
	v_add_nc_u32_e32 v116, s41, v114
	v_add_nc_u32_e32 v118, s41, v116
	s_delay_alu instid0(VALU_DEP_1)
	v_add_nc_u32_e32 v120, s41, v118
	s_clause 0xb
	global_load_b32 v19, v96, s[28:29] scale_offset
	global_load_b32 v20, v98, s[28:29] scale_offset
	;; [unrolled: 1-line block ×12, first 2 shown]
	s_cbranch_scc1 .LBB27_3
; %bb.2:
	v_cmp_eq_u32_e64 s1, 1, v0
	v_cmp_eq_u32_e64 s2, 2, v0
	;; [unrolled: 1-line block ×5, first 2 shown]
	s_wait_loadcnt 0x3
	v_cndmask_b32_e64 v30, v2, v3, s1
	v_cmp_eq_u32_e64 s6, 6, v0
	v_cmp_eq_u32_e64 s7, 7, v0
	v_cmp_eq_u32_e64 s8, 8, v0
	v_cmp_eq_u32_e64 s9, 9, v0
	v_cndmask_b32_e64 v30, v30, v4, s2
	v_cmp_eq_u32_e64 s10, 10, v0
	v_cmp_eq_u32_e64 s11, 11, v0
	v_cmp_eq_u32_e64 s12, 12, v0
	v_cmp_eq_u32_e64 s13, 13, v0
	;; [unrolled: 5-line block ×5, first 2 shown]
	v_cndmask_b32_e64 v30, v30, v8, s6
	v_cmp_eq_u32_e64 s26, 26, v0
	v_cmp_eq_u32_e64 s27, 27, v0
	s_delay_alu instid0(VALU_DEP_3) | instskip(NEXT) | instid1(VALU_DEP_1)
	v_cndmask_b32_e64 v30, v30, v9, s7
	v_cndmask_b32_e64 v30, v30, v10, s8
	s_delay_alu instid0(VALU_DEP_1) | instskip(NEXT) | instid1(VALU_DEP_1)
	v_cndmask_b32_e64 v30, v30, v11, s9
	v_cndmask_b32_e64 v30, v30, v12, s10
	s_delay_alu instid0(VALU_DEP_1) | instskip(NEXT) | instid1(VALU_DEP_1)
	;; [unrolled: 3-line block ×8, first 2 shown]
	v_cndmask_b32_e64 v30, v30, v25, s23
	v_cndmask_b32_e64 v30, v30, v26, s24
	s_wait_loadcnt 0x2
	s_delay_alu instid0(VALU_DEP_1) | instskip(SKIP_1) | instid1(VALU_DEP_1)
	v_cndmask_b32_e64 v30, v30, v27, s25
	s_wait_loadcnt 0x1
	v_cndmask_b32_e64 v30, v30, v28, s26
	s_wait_loadcnt 0x0
	s_delay_alu instid0(VALU_DEP_1) | instskip(NEXT) | instid1(VALU_DEP_1)
	v_cndmask_b32_e64 v30, v30, v29, s27
	v_div_scale_f32 v31, null, v30, v30, 1.0
	v_div_scale_f32 v35, vcc_lo, 1.0, v30, 1.0
	s_delay_alu instid0(VALU_DEP_2) | instskip(SKIP_1) | instid1(TRANS32_DEP_1)
	v_rcp_f32_e32 v32, v31
	v_nop
	v_fma_f32 v33, -v31, v32, 1.0
	s_delay_alu instid0(VALU_DEP_1) | instskip(NEXT) | instid1(VALU_DEP_1)
	v_fmac_f32_e32 v32, v33, v32
	v_mul_f32_e32 v33, v35, v32
	s_delay_alu instid0(VALU_DEP_1) | instskip(NEXT) | instid1(VALU_DEP_1)
	v_fma_f32 v36, -v31, v33, v35
	v_fmac_f32_e32 v33, v36, v32
	s_delay_alu instid0(VALU_DEP_1) | instskip(NEXT) | instid1(VALU_DEP_1)
	v_fma_f32 v31, -v31, v33, v35
	v_div_fmas_f32 v31, v31, v32, v33
	s_delay_alu instid0(VALU_DEP_1) | instskip(NEXT) | instid1(VALU_DEP_1)
	v_div_fixup_f32 v30, v31, v30, 1.0
	v_dual_cndmask_b32 v29, v29, v30, s27 :: v_dual_cndmask_b32 v28, v28, v30, s26
	v_dual_cndmask_b32 v27, v27, v30, s25 :: v_dual_cndmask_b32 v26, v26, v30, s24
	;; [unrolled: 1-line block ×14, first 2 shown]
	v_xor_b32_e32 v35, 0x80000000, v30
.LBB27_3:
	v_dual_ashrrev_i32 v67, 31, v66 :: v_dual_ashrrev_i32 v69, 31, v68
	v_dual_ashrrev_i32 v71, 31, v70 :: v_dual_ashrrev_i32 v73, 31, v72
	;; [unrolled: 1-line block ×12, first 2 shown]
	v_ashrrev_i32_e32 v115, 31, v114
	v_ashrrev_i32_e32 v119, 31, v118
	v_add_nc_u32_e32 v125, 0x70, v34
	s_cmp_eq_u32 s36, 0x79
	ds_store_b32 v34, v35
	s_cbranch_scc1 .LBB27_7
; %bb.4:
	s_wait_loadcnt 0x0
	v_mov_b64_e32 v[64:65], v[32:33]
	v_mov_b64_e32 v[62:63], v[30:31]
	;; [unrolled: 1-line block ×16, first 2 shown]
	v_cmp_eq_u32_e64 s0, 27, v0
	ds_store_b32 v125, v28
	s_wait_dscnt 0x0
	s_barrier_signal -1
	s_barrier_wait -1
	s_and_saveexec_b32 s1, s0
	s_cbranch_execz .LBB27_11
; %bb.5:
	s_and_b32 vcc_lo, exec_lo, s30
	s_cbranch_vccz .LBB27_8
; %bb.6:
	v_cmp_eq_u32_e32 vcc_lo, 1, v0
	ds_load_b32 v35, v125
	v_cndmask_b32_e32 v34, v2, v3, vcc_lo
	v_cmp_eq_u32_e32 vcc_lo, 2, v0
	s_delay_alu instid0(VALU_DEP_2) | instskip(SKIP_1) | instid1(VALU_DEP_2)
	v_cndmask_b32_e32 v34, v34, v4, vcc_lo
	v_cmp_eq_u32_e32 vcc_lo, 3, v0
	v_cndmask_b32_e32 v34, v34, v5, vcc_lo
	v_cmp_eq_u32_e32 vcc_lo, 4, v0
	s_delay_alu instid0(VALU_DEP_2) | instskip(SKIP_1) | instid1(VALU_DEP_2)
	v_cndmask_b32_e32 v34, v34, v6, vcc_lo
	v_cmp_eq_u32_e32 vcc_lo, 5, v0
	;; [unrolled: 5-line block ×13, first 2 shown]
	v_cndmask_b32_e32 v34, v34, v29, vcc_lo
	s_wait_dscnt 0x0
	s_delay_alu instid0(VALU_DEP_1)
	v_mul_f32_e32 v57, v34, v35
	s_cbranch_execz .LBB27_9
	s_branch .LBB27_10
.LBB27_7:
                                        ; implicit-def: $vgpr34_vgpr35_vgpr36_vgpr37_vgpr38_vgpr39_vgpr40_vgpr41_vgpr42_vgpr43_vgpr44_vgpr45_vgpr46_vgpr47_vgpr48_vgpr49_vgpr50_vgpr51_vgpr52_vgpr53_vgpr54_vgpr55_vgpr56_vgpr57_vgpr58_vgpr59_vgpr60_vgpr61_vgpr62_vgpr63_vgpr64_vgpr65
	s_cbranch_execnz .LBB27_418
	s_branch .LBB27_691
.LBB27_8:
                                        ; implicit-def: $vgpr57
.LBB27_9:
	ds_load_b32 v57, v125
.LBB27_10:
	v_dual_mov_b32 v38, 0 :: v_dual_mov_b32 v34, v2
	v_dual_mov_b32 v35, v3 :: v_dual_mov_b32 v36, v4
	v_mov_b32_e32 v37, v5
	ds_load_b32 v58, v38 offset:104
	v_dual_mov_b32 v38, v6 :: v_dual_mov_b32 v39, v7
	v_dual_mov_b32 v40, v8 :: v_dual_mov_b32 v41, v9
	;; [unrolled: 1-line block ×9, first 2 shown]
	s_wait_dscnt 0x0
	v_dual_mov_b32 v56, v24 :: v_dual_mul_f32 v60, v57, v58
	v_dual_mov_b32 v58, v26 :: v_dual_mov_b32 v57, v25
	v_dual_mov_b32 v59, v27 :: v_dual_mov_b32 v61, v29
.LBB27_11:
	s_or_b32 exec_lo, exec_lo, s1
	v_cmp_lt_u32_e64 s1, 25, v0
	ds_store_b32 v125, v59
	s_wait_dscnt 0x0
	s_barrier_signal -1
	s_barrier_wait -1
	s_and_saveexec_b32 s2, s1
	s_cbranch_execz .LBB27_17
; %bb.12:
	s_and_not1_b32 vcc_lo, exec_lo, s30
	s_cbranch_vccnz .LBB27_14
; %bb.13:
	v_cmp_eq_u32_e32 vcc_lo, 1, v0
	ds_load_b32 v63, v125
	v_cndmask_b32_e32 v62, v34, v35, vcc_lo
	v_cmp_eq_u32_e32 vcc_lo, 2, v0
	s_delay_alu instid0(VALU_DEP_2) | instskip(SKIP_1) | instid1(VALU_DEP_2)
	v_cndmask_b32_e32 v62, v62, v36, vcc_lo
	v_cmp_eq_u32_e32 vcc_lo, 3, v0
	v_cndmask_b32_e32 v62, v62, v37, vcc_lo
	v_cmp_eq_u32_e32 vcc_lo, 4, v0
	s_delay_alu instid0(VALU_DEP_2) | instskip(SKIP_1) | instid1(VALU_DEP_2)
	v_cndmask_b32_e32 v62, v62, v38, vcc_lo
	v_cmp_eq_u32_e32 vcc_lo, 5, v0
	;; [unrolled: 5-line block ×13, first 2 shown]
	v_cndmask_b32_e32 v59, v59, v61, vcc_lo
	s_wait_dscnt 0x0
	s_delay_alu instid0(VALU_DEP_1)
	v_mul_f32_e32 v59, v59, v63
	s_cbranch_execz .LBB27_15
	s_branch .LBB27_16
.LBB27_14:
                                        ; implicit-def: $vgpr59
.LBB27_15:
	ds_load_b32 v59, v125
.LBB27_16:
	v_mov_b32_e32 v62, 0
	ds_load_2addr_b32 v[62:63], v62 offset0:25 offset1:54
	s_wait_dscnt 0x0
	v_fma_f32 v63, v60, v63, v59
	s_delay_alu instid0(VALU_DEP_1) | instskip(NEXT) | instid1(VALU_DEP_1)
	v_cndmask_b32_e64 v59, v59, v63, s0
	v_mul_f32_e32 v59, v59, v62
.LBB27_17:
	s_or_b32 exec_lo, exec_lo, s2
	v_cmp_lt_u32_e64 s0, 24, v0
	ds_store_b32 v125, v58
	s_wait_dscnt 0x0
	s_barrier_signal -1
	s_barrier_wait -1
	s_and_saveexec_b32 s4, s0
	s_cbranch_execz .LBB27_33
; %bb.18:
	s_and_not1_b32 vcc_lo, exec_lo, s30
	s_cbranch_vccnz .LBB27_20
; %bb.19:
	v_cmp_eq_u32_e32 vcc_lo, 1, v0
	ds_load_b32 v123, v125
	v_cndmask_b32_e32 v122, v34, v35, vcc_lo
	v_cmp_eq_u32_e32 vcc_lo, 2, v0
	s_delay_alu instid0(VALU_DEP_2) | instskip(SKIP_1) | instid1(VALU_DEP_2)
	v_cndmask_b32_e32 v122, v122, v36, vcc_lo
	v_cmp_eq_u32_e32 vcc_lo, 3, v0
	v_cndmask_b32_e32 v122, v122, v37, vcc_lo
	v_cmp_eq_u32_e32 vcc_lo, 4, v0
	s_delay_alu instid0(VALU_DEP_2) | instskip(SKIP_1) | instid1(VALU_DEP_2)
	v_cndmask_b32_e32 v122, v122, v38, vcc_lo
	v_cmp_eq_u32_e32 vcc_lo, 5, v0
	;; [unrolled: 5-line block ×13, first 2 shown]
	v_cndmask_b32_e32 v122, v122, v61, vcc_lo
	s_wait_dscnt 0x0
	s_delay_alu instid0(VALU_DEP_1)
	v_mul_f32_e32 v126, v122, v123
	s_cbranch_execz .LBB27_21
	s_branch .LBB27_22
.LBB27_20:
                                        ; implicit-def: $vgpr126
.LBB27_21:
	ds_load_b32 v126, v125
.LBB27_22:
	s_and_saveexec_b32 s5, s1
	s_cbranch_execz .LBB27_32
; %bb.23:
	v_subrev_nc_u32_e32 v124, 26, v0
	v_mov_b32_e32 v122, 25
	v_subrev_nc_u32_e32 v123, 25, v0
	s_mov_b32 s1, exec_lo
	s_delay_alu instid0(VALU_DEP_3)
	v_cmpx_lt_u32_e32 6, v124
	s_cbranch_execz .LBB27_27
; %bb.24:
	s_delay_alu instid0(VALU_DEP_2) | instskip(SKIP_3) | instid1(VALU_DEP_1)
	v_and_b32_e32 v122, -8, v123
	s_mov_b32 s6, 0
	s_mov_b64 s[2:3], 32
	s_movk_i32 s7, 0xd4
	v_sub_nc_u32_e32 v124, 0, v122
.LBB27_25:                              ; =>This Inner Loop Header: Depth=1
	s_add_co_i32 m0, s2, -7
	v_movrels_b32_e32 v127, v34
	v_mov_b32_e32 v122, s7
	s_add_co_i32 m0, s2, -6
	s_add_co_i32 s7, s7, 32
	v_movrels_b32_e32 v136, v34
	ds_load_2addr_b32 v[128:129], v122 offset1:1
	ds_load_2addr_b32 v[130:131], v122 offset0:2 offset1:3
	s_add_co_i32 m0, s2, -5
	s_wait_dscnt 0x1
	v_fmac_f32_e32 v126, v127, v128
	ds_load_2addr_b32 v[132:133], v122 offset0:4 offset1:5
	ds_load_2addr_b32 v[134:135], v122 offset0:6 offset1:7
	v_movrels_b32_e32 v122, v34
	s_add_co_i32 m0, s2, -4
	v_fmac_f32_e32 v126, v136, v129
	v_movrels_b32_e32 v127, v34
	s_add_co_i32 m0, s2, -3
	s_wait_dscnt 0x2
	s_delay_alu instid0(VALU_DEP_2) | instskip(SKIP_2) | instid1(VALU_DEP_2)
	v_fmac_f32_e32 v126, v122, v130
	v_movrels_b32_e32 v122, v34
	s_add_co_i32 m0, s2, -2
	v_fmac_f32_e32 v126, v127, v131
	v_movrels_b32_e32 v127, v34
	s_add_co_i32 m0, s2, -1
	s_wait_dscnt 0x1
	s_delay_alu instid0(VALU_DEP_2)
	v_fmac_f32_e32 v126, v122, v132
	v_movrels_b32_e32 v122, v34
	s_mov_b32 m0, s2
	s_add_nc_u64 s[2:3], s[2:3], 8
	v_movrels_b32_e32 v128, v34
	v_dual_fmac_f32 v126, v127, v133 :: v_dual_add_nc_u32 v127, s2, v124
	s_add_co_i32 s8, s2, -7
	s_wait_dscnt 0x0
	s_delay_alu instid0(VALU_DEP_1) | instskip(NEXT) | instid1(VALU_DEP_2)
	v_fmac_f32_e32 v126, v122, v134
	v_cmp_eq_u32_e32 vcc_lo, 32, v127
	s_delay_alu instid0(VALU_DEP_2) | instskip(SKIP_1) | instid1(SALU_CYCLE_1)
	v_dual_mov_b32 v122, s8 :: v_dual_fmac_f32 v126, v128, v135
	s_or_b32 s6, vcc_lo, s6
	s_and_not1_b32 exec_lo, exec_lo, s6
	s_cbranch_execnz .LBB27_25
; %bb.26:
	s_or_b32 exec_lo, exec_lo, s6
.LBB27_27:
	s_delay_alu instid0(SALU_CYCLE_1) | instskip(SKIP_3) | instid1(VALU_DEP_1)
	s_or_b32 exec_lo, exec_lo, s1
	v_and_b32_e32 v62, 7, v123
	s_mov_b32 s2, 0
	s_mov_b32 s1, exec_lo
	v_cmpx_ne_u32_e32 0, v62
	s_cbranch_execz .LBB27_31
; %bb.28:
	v_lshl_add_u32 v63, v122, 2, 0x70
	v_mov_b32_e32 v123, 0
.LBB27_29:                              ; =>This Inner Loop Header: Depth=1
	v_cmp_eq_u32_e32 vcc_lo, 1, v122
	ds_load_b32 v65, v63
	v_dual_add_nc_u32 v62, -1, v62 :: v_dual_add_nc_u32 v63, 4, v63
	v_cndmask_b32_e32 v64, v34, v35, vcc_lo
	v_cmp_eq_u32_e32 vcc_lo, 2, v122
	s_delay_alu instid0(VALU_DEP_2) | instskip(SKIP_1) | instid1(VALU_DEP_2)
	v_cndmask_b32_e32 v64, v64, v36, vcc_lo
	v_cmp_eq_u32_e32 vcc_lo, 3, v122
	v_cndmask_b32_e32 v64, v64, v37, vcc_lo
	v_cmp_eq_u32_e32 vcc_lo, 4, v122
	s_delay_alu instid0(VALU_DEP_2) | instskip(SKIP_1) | instid1(VALU_DEP_2)
	v_cndmask_b32_e32 v64, v64, v38, vcc_lo
	v_cmp_eq_u32_e32 vcc_lo, 5, v122
	;; [unrolled: 5-line block ×12, first 2 shown]
	v_cndmask_b32_e32 v64, v64, v59, vcc_lo
	v_cmp_eq_u32_e32 vcc_lo, 26, v122
	s_delay_alu instid0(VALU_DEP_2) | instskip(SKIP_2) | instid1(VALU_DEP_3)
	v_cndmask_b32_e32 v64, v64, v60, vcc_lo
	v_cmp_eq_u32_e32 vcc_lo, 27, v122
	v_add_nc_u64_e32 v[122:123], 1, v[122:123]
	v_cndmask_b32_e32 v64, v64, v61, vcc_lo
	v_cmp_eq_u32_e32 vcc_lo, 0, v62
	s_wait_dscnt 0x0
	s_delay_alu instid0(VALU_DEP_2) | instskip(SKIP_1) | instid1(SALU_CYCLE_1)
	v_fmac_f32_e32 v126, v64, v65
	s_or_b32 s2, vcc_lo, s2
	s_and_not1_b32 exec_lo, exec_lo, s2
	s_cbranch_execnz .LBB27_29
; %bb.30:
	s_or_b32 exec_lo, exec_lo, s2
.LBB27_31:
	s_delay_alu instid0(SALU_CYCLE_1)
	s_or_b32 exec_lo, exec_lo, s1
.LBB27_32:
	s_delay_alu instid0(SALU_CYCLE_1)
	s_or_b32 exec_lo, exec_lo, s5
	v_mov_b32_e32 v58, 0
	ds_load_b32 v58, v58 offset:96
	s_wait_dscnt 0x0
	v_mul_f32_e32 v58, v126, v58
.LBB27_33:
	s_or_b32 exec_lo, exec_lo, s4
	v_cmp_lt_u32_e64 s1, 23, v0
	ds_store_b32 v125, v57
	s_wait_dscnt 0x0
	s_barrier_signal -1
	s_barrier_wait -1
	s_and_saveexec_b32 s4, s1
	s_cbranch_execz .LBB27_49
; %bb.34:
	s_and_not1_b32 vcc_lo, exec_lo, s30
	s_cbranch_vccnz .LBB27_36
; %bb.35:
	v_cmp_eq_u32_e32 vcc_lo, 1, v0
	ds_load_b32 v123, v125
	v_cndmask_b32_e32 v122, v34, v35, vcc_lo
	v_cmp_eq_u32_e32 vcc_lo, 2, v0
	s_delay_alu instid0(VALU_DEP_2) | instskip(SKIP_1) | instid1(VALU_DEP_2)
	v_cndmask_b32_e32 v122, v122, v36, vcc_lo
	v_cmp_eq_u32_e32 vcc_lo, 3, v0
	v_cndmask_b32_e32 v122, v122, v37, vcc_lo
	v_cmp_eq_u32_e32 vcc_lo, 4, v0
	s_delay_alu instid0(VALU_DEP_2) | instskip(SKIP_1) | instid1(VALU_DEP_2)
	v_cndmask_b32_e32 v122, v122, v38, vcc_lo
	v_cmp_eq_u32_e32 vcc_lo, 5, v0
	v_cndmask_b32_e32 v122, v122, v39, vcc_lo
	v_cmp_eq_u32_e32 vcc_lo, 6, v0
	s_delay_alu instid0(VALU_DEP_2) | instskip(SKIP_1) | instid1(VALU_DEP_2)
	v_cndmask_b32_e32 v122, v122, v40, vcc_lo
	v_cmp_eq_u32_e32 vcc_lo, 7, v0
	v_cndmask_b32_e32 v122, v122, v41, vcc_lo
	v_cmp_eq_u32_e32 vcc_lo, 8, v0
	s_delay_alu instid0(VALU_DEP_2) | instskip(SKIP_1) | instid1(VALU_DEP_2)
	v_cndmask_b32_e32 v122, v122, v42, vcc_lo
	v_cmp_eq_u32_e32 vcc_lo, 9, v0
	v_cndmask_b32_e32 v122, v122, v43, vcc_lo
	v_cmp_eq_u32_e32 vcc_lo, 10, v0
	s_delay_alu instid0(VALU_DEP_2) | instskip(SKIP_1) | instid1(VALU_DEP_2)
	v_cndmask_b32_e32 v122, v122, v44, vcc_lo
	v_cmp_eq_u32_e32 vcc_lo, 11, v0
	v_cndmask_b32_e32 v122, v122, v45, vcc_lo
	v_cmp_eq_u32_e32 vcc_lo, 12, v0
	s_delay_alu instid0(VALU_DEP_2) | instskip(SKIP_1) | instid1(VALU_DEP_2)
	v_cndmask_b32_e32 v122, v122, v46, vcc_lo
	v_cmp_eq_u32_e32 vcc_lo, 13, v0
	v_cndmask_b32_e32 v122, v122, v47, vcc_lo
	v_cmp_eq_u32_e32 vcc_lo, 14, v0
	s_delay_alu instid0(VALU_DEP_2) | instskip(SKIP_1) | instid1(VALU_DEP_2)
	v_cndmask_b32_e32 v122, v122, v48, vcc_lo
	v_cmp_eq_u32_e32 vcc_lo, 15, v0
	v_cndmask_b32_e32 v122, v122, v49, vcc_lo
	v_cmp_eq_u32_e32 vcc_lo, 16, v0
	s_delay_alu instid0(VALU_DEP_2) | instskip(SKIP_1) | instid1(VALU_DEP_2)
	v_cndmask_b32_e32 v122, v122, v50, vcc_lo
	v_cmp_eq_u32_e32 vcc_lo, 17, v0
	v_cndmask_b32_e32 v122, v122, v51, vcc_lo
	v_cmp_eq_u32_e32 vcc_lo, 18, v0
	s_delay_alu instid0(VALU_DEP_2) | instskip(SKIP_1) | instid1(VALU_DEP_2)
	v_cndmask_b32_e32 v122, v122, v52, vcc_lo
	v_cmp_eq_u32_e32 vcc_lo, 19, v0
	v_cndmask_b32_e32 v122, v122, v53, vcc_lo
	v_cmp_eq_u32_e32 vcc_lo, 20, v0
	s_delay_alu instid0(VALU_DEP_2) | instskip(SKIP_1) | instid1(VALU_DEP_2)
	v_cndmask_b32_e32 v122, v122, v54, vcc_lo
	v_cmp_eq_u32_e32 vcc_lo, 21, v0
	v_cndmask_b32_e32 v122, v122, v55, vcc_lo
	v_cmp_eq_u32_e32 vcc_lo, 22, v0
	s_delay_alu instid0(VALU_DEP_2) | instskip(SKIP_1) | instid1(VALU_DEP_2)
	v_cndmask_b32_e32 v122, v122, v56, vcc_lo
	v_cmp_eq_u32_e32 vcc_lo, 23, v0
	v_cndmask_b32_e32 v122, v122, v57, vcc_lo
	v_cmp_eq_u32_e32 vcc_lo, 24, v0
	s_delay_alu instid0(VALU_DEP_2) | instskip(SKIP_1) | instid1(VALU_DEP_2)
	v_cndmask_b32_e32 v122, v122, v58, vcc_lo
	v_cmp_eq_u32_e32 vcc_lo, 25, v0
	v_cndmask_b32_e32 v122, v122, v59, vcc_lo
	v_cmp_eq_u32_e32 vcc_lo, 26, v0
	s_delay_alu instid0(VALU_DEP_2) | instskip(SKIP_1) | instid1(VALU_DEP_2)
	v_cndmask_b32_e32 v122, v122, v60, vcc_lo
	v_cmp_eq_u32_e32 vcc_lo, 27, v0
	v_cndmask_b32_e32 v122, v122, v61, vcc_lo
	s_wait_dscnt 0x0
	s_delay_alu instid0(VALU_DEP_1)
	v_mul_f32_e32 v126, v122, v123
	s_cbranch_execz .LBB27_37
	s_branch .LBB27_38
.LBB27_36:
                                        ; implicit-def: $vgpr126
.LBB27_37:
	ds_load_b32 v126, v125
.LBB27_38:
	s_and_saveexec_b32 s5, s0
	s_cbranch_execz .LBB27_48
; %bb.39:
	v_subrev_nc_u32_e32 v122, 25, v0
	s_delay_alu instid0(VALU_DEP_1)
	v_cmp_lt_u32_e32 vcc_lo, 6, v122
	v_mov_b32_e32 v122, 24
	s_and_saveexec_b32 s0, vcc_lo
	s_cbranch_execz .LBB27_43
; %bb.40:
	v_and_b32_e32 v122, 24, v0
	s_mov_b32 s6, 0
	s_mov_b64 s[2:3], 31
	s_movk_i32 s7, 0xd0
	s_delay_alu instid0(VALU_DEP_1)
	v_sub_nc_u32_e32 v124, 0, v122
.LBB27_41:                              ; =>This Inner Loop Header: Depth=1
	s_add_co_i32 m0, s2, -7
	v_movrels_b32_e32 v123, v34
	v_mov_b32_e32 v122, s7
	s_add_co_i32 m0, s2, -6
	s_add_co_i32 s7, s7, 32
	v_movrels_b32_e32 v127, v34
	s_add_co_i32 m0, s2, -5
	ds_load_b128 v[128:131], v122
	ds_load_b128 v[132:135], v122 offset:16
	v_movrels_b32_e32 v122, v34
	s_add_co_i32 m0, s2, -4
	s_wait_dscnt 0x1
	v_fmac_f32_e32 v126, v123, v128
	v_movrels_b32_e32 v123, v34
	s_add_co_i32 m0, s2, -3
	s_delay_alu instid0(VALU_DEP_2) | instskip(NEXT) | instid1(VALU_DEP_1)
	v_fmac_f32_e32 v126, v127, v129
	v_fmac_f32_e32 v126, v122, v130
	v_movrels_b32_e32 v122, v34
	s_add_co_i32 m0, s2, -2
	s_delay_alu instid0(VALU_DEP_2) | instskip(SKIP_3) | instid1(VALU_DEP_2)
	v_fmac_f32_e32 v126, v123, v131
	v_movrels_b32_e32 v123, v34
	s_add_co_i32 m0, s2, -1
	s_wait_dscnt 0x0
	v_fmac_f32_e32 v126, v122, v132
	v_movrels_b32_e32 v122, v34
	s_mov_b32 m0, s2
	s_add_nc_u64 s[2:3], s[2:3], 8
	v_movrels_b32_e32 v127, v34
	v_dual_fmac_f32 v126, v123, v133 :: v_dual_add_nc_u32 v123, s2, v124
	s_add_co_i32 s8, s2, -7
	s_delay_alu instid0(VALU_DEP_1) | instskip(NEXT) | instid1(VALU_DEP_2)
	v_fmac_f32_e32 v126, v122, v134
	v_cmp_eq_u32_e32 vcc_lo, 7, v123
	s_delay_alu instid0(VALU_DEP_2) | instskip(SKIP_1) | instid1(SALU_CYCLE_1)
	v_dual_mov_b32 v122, s8 :: v_dual_fmac_f32 v126, v127, v135
	s_or_b32 s6, vcc_lo, s6
	s_and_not1_b32 exec_lo, exec_lo, s6
	s_cbranch_execnz .LBB27_41
; %bb.42:
	s_or_b32 exec_lo, exec_lo, s6
.LBB27_43:
	s_delay_alu instid0(SALU_CYCLE_1) | instskip(SKIP_3) | instid1(VALU_DEP_1)
	s_or_b32 exec_lo, exec_lo, s0
	v_and_b32_e32 v62, 7, v0
	s_mov_b32 s2, 0
	s_mov_b32 s0, exec_lo
	v_cmpx_ne_u32_e32 0, v62
	s_cbranch_execz .LBB27_47
; %bb.44:
	v_lshl_add_u32 v63, v122, 2, 0x70
	v_mov_b32_e32 v123, 0
.LBB27_45:                              ; =>This Inner Loop Header: Depth=1
	v_cmp_eq_u32_e32 vcc_lo, 1, v122
	ds_load_b32 v65, v63
	v_dual_add_nc_u32 v62, -1, v62 :: v_dual_add_nc_u32 v63, 4, v63
	v_cndmask_b32_e32 v64, v34, v35, vcc_lo
	v_cmp_eq_u32_e32 vcc_lo, 2, v122
	s_delay_alu instid0(VALU_DEP_2) | instskip(SKIP_1) | instid1(VALU_DEP_2)
	v_cndmask_b32_e32 v64, v64, v36, vcc_lo
	v_cmp_eq_u32_e32 vcc_lo, 3, v122
	v_cndmask_b32_e32 v64, v64, v37, vcc_lo
	v_cmp_eq_u32_e32 vcc_lo, 4, v122
	s_delay_alu instid0(VALU_DEP_2) | instskip(SKIP_1) | instid1(VALU_DEP_2)
	v_cndmask_b32_e32 v64, v64, v38, vcc_lo
	v_cmp_eq_u32_e32 vcc_lo, 5, v122
	;; [unrolled: 5-line block ×12, first 2 shown]
	v_cndmask_b32_e32 v64, v64, v59, vcc_lo
	v_cmp_eq_u32_e32 vcc_lo, 26, v122
	s_delay_alu instid0(VALU_DEP_2) | instskip(SKIP_2) | instid1(VALU_DEP_3)
	v_cndmask_b32_e32 v64, v64, v60, vcc_lo
	v_cmp_eq_u32_e32 vcc_lo, 27, v122
	v_add_nc_u64_e32 v[122:123], 1, v[122:123]
	v_cndmask_b32_e32 v64, v64, v61, vcc_lo
	v_cmp_eq_u32_e32 vcc_lo, 0, v62
	s_wait_dscnt 0x0
	s_delay_alu instid0(VALU_DEP_2) | instskip(SKIP_1) | instid1(SALU_CYCLE_1)
	v_fmac_f32_e32 v126, v64, v65
	s_or_b32 s2, vcc_lo, s2
	s_and_not1_b32 exec_lo, exec_lo, s2
	s_cbranch_execnz .LBB27_45
; %bb.46:
	s_or_b32 exec_lo, exec_lo, s2
.LBB27_47:
	s_delay_alu instid0(SALU_CYCLE_1)
	s_or_b32 exec_lo, exec_lo, s0
.LBB27_48:
	s_delay_alu instid0(SALU_CYCLE_1)
	s_or_b32 exec_lo, exec_lo, s5
	v_mov_b32_e32 v57, 0
	ds_load_b32 v57, v57 offset:92
	s_wait_dscnt 0x0
	v_mul_f32_e32 v57, v126, v57
.LBB27_49:
	s_or_b32 exec_lo, exec_lo, s4
	v_cmp_lt_u32_e64 s0, 22, v0
	ds_store_b32 v125, v56
	s_wait_dscnt 0x0
	s_barrier_signal -1
	s_barrier_wait -1
	s_and_saveexec_b32 s4, s0
	s_cbranch_execz .LBB27_65
; %bb.50:
	s_and_not1_b32 vcc_lo, exec_lo, s30
	s_cbranch_vccnz .LBB27_52
; %bb.51:
	v_cmp_eq_u32_e32 vcc_lo, 1, v0
	ds_load_b32 v123, v125
	v_cndmask_b32_e32 v122, v34, v35, vcc_lo
	v_cmp_eq_u32_e32 vcc_lo, 2, v0
	s_delay_alu instid0(VALU_DEP_2) | instskip(SKIP_1) | instid1(VALU_DEP_2)
	v_cndmask_b32_e32 v122, v122, v36, vcc_lo
	v_cmp_eq_u32_e32 vcc_lo, 3, v0
	v_cndmask_b32_e32 v122, v122, v37, vcc_lo
	v_cmp_eq_u32_e32 vcc_lo, 4, v0
	s_delay_alu instid0(VALU_DEP_2) | instskip(SKIP_1) | instid1(VALU_DEP_2)
	v_cndmask_b32_e32 v122, v122, v38, vcc_lo
	v_cmp_eq_u32_e32 vcc_lo, 5, v0
	;; [unrolled: 5-line block ×13, first 2 shown]
	v_cndmask_b32_e32 v122, v122, v61, vcc_lo
	s_wait_dscnt 0x0
	s_delay_alu instid0(VALU_DEP_1)
	v_mul_f32_e32 v126, v122, v123
	s_cbranch_execz .LBB27_53
	s_branch .LBB27_54
.LBB27_52:
                                        ; implicit-def: $vgpr126
.LBB27_53:
	ds_load_b32 v126, v125
.LBB27_54:
	s_and_saveexec_b32 s5, s1
	s_cbranch_execz .LBB27_64
; %bb.55:
	v_subrev_nc_u32_e32 v124, 24, v0
	v_mov_b32_e32 v122, 23
	v_subrev_nc_u32_e32 v123, 23, v0
	s_mov_b32 s1, exec_lo
	s_delay_alu instid0(VALU_DEP_3)
	v_cmpx_lt_u32_e32 6, v124
	s_cbranch_execz .LBB27_59
; %bb.56:
	s_delay_alu instid0(VALU_DEP_2) | instskip(SKIP_3) | instid1(VALU_DEP_1)
	v_and_b32_e32 v122, -8, v123
	s_mov_b32 s6, 0
	s_mov_b64 s[2:3], 30
	s_movk_i32 s7, 0xcc
	v_sub_nc_u32_e32 v124, 0, v122
.LBB27_57:                              ; =>This Inner Loop Header: Depth=1
	s_add_co_i32 m0, s2, -7
	v_movrels_b32_e32 v127, v34
	v_mov_b32_e32 v122, s7
	s_add_co_i32 m0, s2, -6
	s_add_co_i32 s7, s7, 32
	v_movrels_b32_e32 v136, v34
	ds_load_2addr_b32 v[128:129], v122 offset1:1
	ds_load_2addr_b32 v[130:131], v122 offset0:2 offset1:3
	s_add_co_i32 m0, s2, -5
	s_wait_dscnt 0x1
	v_fmac_f32_e32 v126, v127, v128
	ds_load_2addr_b32 v[132:133], v122 offset0:4 offset1:5
	ds_load_2addr_b32 v[134:135], v122 offset0:6 offset1:7
	v_movrels_b32_e32 v122, v34
	s_add_co_i32 m0, s2, -4
	v_fmac_f32_e32 v126, v136, v129
	v_movrels_b32_e32 v127, v34
	s_add_co_i32 m0, s2, -3
	s_wait_dscnt 0x2
	s_delay_alu instid0(VALU_DEP_2) | instskip(SKIP_2) | instid1(VALU_DEP_2)
	v_fmac_f32_e32 v126, v122, v130
	v_movrels_b32_e32 v122, v34
	s_add_co_i32 m0, s2, -2
	v_fmac_f32_e32 v126, v127, v131
	v_movrels_b32_e32 v127, v34
	s_add_co_i32 m0, s2, -1
	s_wait_dscnt 0x1
	s_delay_alu instid0(VALU_DEP_2)
	v_fmac_f32_e32 v126, v122, v132
	v_movrels_b32_e32 v122, v34
	s_mov_b32 m0, s2
	s_add_nc_u64 s[2:3], s[2:3], 8
	v_movrels_b32_e32 v128, v34
	v_dual_fmac_f32 v126, v127, v133 :: v_dual_add_nc_u32 v127, s2, v124
	s_add_co_i32 s8, s2, -7
	s_wait_dscnt 0x0
	s_delay_alu instid0(VALU_DEP_1) | instskip(NEXT) | instid1(VALU_DEP_2)
	v_fmac_f32_e32 v126, v122, v134
	v_cmp_eq_u32_e32 vcc_lo, 30, v127
	s_delay_alu instid0(VALU_DEP_2) | instskip(SKIP_1) | instid1(SALU_CYCLE_1)
	v_dual_mov_b32 v122, s8 :: v_dual_fmac_f32 v126, v128, v135
	s_or_b32 s6, vcc_lo, s6
	s_and_not1_b32 exec_lo, exec_lo, s6
	s_cbranch_execnz .LBB27_57
; %bb.58:
	s_or_b32 exec_lo, exec_lo, s6
.LBB27_59:
	s_delay_alu instid0(SALU_CYCLE_1) | instskip(SKIP_3) | instid1(VALU_DEP_1)
	s_or_b32 exec_lo, exec_lo, s1
	v_and_b32_e32 v62, 7, v123
	s_mov_b32 s2, 0
	s_mov_b32 s1, exec_lo
	v_cmpx_ne_u32_e32 0, v62
	s_cbranch_execz .LBB27_63
; %bb.60:
	v_lshl_add_u32 v63, v122, 2, 0x70
	v_mov_b32_e32 v123, 0
.LBB27_61:                              ; =>This Inner Loop Header: Depth=1
	v_cmp_eq_u32_e32 vcc_lo, 1, v122
	ds_load_b32 v65, v63
	v_dual_add_nc_u32 v62, -1, v62 :: v_dual_add_nc_u32 v63, 4, v63
	v_cndmask_b32_e32 v64, v34, v35, vcc_lo
	v_cmp_eq_u32_e32 vcc_lo, 2, v122
	s_delay_alu instid0(VALU_DEP_2) | instskip(SKIP_1) | instid1(VALU_DEP_2)
	v_cndmask_b32_e32 v64, v64, v36, vcc_lo
	v_cmp_eq_u32_e32 vcc_lo, 3, v122
	v_cndmask_b32_e32 v64, v64, v37, vcc_lo
	v_cmp_eq_u32_e32 vcc_lo, 4, v122
	s_delay_alu instid0(VALU_DEP_2) | instskip(SKIP_1) | instid1(VALU_DEP_2)
	v_cndmask_b32_e32 v64, v64, v38, vcc_lo
	v_cmp_eq_u32_e32 vcc_lo, 5, v122
	v_cndmask_b32_e32 v64, v64, v39, vcc_lo
	v_cmp_eq_u32_e32 vcc_lo, 6, v122
	s_delay_alu instid0(VALU_DEP_2) | instskip(SKIP_1) | instid1(VALU_DEP_2)
	v_cndmask_b32_e32 v64, v64, v40, vcc_lo
	v_cmp_eq_u32_e32 vcc_lo, 7, v122
	v_cndmask_b32_e32 v64, v64, v41, vcc_lo
	v_cmp_eq_u32_e32 vcc_lo, 8, v122
	s_delay_alu instid0(VALU_DEP_2) | instskip(SKIP_1) | instid1(VALU_DEP_2)
	v_cndmask_b32_e32 v64, v64, v42, vcc_lo
	v_cmp_eq_u32_e32 vcc_lo, 9, v122
	v_cndmask_b32_e32 v64, v64, v43, vcc_lo
	v_cmp_eq_u32_e32 vcc_lo, 10, v122
	s_delay_alu instid0(VALU_DEP_2) | instskip(SKIP_1) | instid1(VALU_DEP_2)
	v_cndmask_b32_e32 v64, v64, v44, vcc_lo
	v_cmp_eq_u32_e32 vcc_lo, 11, v122
	v_cndmask_b32_e32 v64, v64, v45, vcc_lo
	v_cmp_eq_u32_e32 vcc_lo, 12, v122
	s_delay_alu instid0(VALU_DEP_2) | instskip(SKIP_1) | instid1(VALU_DEP_2)
	v_cndmask_b32_e32 v64, v64, v46, vcc_lo
	v_cmp_eq_u32_e32 vcc_lo, 13, v122
	v_cndmask_b32_e32 v64, v64, v47, vcc_lo
	v_cmp_eq_u32_e32 vcc_lo, 14, v122
	s_delay_alu instid0(VALU_DEP_2) | instskip(SKIP_1) | instid1(VALU_DEP_2)
	v_cndmask_b32_e32 v64, v64, v48, vcc_lo
	v_cmp_eq_u32_e32 vcc_lo, 15, v122
	v_cndmask_b32_e32 v64, v64, v49, vcc_lo
	v_cmp_eq_u32_e32 vcc_lo, 16, v122
	s_delay_alu instid0(VALU_DEP_2) | instskip(SKIP_1) | instid1(VALU_DEP_2)
	v_cndmask_b32_e32 v64, v64, v50, vcc_lo
	v_cmp_eq_u32_e32 vcc_lo, 17, v122
	v_cndmask_b32_e32 v64, v64, v51, vcc_lo
	v_cmp_eq_u32_e32 vcc_lo, 18, v122
	s_delay_alu instid0(VALU_DEP_2) | instskip(SKIP_1) | instid1(VALU_DEP_2)
	v_cndmask_b32_e32 v64, v64, v52, vcc_lo
	v_cmp_eq_u32_e32 vcc_lo, 19, v122
	v_cndmask_b32_e32 v64, v64, v53, vcc_lo
	v_cmp_eq_u32_e32 vcc_lo, 20, v122
	s_delay_alu instid0(VALU_DEP_2) | instskip(SKIP_1) | instid1(VALU_DEP_2)
	v_cndmask_b32_e32 v64, v64, v54, vcc_lo
	v_cmp_eq_u32_e32 vcc_lo, 21, v122
	v_cndmask_b32_e32 v64, v64, v55, vcc_lo
	v_cmp_eq_u32_e32 vcc_lo, 22, v122
	s_delay_alu instid0(VALU_DEP_2) | instskip(SKIP_1) | instid1(VALU_DEP_2)
	v_cndmask_b32_e32 v64, v64, v56, vcc_lo
	v_cmp_eq_u32_e32 vcc_lo, 23, v122
	v_cndmask_b32_e32 v64, v64, v57, vcc_lo
	v_cmp_eq_u32_e32 vcc_lo, 24, v122
	s_delay_alu instid0(VALU_DEP_2) | instskip(SKIP_1) | instid1(VALU_DEP_2)
	v_cndmask_b32_e32 v64, v64, v58, vcc_lo
	v_cmp_eq_u32_e32 vcc_lo, 25, v122
	v_cndmask_b32_e32 v64, v64, v59, vcc_lo
	v_cmp_eq_u32_e32 vcc_lo, 26, v122
	s_delay_alu instid0(VALU_DEP_2) | instskip(SKIP_2) | instid1(VALU_DEP_3)
	v_cndmask_b32_e32 v64, v64, v60, vcc_lo
	v_cmp_eq_u32_e32 vcc_lo, 27, v122
	v_add_nc_u64_e32 v[122:123], 1, v[122:123]
	v_cndmask_b32_e32 v64, v64, v61, vcc_lo
	v_cmp_eq_u32_e32 vcc_lo, 0, v62
	s_wait_dscnt 0x0
	s_delay_alu instid0(VALU_DEP_2) | instskip(SKIP_1) | instid1(SALU_CYCLE_1)
	v_fmac_f32_e32 v126, v64, v65
	s_or_b32 s2, vcc_lo, s2
	s_and_not1_b32 exec_lo, exec_lo, s2
	s_cbranch_execnz .LBB27_61
; %bb.62:
	s_or_b32 exec_lo, exec_lo, s2
.LBB27_63:
	s_delay_alu instid0(SALU_CYCLE_1)
	s_or_b32 exec_lo, exec_lo, s1
.LBB27_64:
	s_delay_alu instid0(SALU_CYCLE_1)
	s_or_b32 exec_lo, exec_lo, s5
	v_mov_b32_e32 v56, 0
	ds_load_b32 v56, v56 offset:88
	s_wait_dscnt 0x0
	v_mul_f32_e32 v56, v126, v56
.LBB27_65:
	s_or_b32 exec_lo, exec_lo, s4
	v_cmp_lt_u32_e64 s1, 21, v0
	ds_store_b32 v125, v55
	s_wait_dscnt 0x0
	s_barrier_signal -1
	s_barrier_wait -1
	s_and_saveexec_b32 s4, s1
	s_cbranch_execz .LBB27_81
; %bb.66:
	s_and_not1_b32 vcc_lo, exec_lo, s30
	s_cbranch_vccnz .LBB27_68
; %bb.67:
	v_cmp_eq_u32_e32 vcc_lo, 1, v0
	ds_load_b32 v123, v125
	v_cndmask_b32_e32 v122, v34, v35, vcc_lo
	v_cmp_eq_u32_e32 vcc_lo, 2, v0
	s_delay_alu instid0(VALU_DEP_2) | instskip(SKIP_1) | instid1(VALU_DEP_2)
	v_cndmask_b32_e32 v122, v122, v36, vcc_lo
	v_cmp_eq_u32_e32 vcc_lo, 3, v0
	v_cndmask_b32_e32 v122, v122, v37, vcc_lo
	v_cmp_eq_u32_e32 vcc_lo, 4, v0
	s_delay_alu instid0(VALU_DEP_2) | instskip(SKIP_1) | instid1(VALU_DEP_2)
	v_cndmask_b32_e32 v122, v122, v38, vcc_lo
	v_cmp_eq_u32_e32 vcc_lo, 5, v0
	;; [unrolled: 5-line block ×13, first 2 shown]
	v_cndmask_b32_e32 v122, v122, v61, vcc_lo
	s_wait_dscnt 0x0
	s_delay_alu instid0(VALU_DEP_1)
	v_mul_f32_e32 v126, v122, v123
	s_cbranch_execz .LBB27_69
	s_branch .LBB27_70
.LBB27_68:
                                        ; implicit-def: $vgpr126
.LBB27_69:
	ds_load_b32 v126, v125
.LBB27_70:
	s_and_saveexec_b32 s5, s0
	s_cbranch_execz .LBB27_80
; %bb.71:
	v_subrev_nc_u32_e32 v124, 23, v0
	v_mov_b32_e32 v122, 22
	v_subrev_nc_u32_e32 v123, 22, v0
	s_mov_b32 s0, exec_lo
	s_delay_alu instid0(VALU_DEP_3)
	v_cmpx_lt_u32_e32 6, v124
	s_cbranch_execz .LBB27_75
; %bb.72:
	s_delay_alu instid0(VALU_DEP_2) | instskip(SKIP_3) | instid1(VALU_DEP_1)
	v_and_b32_e32 v122, -8, v123
	s_mov_b32 s6, 0
	s_mov_b64 s[2:3], 29
	s_movk_i32 s7, 0xc8
	v_sub_nc_u32_e32 v124, 0, v122
.LBB27_73:                              ; =>This Inner Loop Header: Depth=1
	s_add_co_i32 m0, s2, -7
	v_movrels_b32_e32 v127, v34
	v_mov_b32_e32 v122, s7
	s_add_co_i32 m0, s2, -6
	s_add_co_i32 s7, s7, 32
	v_movrels_b32_e32 v136, v34
	s_add_co_i32 m0, s2, -5
	ds_load_2addr_b64 v[128:131], v122 offset1:1
	ds_load_2addr_b64 v[132:135], v122 offset0:2 offset1:3
	v_movrels_b32_e32 v122, v34
	s_add_co_i32 m0, s2, -4
	s_wait_dscnt 0x1
	v_fmac_f32_e32 v126, v127, v128
	v_movrels_b32_e32 v127, v34
	s_add_co_i32 m0, s2, -3
	s_delay_alu instid0(VALU_DEP_2) | instskip(NEXT) | instid1(VALU_DEP_1)
	v_fmac_f32_e32 v126, v136, v129
	v_fmac_f32_e32 v126, v122, v130
	v_movrels_b32_e32 v122, v34
	s_add_co_i32 m0, s2, -2
	s_delay_alu instid0(VALU_DEP_2) | instskip(SKIP_3) | instid1(VALU_DEP_2)
	v_fmac_f32_e32 v126, v127, v131
	v_movrels_b32_e32 v127, v34
	s_add_co_i32 m0, s2, -1
	s_wait_dscnt 0x0
	v_fmac_f32_e32 v126, v122, v132
	v_movrels_b32_e32 v122, v34
	s_mov_b32 m0, s2
	s_add_nc_u64 s[2:3], s[2:3], 8
	v_movrels_b32_e32 v128, v34
	v_dual_fmac_f32 v126, v127, v133 :: v_dual_add_nc_u32 v127, s2, v124
	s_add_co_i32 s8, s2, -7
	s_delay_alu instid0(VALU_DEP_1) | instskip(NEXT) | instid1(VALU_DEP_2)
	v_fmac_f32_e32 v126, v122, v134
	v_cmp_eq_u32_e32 vcc_lo, 29, v127
	s_delay_alu instid0(VALU_DEP_2) | instskip(SKIP_1) | instid1(SALU_CYCLE_1)
	v_dual_mov_b32 v122, s8 :: v_dual_fmac_f32 v126, v128, v135
	s_or_b32 s6, vcc_lo, s6
	s_and_not1_b32 exec_lo, exec_lo, s6
	s_cbranch_execnz .LBB27_73
; %bb.74:
	s_or_b32 exec_lo, exec_lo, s6
.LBB27_75:
	s_delay_alu instid0(SALU_CYCLE_1) | instskip(SKIP_3) | instid1(VALU_DEP_1)
	s_or_b32 exec_lo, exec_lo, s0
	v_and_b32_e32 v62, 7, v123
	s_mov_b32 s2, 0
	s_mov_b32 s0, exec_lo
	v_cmpx_ne_u32_e32 0, v62
	s_cbranch_execz .LBB27_79
; %bb.76:
	v_lshl_add_u32 v63, v122, 2, 0x70
	v_mov_b32_e32 v123, 0
.LBB27_77:                              ; =>This Inner Loop Header: Depth=1
	v_cmp_eq_u32_e32 vcc_lo, 1, v122
	ds_load_b32 v65, v63
	v_dual_add_nc_u32 v62, -1, v62 :: v_dual_add_nc_u32 v63, 4, v63
	v_cndmask_b32_e32 v64, v34, v35, vcc_lo
	v_cmp_eq_u32_e32 vcc_lo, 2, v122
	s_delay_alu instid0(VALU_DEP_2) | instskip(SKIP_1) | instid1(VALU_DEP_2)
	v_cndmask_b32_e32 v64, v64, v36, vcc_lo
	v_cmp_eq_u32_e32 vcc_lo, 3, v122
	v_cndmask_b32_e32 v64, v64, v37, vcc_lo
	v_cmp_eq_u32_e32 vcc_lo, 4, v122
	s_delay_alu instid0(VALU_DEP_2) | instskip(SKIP_1) | instid1(VALU_DEP_2)
	v_cndmask_b32_e32 v64, v64, v38, vcc_lo
	v_cmp_eq_u32_e32 vcc_lo, 5, v122
	v_cndmask_b32_e32 v64, v64, v39, vcc_lo
	v_cmp_eq_u32_e32 vcc_lo, 6, v122
	s_delay_alu instid0(VALU_DEP_2) | instskip(SKIP_1) | instid1(VALU_DEP_2)
	v_cndmask_b32_e32 v64, v64, v40, vcc_lo
	v_cmp_eq_u32_e32 vcc_lo, 7, v122
	v_cndmask_b32_e32 v64, v64, v41, vcc_lo
	v_cmp_eq_u32_e32 vcc_lo, 8, v122
	s_delay_alu instid0(VALU_DEP_2) | instskip(SKIP_1) | instid1(VALU_DEP_2)
	v_cndmask_b32_e32 v64, v64, v42, vcc_lo
	v_cmp_eq_u32_e32 vcc_lo, 9, v122
	v_cndmask_b32_e32 v64, v64, v43, vcc_lo
	v_cmp_eq_u32_e32 vcc_lo, 10, v122
	s_delay_alu instid0(VALU_DEP_2) | instskip(SKIP_1) | instid1(VALU_DEP_2)
	v_cndmask_b32_e32 v64, v64, v44, vcc_lo
	v_cmp_eq_u32_e32 vcc_lo, 11, v122
	v_cndmask_b32_e32 v64, v64, v45, vcc_lo
	v_cmp_eq_u32_e32 vcc_lo, 12, v122
	s_delay_alu instid0(VALU_DEP_2) | instskip(SKIP_1) | instid1(VALU_DEP_2)
	v_cndmask_b32_e32 v64, v64, v46, vcc_lo
	v_cmp_eq_u32_e32 vcc_lo, 13, v122
	v_cndmask_b32_e32 v64, v64, v47, vcc_lo
	v_cmp_eq_u32_e32 vcc_lo, 14, v122
	s_delay_alu instid0(VALU_DEP_2) | instskip(SKIP_1) | instid1(VALU_DEP_2)
	v_cndmask_b32_e32 v64, v64, v48, vcc_lo
	v_cmp_eq_u32_e32 vcc_lo, 15, v122
	v_cndmask_b32_e32 v64, v64, v49, vcc_lo
	v_cmp_eq_u32_e32 vcc_lo, 16, v122
	s_delay_alu instid0(VALU_DEP_2) | instskip(SKIP_1) | instid1(VALU_DEP_2)
	v_cndmask_b32_e32 v64, v64, v50, vcc_lo
	v_cmp_eq_u32_e32 vcc_lo, 17, v122
	v_cndmask_b32_e32 v64, v64, v51, vcc_lo
	v_cmp_eq_u32_e32 vcc_lo, 18, v122
	s_delay_alu instid0(VALU_DEP_2) | instskip(SKIP_1) | instid1(VALU_DEP_2)
	v_cndmask_b32_e32 v64, v64, v52, vcc_lo
	v_cmp_eq_u32_e32 vcc_lo, 19, v122
	v_cndmask_b32_e32 v64, v64, v53, vcc_lo
	v_cmp_eq_u32_e32 vcc_lo, 20, v122
	s_delay_alu instid0(VALU_DEP_2) | instskip(SKIP_1) | instid1(VALU_DEP_2)
	v_cndmask_b32_e32 v64, v64, v54, vcc_lo
	v_cmp_eq_u32_e32 vcc_lo, 21, v122
	v_cndmask_b32_e32 v64, v64, v55, vcc_lo
	v_cmp_eq_u32_e32 vcc_lo, 22, v122
	s_delay_alu instid0(VALU_DEP_2) | instskip(SKIP_1) | instid1(VALU_DEP_2)
	v_cndmask_b32_e32 v64, v64, v56, vcc_lo
	v_cmp_eq_u32_e32 vcc_lo, 23, v122
	v_cndmask_b32_e32 v64, v64, v57, vcc_lo
	v_cmp_eq_u32_e32 vcc_lo, 24, v122
	s_delay_alu instid0(VALU_DEP_2) | instskip(SKIP_1) | instid1(VALU_DEP_2)
	v_cndmask_b32_e32 v64, v64, v58, vcc_lo
	v_cmp_eq_u32_e32 vcc_lo, 25, v122
	v_cndmask_b32_e32 v64, v64, v59, vcc_lo
	v_cmp_eq_u32_e32 vcc_lo, 26, v122
	s_delay_alu instid0(VALU_DEP_2) | instskip(SKIP_2) | instid1(VALU_DEP_3)
	v_cndmask_b32_e32 v64, v64, v60, vcc_lo
	v_cmp_eq_u32_e32 vcc_lo, 27, v122
	v_add_nc_u64_e32 v[122:123], 1, v[122:123]
	v_cndmask_b32_e32 v64, v64, v61, vcc_lo
	v_cmp_eq_u32_e32 vcc_lo, 0, v62
	s_wait_dscnt 0x0
	s_delay_alu instid0(VALU_DEP_2) | instskip(SKIP_1) | instid1(SALU_CYCLE_1)
	v_fmac_f32_e32 v126, v64, v65
	s_or_b32 s2, vcc_lo, s2
	s_and_not1_b32 exec_lo, exec_lo, s2
	s_cbranch_execnz .LBB27_77
; %bb.78:
	s_or_b32 exec_lo, exec_lo, s2
.LBB27_79:
	s_delay_alu instid0(SALU_CYCLE_1)
	s_or_b32 exec_lo, exec_lo, s0
.LBB27_80:
	s_delay_alu instid0(SALU_CYCLE_1)
	s_or_b32 exec_lo, exec_lo, s5
	v_mov_b32_e32 v55, 0
	ds_load_b32 v55, v55 offset:84
	s_wait_dscnt 0x0
	v_mul_f32_e32 v55, v126, v55
.LBB27_81:
	s_or_b32 exec_lo, exec_lo, s4
	v_cmp_lt_u32_e64 s0, 20, v0
	ds_store_b32 v125, v54
	s_wait_dscnt 0x0
	s_barrier_signal -1
	s_barrier_wait -1
	s_and_saveexec_b32 s4, s0
	s_cbranch_execz .LBB27_97
; %bb.82:
	s_and_not1_b32 vcc_lo, exec_lo, s30
	s_cbranch_vccnz .LBB27_84
; %bb.83:
	v_cmp_eq_u32_e32 vcc_lo, 1, v0
	ds_load_b32 v123, v125
	v_cndmask_b32_e32 v122, v34, v35, vcc_lo
	v_cmp_eq_u32_e32 vcc_lo, 2, v0
	s_delay_alu instid0(VALU_DEP_2) | instskip(SKIP_1) | instid1(VALU_DEP_2)
	v_cndmask_b32_e32 v122, v122, v36, vcc_lo
	v_cmp_eq_u32_e32 vcc_lo, 3, v0
	v_cndmask_b32_e32 v122, v122, v37, vcc_lo
	v_cmp_eq_u32_e32 vcc_lo, 4, v0
	s_delay_alu instid0(VALU_DEP_2) | instskip(SKIP_1) | instid1(VALU_DEP_2)
	v_cndmask_b32_e32 v122, v122, v38, vcc_lo
	v_cmp_eq_u32_e32 vcc_lo, 5, v0
	;; [unrolled: 5-line block ×13, first 2 shown]
	v_cndmask_b32_e32 v122, v122, v61, vcc_lo
	s_wait_dscnt 0x0
	s_delay_alu instid0(VALU_DEP_1)
	v_mul_f32_e32 v126, v122, v123
	s_cbranch_execz .LBB27_85
	s_branch .LBB27_86
.LBB27_84:
                                        ; implicit-def: $vgpr126
.LBB27_85:
	ds_load_b32 v126, v125
.LBB27_86:
	s_and_saveexec_b32 s5, s1
	s_cbranch_execz .LBB27_96
; %bb.87:
	v_subrev_nc_u32_e32 v124, 22, v0
	v_mov_b32_e32 v122, 21
	v_subrev_nc_u32_e32 v123, 21, v0
	s_mov_b32 s1, exec_lo
	s_delay_alu instid0(VALU_DEP_3)
	v_cmpx_lt_u32_e32 6, v124
	s_cbranch_execz .LBB27_91
; %bb.88:
	s_delay_alu instid0(VALU_DEP_2) | instskip(SKIP_3) | instid1(VALU_DEP_1)
	v_and_b32_e32 v122, -8, v123
	s_mov_b32 s6, 0
	s_mov_b64 s[2:3], 28
	s_movk_i32 s7, 0xc4
	v_sub_nc_u32_e32 v124, 0, v122
.LBB27_89:                              ; =>This Inner Loop Header: Depth=1
	s_add_co_i32 m0, s2, -7
	v_movrels_b32_e32 v127, v34
	v_mov_b32_e32 v122, s7
	s_add_co_i32 m0, s2, -6
	s_add_co_i32 s7, s7, 32
	v_movrels_b32_e32 v136, v34
	ds_load_2addr_b32 v[128:129], v122 offset1:1
	ds_load_2addr_b32 v[130:131], v122 offset0:2 offset1:3
	s_add_co_i32 m0, s2, -5
	s_wait_dscnt 0x1
	v_fmac_f32_e32 v126, v127, v128
	ds_load_2addr_b32 v[132:133], v122 offset0:4 offset1:5
	ds_load_2addr_b32 v[134:135], v122 offset0:6 offset1:7
	v_movrels_b32_e32 v122, v34
	s_add_co_i32 m0, s2, -4
	v_fmac_f32_e32 v126, v136, v129
	v_movrels_b32_e32 v127, v34
	s_add_co_i32 m0, s2, -3
	s_wait_dscnt 0x2
	s_delay_alu instid0(VALU_DEP_2) | instskip(SKIP_2) | instid1(VALU_DEP_2)
	v_fmac_f32_e32 v126, v122, v130
	v_movrels_b32_e32 v122, v34
	s_add_co_i32 m0, s2, -2
	v_fmac_f32_e32 v126, v127, v131
	v_movrels_b32_e32 v127, v34
	s_add_co_i32 m0, s2, -1
	s_wait_dscnt 0x1
	s_delay_alu instid0(VALU_DEP_2)
	v_fmac_f32_e32 v126, v122, v132
	v_movrels_b32_e32 v122, v34
	s_mov_b32 m0, s2
	s_add_nc_u64 s[2:3], s[2:3], 8
	v_movrels_b32_e32 v128, v34
	v_dual_fmac_f32 v126, v127, v133 :: v_dual_add_nc_u32 v127, s2, v124
	s_add_co_i32 s8, s2, -7
	s_wait_dscnt 0x0
	s_delay_alu instid0(VALU_DEP_1) | instskip(NEXT) | instid1(VALU_DEP_2)
	v_fmac_f32_e32 v126, v122, v134
	v_cmp_eq_u32_e32 vcc_lo, 28, v127
	s_delay_alu instid0(VALU_DEP_2) | instskip(SKIP_1) | instid1(SALU_CYCLE_1)
	v_dual_mov_b32 v122, s8 :: v_dual_fmac_f32 v126, v128, v135
	s_or_b32 s6, vcc_lo, s6
	s_and_not1_b32 exec_lo, exec_lo, s6
	s_cbranch_execnz .LBB27_89
; %bb.90:
	s_or_b32 exec_lo, exec_lo, s6
.LBB27_91:
	s_delay_alu instid0(SALU_CYCLE_1) | instskip(SKIP_3) | instid1(VALU_DEP_1)
	s_or_b32 exec_lo, exec_lo, s1
	v_and_b32_e32 v62, 7, v123
	s_mov_b32 s2, 0
	s_mov_b32 s1, exec_lo
	v_cmpx_ne_u32_e32 0, v62
	s_cbranch_execz .LBB27_95
; %bb.92:
	v_lshl_add_u32 v63, v122, 2, 0x70
	v_mov_b32_e32 v123, 0
.LBB27_93:                              ; =>This Inner Loop Header: Depth=1
	v_cmp_eq_u32_e32 vcc_lo, 1, v122
	ds_load_b32 v65, v63
	v_dual_add_nc_u32 v62, -1, v62 :: v_dual_add_nc_u32 v63, 4, v63
	v_cndmask_b32_e32 v64, v34, v35, vcc_lo
	v_cmp_eq_u32_e32 vcc_lo, 2, v122
	s_delay_alu instid0(VALU_DEP_2) | instskip(SKIP_1) | instid1(VALU_DEP_2)
	v_cndmask_b32_e32 v64, v64, v36, vcc_lo
	v_cmp_eq_u32_e32 vcc_lo, 3, v122
	v_cndmask_b32_e32 v64, v64, v37, vcc_lo
	v_cmp_eq_u32_e32 vcc_lo, 4, v122
	s_delay_alu instid0(VALU_DEP_2) | instskip(SKIP_1) | instid1(VALU_DEP_2)
	v_cndmask_b32_e32 v64, v64, v38, vcc_lo
	v_cmp_eq_u32_e32 vcc_lo, 5, v122
	;; [unrolled: 5-line block ×12, first 2 shown]
	v_cndmask_b32_e32 v64, v64, v59, vcc_lo
	v_cmp_eq_u32_e32 vcc_lo, 26, v122
	s_delay_alu instid0(VALU_DEP_2) | instskip(SKIP_2) | instid1(VALU_DEP_3)
	v_cndmask_b32_e32 v64, v64, v60, vcc_lo
	v_cmp_eq_u32_e32 vcc_lo, 27, v122
	v_add_nc_u64_e32 v[122:123], 1, v[122:123]
	v_cndmask_b32_e32 v64, v64, v61, vcc_lo
	v_cmp_eq_u32_e32 vcc_lo, 0, v62
	s_wait_dscnt 0x0
	s_delay_alu instid0(VALU_DEP_2) | instskip(SKIP_1) | instid1(SALU_CYCLE_1)
	v_fmac_f32_e32 v126, v64, v65
	s_or_b32 s2, vcc_lo, s2
	s_and_not1_b32 exec_lo, exec_lo, s2
	s_cbranch_execnz .LBB27_93
; %bb.94:
	s_or_b32 exec_lo, exec_lo, s2
.LBB27_95:
	s_delay_alu instid0(SALU_CYCLE_1)
	s_or_b32 exec_lo, exec_lo, s1
.LBB27_96:
	s_delay_alu instid0(SALU_CYCLE_1)
	s_or_b32 exec_lo, exec_lo, s5
	v_mov_b32_e32 v54, 0
	ds_load_b32 v54, v54 offset:80
	s_wait_dscnt 0x0
	v_mul_f32_e32 v54, v126, v54
.LBB27_97:
	s_or_b32 exec_lo, exec_lo, s4
	v_cmp_lt_u32_e64 s1, 19, v0
	ds_store_b32 v125, v53
	s_wait_dscnt 0x0
	s_barrier_signal -1
	s_barrier_wait -1
	s_and_saveexec_b32 s4, s1
	s_cbranch_execz .LBB27_113
; %bb.98:
	s_and_not1_b32 vcc_lo, exec_lo, s30
	s_cbranch_vccnz .LBB27_100
; %bb.99:
	v_cmp_eq_u32_e32 vcc_lo, 1, v0
	ds_load_b32 v123, v125
	v_cndmask_b32_e32 v122, v34, v35, vcc_lo
	v_cmp_eq_u32_e32 vcc_lo, 2, v0
	s_delay_alu instid0(VALU_DEP_2) | instskip(SKIP_1) | instid1(VALU_DEP_2)
	v_cndmask_b32_e32 v122, v122, v36, vcc_lo
	v_cmp_eq_u32_e32 vcc_lo, 3, v0
	v_cndmask_b32_e32 v122, v122, v37, vcc_lo
	v_cmp_eq_u32_e32 vcc_lo, 4, v0
	s_delay_alu instid0(VALU_DEP_2) | instskip(SKIP_1) | instid1(VALU_DEP_2)
	v_cndmask_b32_e32 v122, v122, v38, vcc_lo
	v_cmp_eq_u32_e32 vcc_lo, 5, v0
	;; [unrolled: 5-line block ×13, first 2 shown]
	v_cndmask_b32_e32 v122, v122, v61, vcc_lo
	s_wait_dscnt 0x0
	s_delay_alu instid0(VALU_DEP_1)
	v_mul_f32_e32 v126, v122, v123
	s_cbranch_execz .LBB27_101
	s_branch .LBB27_102
.LBB27_100:
                                        ; implicit-def: $vgpr126
.LBB27_101:
	ds_load_b32 v126, v125
.LBB27_102:
	s_and_saveexec_b32 s5, s0
	s_cbranch_execz .LBB27_112
; %bb.103:
	v_subrev_nc_u32_e32 v124, 21, v0
	v_mov_b32_e32 v122, 20
	v_subrev_nc_u32_e32 v123, 20, v0
	s_mov_b32 s0, exec_lo
	s_delay_alu instid0(VALU_DEP_3)
	v_cmpx_lt_u32_e32 6, v124
	s_cbranch_execz .LBB27_107
; %bb.104:
	s_delay_alu instid0(VALU_DEP_2) | instskip(SKIP_3) | instid1(VALU_DEP_1)
	v_and_b32_e32 v122, -8, v123
	s_mov_b32 s6, 0
	s_mov_b64 s[2:3], 27
	s_movk_i32 s7, 0xc0
	v_sub_nc_u32_e32 v124, 0, v122
.LBB27_105:                             ; =>This Inner Loop Header: Depth=1
	s_add_co_i32 m0, s2, -7
	v_movrels_b32_e32 v127, v34
	v_mov_b32_e32 v122, s7
	s_add_co_i32 m0, s2, -6
	s_add_co_i32 s7, s7, 32
	v_movrels_b32_e32 v136, v34
	s_add_co_i32 m0, s2, -5
	ds_load_b128 v[128:131], v122
	ds_load_b128 v[132:135], v122 offset:16
	v_movrels_b32_e32 v122, v34
	s_add_co_i32 m0, s2, -4
	s_wait_dscnt 0x1
	v_fmac_f32_e32 v126, v127, v128
	v_movrels_b32_e32 v127, v34
	s_add_co_i32 m0, s2, -3
	s_delay_alu instid0(VALU_DEP_2) | instskip(NEXT) | instid1(VALU_DEP_1)
	v_fmac_f32_e32 v126, v136, v129
	v_fmac_f32_e32 v126, v122, v130
	v_movrels_b32_e32 v122, v34
	s_add_co_i32 m0, s2, -2
	s_delay_alu instid0(VALU_DEP_2) | instskip(SKIP_3) | instid1(VALU_DEP_2)
	v_fmac_f32_e32 v126, v127, v131
	v_movrels_b32_e32 v127, v34
	s_add_co_i32 m0, s2, -1
	s_wait_dscnt 0x0
	v_fmac_f32_e32 v126, v122, v132
	v_movrels_b32_e32 v122, v34
	s_mov_b32 m0, s2
	s_add_nc_u64 s[2:3], s[2:3], 8
	v_movrels_b32_e32 v128, v34
	v_dual_fmac_f32 v126, v127, v133 :: v_dual_add_nc_u32 v127, s2, v124
	s_add_co_i32 s8, s2, -7
	s_delay_alu instid0(VALU_DEP_1) | instskip(NEXT) | instid1(VALU_DEP_2)
	v_fmac_f32_e32 v126, v122, v134
	v_cmp_eq_u32_e32 vcc_lo, 27, v127
	s_delay_alu instid0(VALU_DEP_2) | instskip(SKIP_1) | instid1(SALU_CYCLE_1)
	v_dual_mov_b32 v122, s8 :: v_dual_fmac_f32 v126, v128, v135
	s_or_b32 s6, vcc_lo, s6
	s_and_not1_b32 exec_lo, exec_lo, s6
	s_cbranch_execnz .LBB27_105
; %bb.106:
	s_or_b32 exec_lo, exec_lo, s6
.LBB27_107:
	s_delay_alu instid0(SALU_CYCLE_1) | instskip(SKIP_3) | instid1(VALU_DEP_1)
	s_or_b32 exec_lo, exec_lo, s0
	v_and_b32_e32 v62, 7, v123
	s_mov_b32 s2, 0
	s_mov_b32 s0, exec_lo
	v_cmpx_ne_u32_e32 0, v62
	s_cbranch_execz .LBB27_111
; %bb.108:
	v_lshl_add_u32 v63, v122, 2, 0x70
	v_mov_b32_e32 v123, 0
.LBB27_109:                             ; =>This Inner Loop Header: Depth=1
	v_cmp_eq_u32_e32 vcc_lo, 1, v122
	ds_load_b32 v65, v63
	v_dual_add_nc_u32 v62, -1, v62 :: v_dual_add_nc_u32 v63, 4, v63
	v_cndmask_b32_e32 v64, v34, v35, vcc_lo
	v_cmp_eq_u32_e32 vcc_lo, 2, v122
	s_delay_alu instid0(VALU_DEP_2) | instskip(SKIP_1) | instid1(VALU_DEP_2)
	v_cndmask_b32_e32 v64, v64, v36, vcc_lo
	v_cmp_eq_u32_e32 vcc_lo, 3, v122
	v_cndmask_b32_e32 v64, v64, v37, vcc_lo
	v_cmp_eq_u32_e32 vcc_lo, 4, v122
	s_delay_alu instid0(VALU_DEP_2) | instskip(SKIP_1) | instid1(VALU_DEP_2)
	v_cndmask_b32_e32 v64, v64, v38, vcc_lo
	v_cmp_eq_u32_e32 vcc_lo, 5, v122
	;; [unrolled: 5-line block ×12, first 2 shown]
	v_cndmask_b32_e32 v64, v64, v59, vcc_lo
	v_cmp_eq_u32_e32 vcc_lo, 26, v122
	s_delay_alu instid0(VALU_DEP_2) | instskip(SKIP_2) | instid1(VALU_DEP_3)
	v_cndmask_b32_e32 v64, v64, v60, vcc_lo
	v_cmp_eq_u32_e32 vcc_lo, 27, v122
	v_add_nc_u64_e32 v[122:123], 1, v[122:123]
	v_cndmask_b32_e32 v64, v64, v61, vcc_lo
	v_cmp_eq_u32_e32 vcc_lo, 0, v62
	s_wait_dscnt 0x0
	s_delay_alu instid0(VALU_DEP_2) | instskip(SKIP_1) | instid1(SALU_CYCLE_1)
	v_fmac_f32_e32 v126, v64, v65
	s_or_b32 s2, vcc_lo, s2
	s_and_not1_b32 exec_lo, exec_lo, s2
	s_cbranch_execnz .LBB27_109
; %bb.110:
	s_or_b32 exec_lo, exec_lo, s2
.LBB27_111:
	s_delay_alu instid0(SALU_CYCLE_1)
	s_or_b32 exec_lo, exec_lo, s0
.LBB27_112:
	s_delay_alu instid0(SALU_CYCLE_1)
	s_or_b32 exec_lo, exec_lo, s5
	v_mov_b32_e32 v53, 0
	ds_load_b32 v53, v53 offset:76
	s_wait_dscnt 0x0
	v_mul_f32_e32 v53, v126, v53
.LBB27_113:
	s_or_b32 exec_lo, exec_lo, s4
	v_cmp_lt_u32_e64 s0, 18, v0
	ds_store_b32 v125, v52
	s_wait_dscnt 0x0
	s_barrier_signal -1
	s_barrier_wait -1
	s_and_saveexec_b32 s4, s0
	s_cbranch_execz .LBB27_129
; %bb.114:
	s_and_not1_b32 vcc_lo, exec_lo, s30
	s_cbranch_vccnz .LBB27_116
; %bb.115:
	v_cmp_eq_u32_e32 vcc_lo, 1, v0
	ds_load_b32 v123, v125
	v_cndmask_b32_e32 v122, v34, v35, vcc_lo
	v_cmp_eq_u32_e32 vcc_lo, 2, v0
	s_delay_alu instid0(VALU_DEP_2) | instskip(SKIP_1) | instid1(VALU_DEP_2)
	v_cndmask_b32_e32 v122, v122, v36, vcc_lo
	v_cmp_eq_u32_e32 vcc_lo, 3, v0
	v_cndmask_b32_e32 v122, v122, v37, vcc_lo
	v_cmp_eq_u32_e32 vcc_lo, 4, v0
	s_delay_alu instid0(VALU_DEP_2) | instskip(SKIP_1) | instid1(VALU_DEP_2)
	v_cndmask_b32_e32 v122, v122, v38, vcc_lo
	v_cmp_eq_u32_e32 vcc_lo, 5, v0
	;; [unrolled: 5-line block ×13, first 2 shown]
	v_cndmask_b32_e32 v122, v122, v61, vcc_lo
	s_wait_dscnt 0x0
	s_delay_alu instid0(VALU_DEP_1)
	v_mul_f32_e32 v126, v122, v123
	s_cbranch_execz .LBB27_117
	s_branch .LBB27_118
.LBB27_116:
                                        ; implicit-def: $vgpr126
.LBB27_117:
	ds_load_b32 v126, v125
.LBB27_118:
	s_and_saveexec_b32 s5, s1
	s_cbranch_execz .LBB27_128
; %bb.119:
	v_subrev_nc_u32_e32 v124, 20, v0
	v_mov_b32_e32 v122, 19
	v_subrev_nc_u32_e32 v123, 19, v0
	s_mov_b32 s1, exec_lo
	s_delay_alu instid0(VALU_DEP_3)
	v_cmpx_lt_u32_e32 6, v124
	s_cbranch_execz .LBB27_123
; %bb.120:
	s_delay_alu instid0(VALU_DEP_2) | instskip(SKIP_3) | instid1(VALU_DEP_1)
	v_and_b32_e32 v122, -8, v123
	s_mov_b32 s6, 0
	s_mov_b64 s[2:3], 26
	s_movk_i32 s7, 0xbc
	v_sub_nc_u32_e32 v124, 0, v122
.LBB27_121:                             ; =>This Inner Loop Header: Depth=1
	s_add_co_i32 m0, s2, -7
	v_movrels_b32_e32 v127, v34
	v_mov_b32_e32 v122, s7
	s_add_co_i32 m0, s2, -6
	s_add_co_i32 s7, s7, 32
	v_movrels_b32_e32 v136, v34
	ds_load_2addr_b32 v[128:129], v122 offset1:1
	ds_load_2addr_b32 v[130:131], v122 offset0:2 offset1:3
	s_add_co_i32 m0, s2, -5
	s_wait_dscnt 0x1
	v_fmac_f32_e32 v126, v127, v128
	ds_load_2addr_b32 v[132:133], v122 offset0:4 offset1:5
	ds_load_2addr_b32 v[134:135], v122 offset0:6 offset1:7
	v_movrels_b32_e32 v122, v34
	s_add_co_i32 m0, s2, -4
	v_fmac_f32_e32 v126, v136, v129
	v_movrels_b32_e32 v127, v34
	s_add_co_i32 m0, s2, -3
	s_wait_dscnt 0x2
	s_delay_alu instid0(VALU_DEP_2) | instskip(SKIP_2) | instid1(VALU_DEP_2)
	v_fmac_f32_e32 v126, v122, v130
	v_movrels_b32_e32 v122, v34
	s_add_co_i32 m0, s2, -2
	v_fmac_f32_e32 v126, v127, v131
	v_movrels_b32_e32 v127, v34
	s_add_co_i32 m0, s2, -1
	s_wait_dscnt 0x1
	s_delay_alu instid0(VALU_DEP_2)
	v_fmac_f32_e32 v126, v122, v132
	v_movrels_b32_e32 v122, v34
	s_mov_b32 m0, s2
	s_add_nc_u64 s[2:3], s[2:3], 8
	v_movrels_b32_e32 v128, v34
	v_dual_fmac_f32 v126, v127, v133 :: v_dual_add_nc_u32 v127, s2, v124
	s_add_co_i32 s8, s2, -7
	s_wait_dscnt 0x0
	s_delay_alu instid0(VALU_DEP_1) | instskip(NEXT) | instid1(VALU_DEP_2)
	v_fmac_f32_e32 v126, v122, v134
	v_cmp_eq_u32_e32 vcc_lo, 26, v127
	s_delay_alu instid0(VALU_DEP_2) | instskip(SKIP_1) | instid1(SALU_CYCLE_1)
	v_dual_mov_b32 v122, s8 :: v_dual_fmac_f32 v126, v128, v135
	s_or_b32 s6, vcc_lo, s6
	s_and_not1_b32 exec_lo, exec_lo, s6
	s_cbranch_execnz .LBB27_121
; %bb.122:
	s_or_b32 exec_lo, exec_lo, s6
.LBB27_123:
	s_delay_alu instid0(SALU_CYCLE_1) | instskip(SKIP_3) | instid1(VALU_DEP_1)
	s_or_b32 exec_lo, exec_lo, s1
	v_and_b32_e32 v62, 7, v123
	s_mov_b32 s2, 0
	s_mov_b32 s1, exec_lo
	v_cmpx_ne_u32_e32 0, v62
	s_cbranch_execz .LBB27_127
; %bb.124:
	v_lshl_add_u32 v63, v122, 2, 0x70
	v_mov_b32_e32 v123, 0
.LBB27_125:                             ; =>This Inner Loop Header: Depth=1
	v_cmp_eq_u32_e32 vcc_lo, 1, v122
	ds_load_b32 v65, v63
	v_dual_add_nc_u32 v62, -1, v62 :: v_dual_add_nc_u32 v63, 4, v63
	v_cndmask_b32_e32 v64, v34, v35, vcc_lo
	v_cmp_eq_u32_e32 vcc_lo, 2, v122
	s_delay_alu instid0(VALU_DEP_2) | instskip(SKIP_1) | instid1(VALU_DEP_2)
	v_cndmask_b32_e32 v64, v64, v36, vcc_lo
	v_cmp_eq_u32_e32 vcc_lo, 3, v122
	v_cndmask_b32_e32 v64, v64, v37, vcc_lo
	v_cmp_eq_u32_e32 vcc_lo, 4, v122
	s_delay_alu instid0(VALU_DEP_2) | instskip(SKIP_1) | instid1(VALU_DEP_2)
	v_cndmask_b32_e32 v64, v64, v38, vcc_lo
	v_cmp_eq_u32_e32 vcc_lo, 5, v122
	;; [unrolled: 5-line block ×12, first 2 shown]
	v_cndmask_b32_e32 v64, v64, v59, vcc_lo
	v_cmp_eq_u32_e32 vcc_lo, 26, v122
	s_delay_alu instid0(VALU_DEP_2) | instskip(SKIP_2) | instid1(VALU_DEP_3)
	v_cndmask_b32_e32 v64, v64, v60, vcc_lo
	v_cmp_eq_u32_e32 vcc_lo, 27, v122
	v_add_nc_u64_e32 v[122:123], 1, v[122:123]
	v_cndmask_b32_e32 v64, v64, v61, vcc_lo
	v_cmp_eq_u32_e32 vcc_lo, 0, v62
	s_wait_dscnt 0x0
	s_delay_alu instid0(VALU_DEP_2) | instskip(SKIP_1) | instid1(SALU_CYCLE_1)
	v_fmac_f32_e32 v126, v64, v65
	s_or_b32 s2, vcc_lo, s2
	s_and_not1_b32 exec_lo, exec_lo, s2
	s_cbranch_execnz .LBB27_125
; %bb.126:
	s_or_b32 exec_lo, exec_lo, s2
.LBB27_127:
	s_delay_alu instid0(SALU_CYCLE_1)
	s_or_b32 exec_lo, exec_lo, s1
.LBB27_128:
	s_delay_alu instid0(SALU_CYCLE_1)
	s_or_b32 exec_lo, exec_lo, s5
	v_mov_b32_e32 v52, 0
	ds_load_b32 v52, v52 offset:72
	s_wait_dscnt 0x0
	v_mul_f32_e32 v52, v126, v52
.LBB27_129:
	s_or_b32 exec_lo, exec_lo, s4
	v_cmp_lt_u32_e64 s1, 17, v0
	ds_store_b32 v125, v51
	s_wait_dscnt 0x0
	s_barrier_signal -1
	s_barrier_wait -1
	s_and_saveexec_b32 s4, s1
	s_cbranch_execz .LBB27_145
; %bb.130:
	s_and_not1_b32 vcc_lo, exec_lo, s30
	s_cbranch_vccnz .LBB27_132
; %bb.131:
	v_cmp_eq_u32_e32 vcc_lo, 1, v0
	ds_load_b32 v123, v125
	v_cndmask_b32_e32 v122, v34, v35, vcc_lo
	v_cmp_eq_u32_e32 vcc_lo, 2, v0
	s_delay_alu instid0(VALU_DEP_2) | instskip(SKIP_1) | instid1(VALU_DEP_2)
	v_cndmask_b32_e32 v122, v122, v36, vcc_lo
	v_cmp_eq_u32_e32 vcc_lo, 3, v0
	v_cndmask_b32_e32 v122, v122, v37, vcc_lo
	v_cmp_eq_u32_e32 vcc_lo, 4, v0
	s_delay_alu instid0(VALU_DEP_2) | instskip(SKIP_1) | instid1(VALU_DEP_2)
	v_cndmask_b32_e32 v122, v122, v38, vcc_lo
	v_cmp_eq_u32_e32 vcc_lo, 5, v0
	;; [unrolled: 5-line block ×13, first 2 shown]
	v_cndmask_b32_e32 v122, v122, v61, vcc_lo
	s_wait_dscnt 0x0
	s_delay_alu instid0(VALU_DEP_1)
	v_mul_f32_e32 v126, v122, v123
	s_cbranch_execz .LBB27_133
	s_branch .LBB27_134
.LBB27_132:
                                        ; implicit-def: $vgpr126
.LBB27_133:
	ds_load_b32 v126, v125
.LBB27_134:
	s_and_saveexec_b32 s5, s0
	s_cbranch_execz .LBB27_144
; %bb.135:
	v_subrev_nc_u32_e32 v124, 19, v0
	v_mov_b32_e32 v122, 18
	v_subrev_nc_u32_e32 v123, 18, v0
	s_mov_b32 s0, exec_lo
	s_delay_alu instid0(VALU_DEP_3)
	v_cmpx_lt_u32_e32 6, v124
	s_cbranch_execz .LBB27_139
; %bb.136:
	s_delay_alu instid0(VALU_DEP_2) | instskip(SKIP_3) | instid1(VALU_DEP_1)
	v_and_b32_e32 v122, -8, v123
	s_mov_b32 s6, 0
	s_mov_b64 s[2:3], 25
	s_movk_i32 s7, 0xb8
	v_sub_nc_u32_e32 v124, 0, v122
.LBB27_137:                             ; =>This Inner Loop Header: Depth=1
	s_add_co_i32 m0, s2, -7
	v_movrels_b32_e32 v127, v34
	v_mov_b32_e32 v122, s7
	s_add_co_i32 m0, s2, -6
	s_add_co_i32 s7, s7, 32
	v_movrels_b32_e32 v136, v34
	s_add_co_i32 m0, s2, -5
	ds_load_2addr_b64 v[128:131], v122 offset1:1
	ds_load_2addr_b64 v[132:135], v122 offset0:2 offset1:3
	v_movrels_b32_e32 v122, v34
	s_add_co_i32 m0, s2, -4
	s_wait_dscnt 0x1
	v_fmac_f32_e32 v126, v127, v128
	v_movrels_b32_e32 v127, v34
	s_add_co_i32 m0, s2, -3
	s_delay_alu instid0(VALU_DEP_2) | instskip(NEXT) | instid1(VALU_DEP_1)
	v_fmac_f32_e32 v126, v136, v129
	v_fmac_f32_e32 v126, v122, v130
	v_movrels_b32_e32 v122, v34
	s_add_co_i32 m0, s2, -2
	s_delay_alu instid0(VALU_DEP_2) | instskip(SKIP_3) | instid1(VALU_DEP_2)
	v_fmac_f32_e32 v126, v127, v131
	v_movrels_b32_e32 v127, v34
	s_add_co_i32 m0, s2, -1
	s_wait_dscnt 0x0
	v_fmac_f32_e32 v126, v122, v132
	v_movrels_b32_e32 v122, v34
	s_mov_b32 m0, s2
	s_add_nc_u64 s[2:3], s[2:3], 8
	v_movrels_b32_e32 v128, v34
	v_dual_fmac_f32 v126, v127, v133 :: v_dual_add_nc_u32 v127, s2, v124
	s_add_co_i32 s8, s2, -7
	s_delay_alu instid0(VALU_DEP_1) | instskip(NEXT) | instid1(VALU_DEP_2)
	v_fmac_f32_e32 v126, v122, v134
	v_cmp_eq_u32_e32 vcc_lo, 25, v127
	s_delay_alu instid0(VALU_DEP_2) | instskip(SKIP_1) | instid1(SALU_CYCLE_1)
	v_dual_mov_b32 v122, s8 :: v_dual_fmac_f32 v126, v128, v135
	s_or_b32 s6, vcc_lo, s6
	s_and_not1_b32 exec_lo, exec_lo, s6
	s_cbranch_execnz .LBB27_137
; %bb.138:
	s_or_b32 exec_lo, exec_lo, s6
.LBB27_139:
	s_delay_alu instid0(SALU_CYCLE_1) | instskip(SKIP_3) | instid1(VALU_DEP_1)
	s_or_b32 exec_lo, exec_lo, s0
	v_and_b32_e32 v62, 7, v123
	s_mov_b32 s2, 0
	s_mov_b32 s0, exec_lo
	v_cmpx_ne_u32_e32 0, v62
	s_cbranch_execz .LBB27_143
; %bb.140:
	v_lshl_add_u32 v63, v122, 2, 0x70
	v_mov_b32_e32 v123, 0
.LBB27_141:                             ; =>This Inner Loop Header: Depth=1
	v_cmp_eq_u32_e32 vcc_lo, 1, v122
	ds_load_b32 v65, v63
	v_dual_add_nc_u32 v62, -1, v62 :: v_dual_add_nc_u32 v63, 4, v63
	v_cndmask_b32_e32 v64, v34, v35, vcc_lo
	v_cmp_eq_u32_e32 vcc_lo, 2, v122
	s_delay_alu instid0(VALU_DEP_2) | instskip(SKIP_1) | instid1(VALU_DEP_2)
	v_cndmask_b32_e32 v64, v64, v36, vcc_lo
	v_cmp_eq_u32_e32 vcc_lo, 3, v122
	v_cndmask_b32_e32 v64, v64, v37, vcc_lo
	v_cmp_eq_u32_e32 vcc_lo, 4, v122
	s_delay_alu instid0(VALU_DEP_2) | instskip(SKIP_1) | instid1(VALU_DEP_2)
	v_cndmask_b32_e32 v64, v64, v38, vcc_lo
	v_cmp_eq_u32_e32 vcc_lo, 5, v122
	;; [unrolled: 5-line block ×12, first 2 shown]
	v_cndmask_b32_e32 v64, v64, v59, vcc_lo
	v_cmp_eq_u32_e32 vcc_lo, 26, v122
	s_delay_alu instid0(VALU_DEP_2) | instskip(SKIP_2) | instid1(VALU_DEP_3)
	v_cndmask_b32_e32 v64, v64, v60, vcc_lo
	v_cmp_eq_u32_e32 vcc_lo, 27, v122
	v_add_nc_u64_e32 v[122:123], 1, v[122:123]
	v_cndmask_b32_e32 v64, v64, v61, vcc_lo
	v_cmp_eq_u32_e32 vcc_lo, 0, v62
	s_wait_dscnt 0x0
	s_delay_alu instid0(VALU_DEP_2) | instskip(SKIP_1) | instid1(SALU_CYCLE_1)
	v_fmac_f32_e32 v126, v64, v65
	s_or_b32 s2, vcc_lo, s2
	s_and_not1_b32 exec_lo, exec_lo, s2
	s_cbranch_execnz .LBB27_141
; %bb.142:
	s_or_b32 exec_lo, exec_lo, s2
.LBB27_143:
	s_delay_alu instid0(SALU_CYCLE_1)
	s_or_b32 exec_lo, exec_lo, s0
.LBB27_144:
	s_delay_alu instid0(SALU_CYCLE_1)
	s_or_b32 exec_lo, exec_lo, s5
	v_mov_b32_e32 v51, 0
	ds_load_b32 v51, v51 offset:68
	s_wait_dscnt 0x0
	v_mul_f32_e32 v51, v126, v51
.LBB27_145:
	s_or_b32 exec_lo, exec_lo, s4
	v_cmp_lt_u32_e64 s0, 16, v0
	ds_store_b32 v125, v50
	s_wait_dscnt 0x0
	s_barrier_signal -1
	s_barrier_wait -1
	s_and_saveexec_b32 s4, s0
	s_cbranch_execz .LBB27_161
; %bb.146:
	s_and_not1_b32 vcc_lo, exec_lo, s30
	s_cbranch_vccnz .LBB27_148
; %bb.147:
	v_cmp_eq_u32_e32 vcc_lo, 1, v0
	ds_load_b32 v123, v125
	v_cndmask_b32_e32 v122, v34, v35, vcc_lo
	v_cmp_eq_u32_e32 vcc_lo, 2, v0
	s_delay_alu instid0(VALU_DEP_2) | instskip(SKIP_1) | instid1(VALU_DEP_2)
	v_cndmask_b32_e32 v122, v122, v36, vcc_lo
	v_cmp_eq_u32_e32 vcc_lo, 3, v0
	v_cndmask_b32_e32 v122, v122, v37, vcc_lo
	v_cmp_eq_u32_e32 vcc_lo, 4, v0
	s_delay_alu instid0(VALU_DEP_2) | instskip(SKIP_1) | instid1(VALU_DEP_2)
	v_cndmask_b32_e32 v122, v122, v38, vcc_lo
	v_cmp_eq_u32_e32 vcc_lo, 5, v0
	;; [unrolled: 5-line block ×13, first 2 shown]
	v_cndmask_b32_e32 v122, v122, v61, vcc_lo
	s_wait_dscnt 0x0
	s_delay_alu instid0(VALU_DEP_1)
	v_mul_f32_e32 v126, v122, v123
	s_cbranch_execz .LBB27_149
	s_branch .LBB27_150
.LBB27_148:
                                        ; implicit-def: $vgpr126
.LBB27_149:
	ds_load_b32 v126, v125
.LBB27_150:
	s_and_saveexec_b32 s5, s1
	s_cbranch_execz .LBB27_160
; %bb.151:
	v_subrev_nc_u32_e32 v124, 18, v0
	v_mov_b32_e32 v122, 17
	v_subrev_nc_u32_e32 v123, 17, v0
	s_mov_b32 s1, exec_lo
	s_delay_alu instid0(VALU_DEP_3)
	v_cmpx_lt_u32_e32 6, v124
	s_cbranch_execz .LBB27_155
; %bb.152:
	s_delay_alu instid0(VALU_DEP_2) | instskip(SKIP_3) | instid1(VALU_DEP_1)
	v_and_b32_e32 v122, -8, v123
	s_mov_b32 s6, 0
	s_mov_b64 s[2:3], 24
	s_movk_i32 s7, 0xb4
	v_sub_nc_u32_e32 v124, 0, v122
.LBB27_153:                             ; =>This Inner Loop Header: Depth=1
	s_add_co_i32 m0, s2, -7
	v_movrels_b32_e32 v127, v34
	v_mov_b32_e32 v122, s7
	s_add_co_i32 m0, s2, -6
	s_add_co_i32 s7, s7, 32
	v_movrels_b32_e32 v136, v34
	ds_load_2addr_b32 v[128:129], v122 offset1:1
	ds_load_2addr_b32 v[130:131], v122 offset0:2 offset1:3
	s_add_co_i32 m0, s2, -5
	s_wait_dscnt 0x1
	v_fmac_f32_e32 v126, v127, v128
	ds_load_2addr_b32 v[132:133], v122 offset0:4 offset1:5
	ds_load_2addr_b32 v[134:135], v122 offset0:6 offset1:7
	v_movrels_b32_e32 v122, v34
	s_add_co_i32 m0, s2, -4
	v_fmac_f32_e32 v126, v136, v129
	v_movrels_b32_e32 v127, v34
	s_add_co_i32 m0, s2, -3
	s_wait_dscnt 0x2
	s_delay_alu instid0(VALU_DEP_2) | instskip(SKIP_2) | instid1(VALU_DEP_2)
	v_fmac_f32_e32 v126, v122, v130
	v_movrels_b32_e32 v122, v34
	s_add_co_i32 m0, s2, -2
	v_fmac_f32_e32 v126, v127, v131
	v_movrels_b32_e32 v127, v34
	s_add_co_i32 m0, s2, -1
	s_wait_dscnt 0x1
	s_delay_alu instid0(VALU_DEP_2)
	v_fmac_f32_e32 v126, v122, v132
	v_movrels_b32_e32 v122, v34
	s_mov_b32 m0, s2
	s_add_nc_u64 s[2:3], s[2:3], 8
	v_movrels_b32_e32 v128, v34
	v_dual_fmac_f32 v126, v127, v133 :: v_dual_add_nc_u32 v127, s2, v124
	s_add_co_i32 s8, s2, -7
	s_wait_dscnt 0x0
	s_delay_alu instid0(VALU_DEP_1) | instskip(NEXT) | instid1(VALU_DEP_2)
	v_fmac_f32_e32 v126, v122, v134
	v_cmp_eq_u32_e32 vcc_lo, 24, v127
	s_delay_alu instid0(VALU_DEP_2) | instskip(SKIP_1) | instid1(SALU_CYCLE_1)
	v_dual_mov_b32 v122, s8 :: v_dual_fmac_f32 v126, v128, v135
	s_or_b32 s6, vcc_lo, s6
	s_and_not1_b32 exec_lo, exec_lo, s6
	s_cbranch_execnz .LBB27_153
; %bb.154:
	s_or_b32 exec_lo, exec_lo, s6
.LBB27_155:
	s_delay_alu instid0(SALU_CYCLE_1) | instskip(SKIP_3) | instid1(VALU_DEP_1)
	s_or_b32 exec_lo, exec_lo, s1
	v_and_b32_e32 v62, 7, v123
	s_mov_b32 s2, 0
	s_mov_b32 s1, exec_lo
	v_cmpx_ne_u32_e32 0, v62
	s_cbranch_execz .LBB27_159
; %bb.156:
	v_lshl_add_u32 v63, v122, 2, 0x70
	v_mov_b32_e32 v123, 0
.LBB27_157:                             ; =>This Inner Loop Header: Depth=1
	v_cmp_eq_u32_e32 vcc_lo, 1, v122
	ds_load_b32 v65, v63
	v_dual_add_nc_u32 v62, -1, v62 :: v_dual_add_nc_u32 v63, 4, v63
	v_cndmask_b32_e32 v64, v34, v35, vcc_lo
	v_cmp_eq_u32_e32 vcc_lo, 2, v122
	s_delay_alu instid0(VALU_DEP_2) | instskip(SKIP_1) | instid1(VALU_DEP_2)
	v_cndmask_b32_e32 v64, v64, v36, vcc_lo
	v_cmp_eq_u32_e32 vcc_lo, 3, v122
	v_cndmask_b32_e32 v64, v64, v37, vcc_lo
	v_cmp_eq_u32_e32 vcc_lo, 4, v122
	s_delay_alu instid0(VALU_DEP_2) | instskip(SKIP_1) | instid1(VALU_DEP_2)
	v_cndmask_b32_e32 v64, v64, v38, vcc_lo
	v_cmp_eq_u32_e32 vcc_lo, 5, v122
	;; [unrolled: 5-line block ×12, first 2 shown]
	v_cndmask_b32_e32 v64, v64, v59, vcc_lo
	v_cmp_eq_u32_e32 vcc_lo, 26, v122
	s_delay_alu instid0(VALU_DEP_2) | instskip(SKIP_2) | instid1(VALU_DEP_3)
	v_cndmask_b32_e32 v64, v64, v60, vcc_lo
	v_cmp_eq_u32_e32 vcc_lo, 27, v122
	v_add_nc_u64_e32 v[122:123], 1, v[122:123]
	v_cndmask_b32_e32 v64, v64, v61, vcc_lo
	v_cmp_eq_u32_e32 vcc_lo, 0, v62
	s_wait_dscnt 0x0
	s_delay_alu instid0(VALU_DEP_2) | instskip(SKIP_1) | instid1(SALU_CYCLE_1)
	v_fmac_f32_e32 v126, v64, v65
	s_or_b32 s2, vcc_lo, s2
	s_and_not1_b32 exec_lo, exec_lo, s2
	s_cbranch_execnz .LBB27_157
; %bb.158:
	s_or_b32 exec_lo, exec_lo, s2
.LBB27_159:
	s_delay_alu instid0(SALU_CYCLE_1)
	s_or_b32 exec_lo, exec_lo, s1
.LBB27_160:
	s_delay_alu instid0(SALU_CYCLE_1)
	s_or_b32 exec_lo, exec_lo, s5
	v_mov_b32_e32 v50, 0
	ds_load_b32 v50, v50 offset:64
	s_wait_dscnt 0x0
	v_mul_f32_e32 v50, v126, v50
.LBB27_161:
	s_or_b32 exec_lo, exec_lo, s4
	v_cmp_lt_u32_e64 s1, 15, v0
	ds_store_b32 v125, v49
	s_wait_dscnt 0x0
	s_barrier_signal -1
	s_barrier_wait -1
	s_and_saveexec_b32 s4, s1
	s_cbranch_execz .LBB27_177
; %bb.162:
	s_and_not1_b32 vcc_lo, exec_lo, s30
	s_cbranch_vccnz .LBB27_164
; %bb.163:
	v_cmp_eq_u32_e32 vcc_lo, 1, v0
	ds_load_b32 v123, v125
	v_cndmask_b32_e32 v122, v34, v35, vcc_lo
	v_cmp_eq_u32_e32 vcc_lo, 2, v0
	s_delay_alu instid0(VALU_DEP_2) | instskip(SKIP_1) | instid1(VALU_DEP_2)
	v_cndmask_b32_e32 v122, v122, v36, vcc_lo
	v_cmp_eq_u32_e32 vcc_lo, 3, v0
	v_cndmask_b32_e32 v122, v122, v37, vcc_lo
	v_cmp_eq_u32_e32 vcc_lo, 4, v0
	s_delay_alu instid0(VALU_DEP_2) | instskip(SKIP_1) | instid1(VALU_DEP_2)
	v_cndmask_b32_e32 v122, v122, v38, vcc_lo
	v_cmp_eq_u32_e32 vcc_lo, 5, v0
	;; [unrolled: 5-line block ×13, first 2 shown]
	v_cndmask_b32_e32 v122, v122, v61, vcc_lo
	s_wait_dscnt 0x0
	s_delay_alu instid0(VALU_DEP_1)
	v_mul_f32_e32 v126, v122, v123
	s_cbranch_execz .LBB27_165
	s_branch .LBB27_166
.LBB27_164:
                                        ; implicit-def: $vgpr126
.LBB27_165:
	ds_load_b32 v126, v125
.LBB27_166:
	s_and_saveexec_b32 s5, s0
	s_cbranch_execz .LBB27_176
; %bb.167:
	v_subrev_nc_u32_e32 v122, 17, v0
	s_delay_alu instid0(VALU_DEP_1)
	v_cmp_lt_u32_e32 vcc_lo, 6, v122
	v_mov_b32_e32 v122, 16
	s_and_saveexec_b32 s0, vcc_lo
	s_cbranch_execz .LBB27_171
; %bb.168:
	v_and_b32_e32 v122, 24, v0
	s_mov_b32 s6, 0
	s_mov_b64 s[2:3], 23
	s_movk_i32 s7, 0xb0
	s_delay_alu instid0(VALU_DEP_1)
	v_sub_nc_u32_e32 v124, 0, v122
.LBB27_169:                             ; =>This Inner Loop Header: Depth=1
	s_add_co_i32 m0, s2, -7
	v_movrels_b32_e32 v123, v34
	v_mov_b32_e32 v122, s7
	s_add_co_i32 m0, s2, -6
	s_add_co_i32 s7, s7, 32
	v_movrels_b32_e32 v127, v34
	s_add_co_i32 m0, s2, -5
	ds_load_b128 v[128:131], v122
	ds_load_b128 v[132:135], v122 offset:16
	v_movrels_b32_e32 v122, v34
	s_add_co_i32 m0, s2, -4
	s_wait_dscnt 0x1
	v_fmac_f32_e32 v126, v123, v128
	v_movrels_b32_e32 v123, v34
	s_add_co_i32 m0, s2, -3
	s_delay_alu instid0(VALU_DEP_2) | instskip(NEXT) | instid1(VALU_DEP_1)
	v_fmac_f32_e32 v126, v127, v129
	v_fmac_f32_e32 v126, v122, v130
	v_movrels_b32_e32 v122, v34
	s_add_co_i32 m0, s2, -2
	s_delay_alu instid0(VALU_DEP_2) | instskip(SKIP_3) | instid1(VALU_DEP_2)
	v_fmac_f32_e32 v126, v123, v131
	v_movrels_b32_e32 v123, v34
	s_add_co_i32 m0, s2, -1
	s_wait_dscnt 0x0
	v_fmac_f32_e32 v126, v122, v132
	v_movrels_b32_e32 v122, v34
	s_mov_b32 m0, s2
	s_add_nc_u64 s[2:3], s[2:3], 8
	v_movrels_b32_e32 v127, v34
	v_dual_fmac_f32 v126, v123, v133 :: v_dual_add_nc_u32 v123, s2, v124
	s_add_co_i32 s8, s2, -7
	s_delay_alu instid0(VALU_DEP_1) | instskip(NEXT) | instid1(VALU_DEP_2)
	v_fmac_f32_e32 v126, v122, v134
	v_cmp_eq_u32_e32 vcc_lo, 7, v123
	s_delay_alu instid0(VALU_DEP_2) | instskip(SKIP_1) | instid1(SALU_CYCLE_1)
	v_dual_mov_b32 v122, s8 :: v_dual_fmac_f32 v126, v127, v135
	s_or_b32 s6, vcc_lo, s6
	s_and_not1_b32 exec_lo, exec_lo, s6
	s_cbranch_execnz .LBB27_169
; %bb.170:
	s_or_b32 exec_lo, exec_lo, s6
.LBB27_171:
	s_delay_alu instid0(SALU_CYCLE_1) | instskip(SKIP_3) | instid1(VALU_DEP_1)
	s_or_b32 exec_lo, exec_lo, s0
	v_and_b32_e32 v62, 7, v0
	s_mov_b32 s2, 0
	s_mov_b32 s0, exec_lo
	v_cmpx_ne_u32_e32 0, v62
	s_cbranch_execz .LBB27_175
; %bb.172:
	v_lshl_add_u32 v63, v122, 2, 0x70
	v_mov_b32_e32 v123, 0
.LBB27_173:                             ; =>This Inner Loop Header: Depth=1
	v_cmp_eq_u32_e32 vcc_lo, 1, v122
	ds_load_b32 v65, v63
	v_dual_add_nc_u32 v62, -1, v62 :: v_dual_add_nc_u32 v63, 4, v63
	v_cndmask_b32_e32 v64, v34, v35, vcc_lo
	v_cmp_eq_u32_e32 vcc_lo, 2, v122
	s_delay_alu instid0(VALU_DEP_2) | instskip(SKIP_1) | instid1(VALU_DEP_2)
	v_cndmask_b32_e32 v64, v64, v36, vcc_lo
	v_cmp_eq_u32_e32 vcc_lo, 3, v122
	v_cndmask_b32_e32 v64, v64, v37, vcc_lo
	v_cmp_eq_u32_e32 vcc_lo, 4, v122
	s_delay_alu instid0(VALU_DEP_2) | instskip(SKIP_1) | instid1(VALU_DEP_2)
	v_cndmask_b32_e32 v64, v64, v38, vcc_lo
	v_cmp_eq_u32_e32 vcc_lo, 5, v122
	;; [unrolled: 5-line block ×12, first 2 shown]
	v_cndmask_b32_e32 v64, v64, v59, vcc_lo
	v_cmp_eq_u32_e32 vcc_lo, 26, v122
	s_delay_alu instid0(VALU_DEP_2) | instskip(SKIP_2) | instid1(VALU_DEP_3)
	v_cndmask_b32_e32 v64, v64, v60, vcc_lo
	v_cmp_eq_u32_e32 vcc_lo, 27, v122
	v_add_nc_u64_e32 v[122:123], 1, v[122:123]
	v_cndmask_b32_e32 v64, v64, v61, vcc_lo
	v_cmp_eq_u32_e32 vcc_lo, 0, v62
	s_wait_dscnt 0x0
	s_delay_alu instid0(VALU_DEP_2) | instskip(SKIP_1) | instid1(SALU_CYCLE_1)
	v_fmac_f32_e32 v126, v64, v65
	s_or_b32 s2, vcc_lo, s2
	s_and_not1_b32 exec_lo, exec_lo, s2
	s_cbranch_execnz .LBB27_173
; %bb.174:
	s_or_b32 exec_lo, exec_lo, s2
.LBB27_175:
	s_delay_alu instid0(SALU_CYCLE_1)
	s_or_b32 exec_lo, exec_lo, s0
.LBB27_176:
	s_delay_alu instid0(SALU_CYCLE_1)
	s_or_b32 exec_lo, exec_lo, s5
	v_mov_b32_e32 v49, 0
	ds_load_b32 v49, v49 offset:60
	s_wait_dscnt 0x0
	v_mul_f32_e32 v49, v126, v49
.LBB27_177:
	s_or_b32 exec_lo, exec_lo, s4
	v_cmp_lt_u32_e64 s0, 14, v0
	ds_store_b32 v125, v48
	s_wait_dscnt 0x0
	s_barrier_signal -1
	s_barrier_wait -1
	s_and_saveexec_b32 s4, s0
	s_cbranch_execz .LBB27_193
; %bb.178:
	s_and_not1_b32 vcc_lo, exec_lo, s30
	s_cbranch_vccnz .LBB27_180
; %bb.179:
	v_cmp_eq_u32_e32 vcc_lo, 1, v0
	ds_load_b32 v123, v125
	v_cndmask_b32_e32 v122, v34, v35, vcc_lo
	v_cmp_eq_u32_e32 vcc_lo, 2, v0
	s_delay_alu instid0(VALU_DEP_2) | instskip(SKIP_1) | instid1(VALU_DEP_2)
	v_cndmask_b32_e32 v122, v122, v36, vcc_lo
	v_cmp_eq_u32_e32 vcc_lo, 3, v0
	v_cndmask_b32_e32 v122, v122, v37, vcc_lo
	v_cmp_eq_u32_e32 vcc_lo, 4, v0
	s_delay_alu instid0(VALU_DEP_2) | instskip(SKIP_1) | instid1(VALU_DEP_2)
	v_cndmask_b32_e32 v122, v122, v38, vcc_lo
	v_cmp_eq_u32_e32 vcc_lo, 5, v0
	;; [unrolled: 5-line block ×13, first 2 shown]
	v_cndmask_b32_e32 v122, v122, v61, vcc_lo
	s_wait_dscnt 0x0
	s_delay_alu instid0(VALU_DEP_1)
	v_mul_f32_e32 v126, v122, v123
	s_cbranch_execz .LBB27_181
	s_branch .LBB27_182
.LBB27_180:
                                        ; implicit-def: $vgpr126
.LBB27_181:
	ds_load_b32 v126, v125
.LBB27_182:
	s_and_saveexec_b32 s5, s1
	s_cbranch_execz .LBB27_192
; %bb.183:
	v_dual_add_nc_u32 v122, -16, v0 :: v_dual_add_nc_u32 v123, -15, v0
	s_delay_alu instid0(VALU_DEP_1)
	v_cmp_lt_u32_e32 vcc_lo, 6, v122
	v_mov_b32_e32 v122, 15
	s_and_saveexec_b32 s1, vcc_lo
	s_cbranch_execz .LBB27_187
; %bb.184:
	v_and_b32_e32 v122, -8, v123
	s_mov_b32 s6, 0
	s_mov_b64 s[2:3], 22
	s_movk_i32 s7, 0xac
	s_delay_alu instid0(VALU_DEP_1)
	v_sub_nc_u32_e32 v124, 0, v122
.LBB27_185:                             ; =>This Inner Loop Header: Depth=1
	s_add_co_i32 m0, s2, -7
	v_movrels_b32_e32 v127, v34
	v_mov_b32_e32 v122, s7
	s_add_co_i32 m0, s2, -6
	s_add_co_i32 s7, s7, 32
	v_movrels_b32_e32 v136, v34
	ds_load_2addr_b32 v[128:129], v122 offset1:1
	ds_load_2addr_b32 v[130:131], v122 offset0:2 offset1:3
	s_add_co_i32 m0, s2, -5
	s_wait_dscnt 0x1
	v_fmac_f32_e32 v126, v127, v128
	ds_load_2addr_b32 v[132:133], v122 offset0:4 offset1:5
	ds_load_2addr_b32 v[134:135], v122 offset0:6 offset1:7
	v_movrels_b32_e32 v122, v34
	s_add_co_i32 m0, s2, -4
	v_fmac_f32_e32 v126, v136, v129
	v_movrels_b32_e32 v127, v34
	s_add_co_i32 m0, s2, -3
	s_wait_dscnt 0x2
	s_delay_alu instid0(VALU_DEP_2) | instskip(SKIP_2) | instid1(VALU_DEP_2)
	v_fmac_f32_e32 v126, v122, v130
	v_movrels_b32_e32 v122, v34
	s_add_co_i32 m0, s2, -2
	v_fmac_f32_e32 v126, v127, v131
	v_movrels_b32_e32 v127, v34
	s_add_co_i32 m0, s2, -1
	s_wait_dscnt 0x1
	s_delay_alu instid0(VALU_DEP_2)
	v_fmac_f32_e32 v126, v122, v132
	v_movrels_b32_e32 v122, v34
	s_mov_b32 m0, s2
	s_add_nc_u64 s[2:3], s[2:3], 8
	v_movrels_b32_e32 v128, v34
	v_dual_fmac_f32 v126, v127, v133 :: v_dual_add_nc_u32 v127, s2, v124
	s_add_co_i32 s8, s2, -7
	s_wait_dscnt 0x0
	s_delay_alu instid0(VALU_DEP_1) | instskip(NEXT) | instid1(VALU_DEP_2)
	v_fmac_f32_e32 v126, v122, v134
	v_cmp_eq_u32_e32 vcc_lo, 22, v127
	s_delay_alu instid0(VALU_DEP_2) | instskip(SKIP_1) | instid1(SALU_CYCLE_1)
	v_dual_mov_b32 v122, s8 :: v_dual_fmac_f32 v126, v128, v135
	s_or_b32 s6, vcc_lo, s6
	s_and_not1_b32 exec_lo, exec_lo, s6
	s_cbranch_execnz .LBB27_185
; %bb.186:
	s_or_b32 exec_lo, exec_lo, s6
.LBB27_187:
	s_delay_alu instid0(SALU_CYCLE_1) | instskip(SKIP_3) | instid1(VALU_DEP_1)
	s_or_b32 exec_lo, exec_lo, s1
	v_and_b32_e32 v62, 7, v123
	s_mov_b32 s2, 0
	s_mov_b32 s1, exec_lo
	v_cmpx_ne_u32_e32 0, v62
	s_cbranch_execz .LBB27_191
; %bb.188:
	v_lshl_add_u32 v63, v122, 2, 0x70
	v_mov_b32_e32 v123, 0
.LBB27_189:                             ; =>This Inner Loop Header: Depth=1
	v_cmp_eq_u32_e32 vcc_lo, 1, v122
	ds_load_b32 v65, v63
	v_dual_add_nc_u32 v62, -1, v62 :: v_dual_add_nc_u32 v63, 4, v63
	v_cndmask_b32_e32 v64, v34, v35, vcc_lo
	v_cmp_eq_u32_e32 vcc_lo, 2, v122
	s_delay_alu instid0(VALU_DEP_2) | instskip(SKIP_1) | instid1(VALU_DEP_2)
	v_cndmask_b32_e32 v64, v64, v36, vcc_lo
	v_cmp_eq_u32_e32 vcc_lo, 3, v122
	v_cndmask_b32_e32 v64, v64, v37, vcc_lo
	v_cmp_eq_u32_e32 vcc_lo, 4, v122
	s_delay_alu instid0(VALU_DEP_2) | instskip(SKIP_1) | instid1(VALU_DEP_2)
	v_cndmask_b32_e32 v64, v64, v38, vcc_lo
	v_cmp_eq_u32_e32 vcc_lo, 5, v122
	;; [unrolled: 5-line block ×12, first 2 shown]
	v_cndmask_b32_e32 v64, v64, v59, vcc_lo
	v_cmp_eq_u32_e32 vcc_lo, 26, v122
	s_delay_alu instid0(VALU_DEP_2) | instskip(SKIP_2) | instid1(VALU_DEP_3)
	v_cndmask_b32_e32 v64, v64, v60, vcc_lo
	v_cmp_eq_u32_e32 vcc_lo, 27, v122
	v_add_nc_u64_e32 v[122:123], 1, v[122:123]
	v_cndmask_b32_e32 v64, v64, v61, vcc_lo
	v_cmp_eq_u32_e32 vcc_lo, 0, v62
	s_wait_dscnt 0x0
	s_delay_alu instid0(VALU_DEP_2) | instskip(SKIP_1) | instid1(SALU_CYCLE_1)
	v_fmac_f32_e32 v126, v64, v65
	s_or_b32 s2, vcc_lo, s2
	s_and_not1_b32 exec_lo, exec_lo, s2
	s_cbranch_execnz .LBB27_189
; %bb.190:
	s_or_b32 exec_lo, exec_lo, s2
.LBB27_191:
	s_delay_alu instid0(SALU_CYCLE_1)
	s_or_b32 exec_lo, exec_lo, s1
.LBB27_192:
	s_delay_alu instid0(SALU_CYCLE_1)
	s_or_b32 exec_lo, exec_lo, s5
	v_mov_b32_e32 v48, 0
	ds_load_b32 v48, v48 offset:56
	s_wait_dscnt 0x0
	v_mul_f32_e32 v48, v126, v48
.LBB27_193:
	s_or_b32 exec_lo, exec_lo, s4
	v_cmp_lt_u32_e64 s1, 13, v0
	ds_store_b32 v125, v47
	s_wait_dscnt 0x0
	s_barrier_signal -1
	s_barrier_wait -1
	s_and_saveexec_b32 s4, s1
	s_cbranch_execz .LBB27_209
; %bb.194:
	s_and_not1_b32 vcc_lo, exec_lo, s30
	s_cbranch_vccnz .LBB27_196
; %bb.195:
	v_cmp_eq_u32_e32 vcc_lo, 1, v0
	ds_load_b32 v123, v125
	v_cndmask_b32_e32 v122, v34, v35, vcc_lo
	v_cmp_eq_u32_e32 vcc_lo, 2, v0
	s_delay_alu instid0(VALU_DEP_2) | instskip(SKIP_1) | instid1(VALU_DEP_2)
	v_cndmask_b32_e32 v122, v122, v36, vcc_lo
	v_cmp_eq_u32_e32 vcc_lo, 3, v0
	v_cndmask_b32_e32 v122, v122, v37, vcc_lo
	v_cmp_eq_u32_e32 vcc_lo, 4, v0
	s_delay_alu instid0(VALU_DEP_2) | instskip(SKIP_1) | instid1(VALU_DEP_2)
	v_cndmask_b32_e32 v122, v122, v38, vcc_lo
	v_cmp_eq_u32_e32 vcc_lo, 5, v0
	;; [unrolled: 5-line block ×13, first 2 shown]
	v_cndmask_b32_e32 v122, v122, v61, vcc_lo
	s_wait_dscnt 0x0
	s_delay_alu instid0(VALU_DEP_1)
	v_mul_f32_e32 v126, v122, v123
	s_cbranch_execz .LBB27_197
	s_branch .LBB27_198
.LBB27_196:
                                        ; implicit-def: $vgpr126
.LBB27_197:
	ds_load_b32 v126, v125
.LBB27_198:
	s_and_saveexec_b32 s5, s0
	s_cbranch_execz .LBB27_208
; %bb.199:
	v_dual_add_nc_u32 v122, -15, v0 :: v_dual_add_nc_u32 v123, -14, v0
	s_delay_alu instid0(VALU_DEP_1)
	v_cmp_lt_u32_e32 vcc_lo, 6, v122
	v_mov_b32_e32 v122, 14
	s_and_saveexec_b32 s0, vcc_lo
	s_cbranch_execz .LBB27_203
; %bb.200:
	v_and_b32_e32 v122, -8, v123
	s_mov_b32 s6, 0
	s_mov_b64 s[2:3], 21
	s_movk_i32 s7, 0xa8
	s_delay_alu instid0(VALU_DEP_1)
	v_sub_nc_u32_e32 v124, 0, v122
.LBB27_201:                             ; =>This Inner Loop Header: Depth=1
	s_add_co_i32 m0, s2, -7
	v_movrels_b32_e32 v127, v34
	v_mov_b32_e32 v122, s7
	s_add_co_i32 m0, s2, -6
	s_add_co_i32 s7, s7, 32
	v_movrels_b32_e32 v136, v34
	s_add_co_i32 m0, s2, -5
	ds_load_2addr_b64 v[128:131], v122 offset1:1
	ds_load_2addr_b64 v[132:135], v122 offset0:2 offset1:3
	v_movrels_b32_e32 v122, v34
	s_add_co_i32 m0, s2, -4
	s_wait_dscnt 0x1
	v_fmac_f32_e32 v126, v127, v128
	v_movrels_b32_e32 v127, v34
	s_add_co_i32 m0, s2, -3
	s_delay_alu instid0(VALU_DEP_2) | instskip(NEXT) | instid1(VALU_DEP_1)
	v_fmac_f32_e32 v126, v136, v129
	v_fmac_f32_e32 v126, v122, v130
	v_movrels_b32_e32 v122, v34
	s_add_co_i32 m0, s2, -2
	s_delay_alu instid0(VALU_DEP_2) | instskip(SKIP_3) | instid1(VALU_DEP_2)
	v_fmac_f32_e32 v126, v127, v131
	v_movrels_b32_e32 v127, v34
	s_add_co_i32 m0, s2, -1
	s_wait_dscnt 0x0
	v_fmac_f32_e32 v126, v122, v132
	v_movrels_b32_e32 v122, v34
	s_mov_b32 m0, s2
	s_add_nc_u64 s[2:3], s[2:3], 8
	v_movrels_b32_e32 v128, v34
	v_dual_fmac_f32 v126, v127, v133 :: v_dual_add_nc_u32 v127, s2, v124
	s_add_co_i32 s8, s2, -7
	s_delay_alu instid0(VALU_DEP_1) | instskip(NEXT) | instid1(VALU_DEP_2)
	v_fmac_f32_e32 v126, v122, v134
	v_cmp_eq_u32_e32 vcc_lo, 21, v127
	s_delay_alu instid0(VALU_DEP_2) | instskip(SKIP_1) | instid1(SALU_CYCLE_1)
	v_dual_mov_b32 v122, s8 :: v_dual_fmac_f32 v126, v128, v135
	s_or_b32 s6, vcc_lo, s6
	s_and_not1_b32 exec_lo, exec_lo, s6
	s_cbranch_execnz .LBB27_201
; %bb.202:
	s_or_b32 exec_lo, exec_lo, s6
.LBB27_203:
	s_delay_alu instid0(SALU_CYCLE_1) | instskip(SKIP_3) | instid1(VALU_DEP_1)
	s_or_b32 exec_lo, exec_lo, s0
	v_and_b32_e32 v62, 7, v123
	s_mov_b32 s2, 0
	s_mov_b32 s0, exec_lo
	v_cmpx_ne_u32_e32 0, v62
	s_cbranch_execz .LBB27_207
; %bb.204:
	v_lshl_add_u32 v63, v122, 2, 0x70
	v_mov_b32_e32 v123, 0
.LBB27_205:                             ; =>This Inner Loop Header: Depth=1
	v_cmp_eq_u32_e32 vcc_lo, 1, v122
	ds_load_b32 v65, v63
	v_dual_add_nc_u32 v62, -1, v62 :: v_dual_add_nc_u32 v63, 4, v63
	v_cndmask_b32_e32 v64, v34, v35, vcc_lo
	v_cmp_eq_u32_e32 vcc_lo, 2, v122
	s_delay_alu instid0(VALU_DEP_2) | instskip(SKIP_1) | instid1(VALU_DEP_2)
	v_cndmask_b32_e32 v64, v64, v36, vcc_lo
	v_cmp_eq_u32_e32 vcc_lo, 3, v122
	v_cndmask_b32_e32 v64, v64, v37, vcc_lo
	v_cmp_eq_u32_e32 vcc_lo, 4, v122
	s_delay_alu instid0(VALU_DEP_2) | instskip(SKIP_1) | instid1(VALU_DEP_2)
	v_cndmask_b32_e32 v64, v64, v38, vcc_lo
	v_cmp_eq_u32_e32 vcc_lo, 5, v122
	;; [unrolled: 5-line block ×12, first 2 shown]
	v_cndmask_b32_e32 v64, v64, v59, vcc_lo
	v_cmp_eq_u32_e32 vcc_lo, 26, v122
	s_delay_alu instid0(VALU_DEP_2) | instskip(SKIP_2) | instid1(VALU_DEP_3)
	v_cndmask_b32_e32 v64, v64, v60, vcc_lo
	v_cmp_eq_u32_e32 vcc_lo, 27, v122
	v_add_nc_u64_e32 v[122:123], 1, v[122:123]
	v_cndmask_b32_e32 v64, v64, v61, vcc_lo
	v_cmp_eq_u32_e32 vcc_lo, 0, v62
	s_wait_dscnt 0x0
	s_delay_alu instid0(VALU_DEP_2) | instskip(SKIP_1) | instid1(SALU_CYCLE_1)
	v_fmac_f32_e32 v126, v64, v65
	s_or_b32 s2, vcc_lo, s2
	s_and_not1_b32 exec_lo, exec_lo, s2
	s_cbranch_execnz .LBB27_205
; %bb.206:
	s_or_b32 exec_lo, exec_lo, s2
.LBB27_207:
	s_delay_alu instid0(SALU_CYCLE_1)
	s_or_b32 exec_lo, exec_lo, s0
.LBB27_208:
	s_delay_alu instid0(SALU_CYCLE_1)
	s_or_b32 exec_lo, exec_lo, s5
	v_mov_b32_e32 v47, 0
	ds_load_b32 v47, v47 offset:52
	s_wait_dscnt 0x0
	v_mul_f32_e32 v47, v126, v47
.LBB27_209:
	s_or_b32 exec_lo, exec_lo, s4
	v_cmp_lt_u32_e64 s0, 12, v0
	ds_store_b32 v125, v46
	s_wait_dscnt 0x0
	s_barrier_signal -1
	s_barrier_wait -1
	s_and_saveexec_b32 s4, s0
	s_cbranch_execz .LBB27_225
; %bb.210:
	s_and_not1_b32 vcc_lo, exec_lo, s30
	s_cbranch_vccnz .LBB27_212
; %bb.211:
	v_cmp_eq_u32_e32 vcc_lo, 1, v0
	ds_load_b32 v123, v125
	v_cndmask_b32_e32 v122, v34, v35, vcc_lo
	v_cmp_eq_u32_e32 vcc_lo, 2, v0
	s_delay_alu instid0(VALU_DEP_2) | instskip(SKIP_1) | instid1(VALU_DEP_2)
	v_cndmask_b32_e32 v122, v122, v36, vcc_lo
	v_cmp_eq_u32_e32 vcc_lo, 3, v0
	v_cndmask_b32_e32 v122, v122, v37, vcc_lo
	v_cmp_eq_u32_e32 vcc_lo, 4, v0
	s_delay_alu instid0(VALU_DEP_2) | instskip(SKIP_1) | instid1(VALU_DEP_2)
	v_cndmask_b32_e32 v122, v122, v38, vcc_lo
	v_cmp_eq_u32_e32 vcc_lo, 5, v0
	;; [unrolled: 5-line block ×13, first 2 shown]
	v_cndmask_b32_e32 v122, v122, v61, vcc_lo
	s_wait_dscnt 0x0
	s_delay_alu instid0(VALU_DEP_1)
	v_mul_f32_e32 v126, v122, v123
	s_cbranch_execz .LBB27_213
	s_branch .LBB27_214
.LBB27_212:
                                        ; implicit-def: $vgpr126
.LBB27_213:
	ds_load_b32 v126, v125
.LBB27_214:
	s_and_saveexec_b32 s5, s1
	s_cbranch_execz .LBB27_224
; %bb.215:
	v_dual_add_nc_u32 v122, -14, v0 :: v_dual_add_nc_u32 v123, -13, v0
	s_delay_alu instid0(VALU_DEP_1)
	v_cmp_lt_u32_e32 vcc_lo, 6, v122
	v_mov_b32_e32 v122, 13
	s_and_saveexec_b32 s1, vcc_lo
	s_cbranch_execz .LBB27_219
; %bb.216:
	v_and_b32_e32 v122, -8, v123
	s_mov_b32 s6, 0
	s_mov_b64 s[2:3], 20
	s_movk_i32 s7, 0xa4
	s_delay_alu instid0(VALU_DEP_1)
	v_sub_nc_u32_e32 v124, 0, v122
.LBB27_217:                             ; =>This Inner Loop Header: Depth=1
	s_add_co_i32 m0, s2, -7
	v_movrels_b32_e32 v127, v34
	v_mov_b32_e32 v122, s7
	s_add_co_i32 m0, s2, -6
	s_add_co_i32 s7, s7, 32
	v_movrels_b32_e32 v136, v34
	ds_load_2addr_b32 v[128:129], v122 offset1:1
	ds_load_2addr_b32 v[130:131], v122 offset0:2 offset1:3
	s_add_co_i32 m0, s2, -5
	s_wait_dscnt 0x1
	v_fmac_f32_e32 v126, v127, v128
	ds_load_2addr_b32 v[132:133], v122 offset0:4 offset1:5
	ds_load_2addr_b32 v[134:135], v122 offset0:6 offset1:7
	v_movrels_b32_e32 v122, v34
	s_add_co_i32 m0, s2, -4
	v_fmac_f32_e32 v126, v136, v129
	v_movrels_b32_e32 v127, v34
	s_add_co_i32 m0, s2, -3
	s_wait_dscnt 0x2
	s_delay_alu instid0(VALU_DEP_2) | instskip(SKIP_2) | instid1(VALU_DEP_2)
	v_fmac_f32_e32 v126, v122, v130
	v_movrels_b32_e32 v122, v34
	s_add_co_i32 m0, s2, -2
	v_fmac_f32_e32 v126, v127, v131
	v_movrels_b32_e32 v127, v34
	s_add_co_i32 m0, s2, -1
	s_wait_dscnt 0x1
	s_delay_alu instid0(VALU_DEP_2)
	v_fmac_f32_e32 v126, v122, v132
	v_movrels_b32_e32 v122, v34
	s_mov_b32 m0, s2
	s_add_nc_u64 s[2:3], s[2:3], 8
	v_movrels_b32_e32 v128, v34
	v_dual_fmac_f32 v126, v127, v133 :: v_dual_add_nc_u32 v127, s2, v124
	s_add_co_i32 s8, s2, -7
	s_wait_dscnt 0x0
	s_delay_alu instid0(VALU_DEP_1) | instskip(NEXT) | instid1(VALU_DEP_2)
	v_fmac_f32_e32 v126, v122, v134
	v_cmp_eq_u32_e32 vcc_lo, 20, v127
	s_delay_alu instid0(VALU_DEP_2) | instskip(SKIP_1) | instid1(SALU_CYCLE_1)
	v_dual_mov_b32 v122, s8 :: v_dual_fmac_f32 v126, v128, v135
	s_or_b32 s6, vcc_lo, s6
	s_and_not1_b32 exec_lo, exec_lo, s6
	s_cbranch_execnz .LBB27_217
; %bb.218:
	s_or_b32 exec_lo, exec_lo, s6
.LBB27_219:
	s_delay_alu instid0(SALU_CYCLE_1) | instskip(SKIP_3) | instid1(VALU_DEP_1)
	s_or_b32 exec_lo, exec_lo, s1
	v_and_b32_e32 v62, 7, v123
	s_mov_b32 s2, 0
	s_mov_b32 s1, exec_lo
	v_cmpx_ne_u32_e32 0, v62
	s_cbranch_execz .LBB27_223
; %bb.220:
	v_lshl_add_u32 v63, v122, 2, 0x70
	v_mov_b32_e32 v123, 0
.LBB27_221:                             ; =>This Inner Loop Header: Depth=1
	v_cmp_eq_u32_e32 vcc_lo, 1, v122
	ds_load_b32 v65, v63
	v_dual_add_nc_u32 v62, -1, v62 :: v_dual_add_nc_u32 v63, 4, v63
	v_cndmask_b32_e32 v64, v34, v35, vcc_lo
	v_cmp_eq_u32_e32 vcc_lo, 2, v122
	s_delay_alu instid0(VALU_DEP_2) | instskip(SKIP_1) | instid1(VALU_DEP_2)
	v_cndmask_b32_e32 v64, v64, v36, vcc_lo
	v_cmp_eq_u32_e32 vcc_lo, 3, v122
	v_cndmask_b32_e32 v64, v64, v37, vcc_lo
	v_cmp_eq_u32_e32 vcc_lo, 4, v122
	s_delay_alu instid0(VALU_DEP_2) | instskip(SKIP_1) | instid1(VALU_DEP_2)
	v_cndmask_b32_e32 v64, v64, v38, vcc_lo
	v_cmp_eq_u32_e32 vcc_lo, 5, v122
	;; [unrolled: 5-line block ×12, first 2 shown]
	v_cndmask_b32_e32 v64, v64, v59, vcc_lo
	v_cmp_eq_u32_e32 vcc_lo, 26, v122
	s_delay_alu instid0(VALU_DEP_2) | instskip(SKIP_2) | instid1(VALU_DEP_3)
	v_cndmask_b32_e32 v64, v64, v60, vcc_lo
	v_cmp_eq_u32_e32 vcc_lo, 27, v122
	v_add_nc_u64_e32 v[122:123], 1, v[122:123]
	v_cndmask_b32_e32 v64, v64, v61, vcc_lo
	v_cmp_eq_u32_e32 vcc_lo, 0, v62
	s_wait_dscnt 0x0
	s_delay_alu instid0(VALU_DEP_2) | instskip(SKIP_1) | instid1(SALU_CYCLE_1)
	v_fmac_f32_e32 v126, v64, v65
	s_or_b32 s2, vcc_lo, s2
	s_and_not1_b32 exec_lo, exec_lo, s2
	s_cbranch_execnz .LBB27_221
; %bb.222:
	s_or_b32 exec_lo, exec_lo, s2
.LBB27_223:
	s_delay_alu instid0(SALU_CYCLE_1)
	s_or_b32 exec_lo, exec_lo, s1
.LBB27_224:
	s_delay_alu instid0(SALU_CYCLE_1)
	s_or_b32 exec_lo, exec_lo, s5
	v_mov_b32_e32 v46, 0
	ds_load_b32 v46, v46 offset:48
	s_wait_dscnt 0x0
	v_mul_f32_e32 v46, v126, v46
.LBB27_225:
	s_or_b32 exec_lo, exec_lo, s4
	v_cmp_lt_u32_e64 s1, 11, v0
	ds_store_b32 v125, v45
	s_wait_dscnt 0x0
	s_barrier_signal -1
	s_barrier_wait -1
	s_and_saveexec_b32 s4, s1
	s_cbranch_execz .LBB27_241
; %bb.226:
	s_and_not1_b32 vcc_lo, exec_lo, s30
	s_cbranch_vccnz .LBB27_228
; %bb.227:
	v_cmp_eq_u32_e32 vcc_lo, 1, v0
	ds_load_b32 v123, v125
	v_cndmask_b32_e32 v122, v34, v35, vcc_lo
	v_cmp_eq_u32_e32 vcc_lo, 2, v0
	s_delay_alu instid0(VALU_DEP_2) | instskip(SKIP_1) | instid1(VALU_DEP_2)
	v_cndmask_b32_e32 v122, v122, v36, vcc_lo
	v_cmp_eq_u32_e32 vcc_lo, 3, v0
	v_cndmask_b32_e32 v122, v122, v37, vcc_lo
	v_cmp_eq_u32_e32 vcc_lo, 4, v0
	s_delay_alu instid0(VALU_DEP_2) | instskip(SKIP_1) | instid1(VALU_DEP_2)
	v_cndmask_b32_e32 v122, v122, v38, vcc_lo
	v_cmp_eq_u32_e32 vcc_lo, 5, v0
	;; [unrolled: 5-line block ×13, first 2 shown]
	v_cndmask_b32_e32 v122, v122, v61, vcc_lo
	s_wait_dscnt 0x0
	s_delay_alu instid0(VALU_DEP_1)
	v_mul_f32_e32 v126, v122, v123
	s_cbranch_execz .LBB27_229
	s_branch .LBB27_230
.LBB27_228:
                                        ; implicit-def: $vgpr126
.LBB27_229:
	ds_load_b32 v126, v125
.LBB27_230:
	s_and_saveexec_b32 s5, s0
	s_cbranch_execz .LBB27_240
; %bb.231:
	v_dual_add_nc_u32 v122, -13, v0 :: v_dual_add_nc_u32 v123, -12, v0
	s_delay_alu instid0(VALU_DEP_1)
	v_cmp_lt_u32_e32 vcc_lo, 6, v122
	v_mov_b32_e32 v122, 12
	s_and_saveexec_b32 s0, vcc_lo
	s_cbranch_execz .LBB27_235
; %bb.232:
	v_and_b32_e32 v122, -8, v123
	s_mov_b32 s6, 0
	s_mov_b64 s[2:3], 19
	s_movk_i32 s7, 0xa0
	s_delay_alu instid0(VALU_DEP_1)
	v_sub_nc_u32_e32 v124, 0, v122
.LBB27_233:                             ; =>This Inner Loop Header: Depth=1
	s_add_co_i32 m0, s2, -7
	v_movrels_b32_e32 v127, v34
	v_mov_b32_e32 v122, s7
	s_add_co_i32 m0, s2, -6
	s_add_co_i32 s7, s7, 32
	v_movrels_b32_e32 v136, v34
	s_add_co_i32 m0, s2, -5
	ds_load_b128 v[128:131], v122
	ds_load_b128 v[132:135], v122 offset:16
	v_movrels_b32_e32 v122, v34
	s_add_co_i32 m0, s2, -4
	s_wait_dscnt 0x1
	v_fmac_f32_e32 v126, v127, v128
	v_movrels_b32_e32 v127, v34
	s_add_co_i32 m0, s2, -3
	s_delay_alu instid0(VALU_DEP_2) | instskip(NEXT) | instid1(VALU_DEP_1)
	v_fmac_f32_e32 v126, v136, v129
	v_fmac_f32_e32 v126, v122, v130
	v_movrels_b32_e32 v122, v34
	s_add_co_i32 m0, s2, -2
	s_delay_alu instid0(VALU_DEP_2) | instskip(SKIP_3) | instid1(VALU_DEP_2)
	v_fmac_f32_e32 v126, v127, v131
	v_movrels_b32_e32 v127, v34
	s_add_co_i32 m0, s2, -1
	s_wait_dscnt 0x0
	v_fmac_f32_e32 v126, v122, v132
	v_movrels_b32_e32 v122, v34
	s_mov_b32 m0, s2
	s_add_nc_u64 s[2:3], s[2:3], 8
	v_movrels_b32_e32 v128, v34
	v_dual_fmac_f32 v126, v127, v133 :: v_dual_add_nc_u32 v127, s2, v124
	s_add_co_i32 s8, s2, -7
	s_delay_alu instid0(VALU_DEP_1) | instskip(NEXT) | instid1(VALU_DEP_2)
	v_fmac_f32_e32 v126, v122, v134
	v_cmp_eq_u32_e32 vcc_lo, 19, v127
	s_delay_alu instid0(VALU_DEP_2) | instskip(SKIP_1) | instid1(SALU_CYCLE_1)
	v_dual_mov_b32 v122, s8 :: v_dual_fmac_f32 v126, v128, v135
	s_or_b32 s6, vcc_lo, s6
	s_and_not1_b32 exec_lo, exec_lo, s6
	s_cbranch_execnz .LBB27_233
; %bb.234:
	s_or_b32 exec_lo, exec_lo, s6
.LBB27_235:
	s_delay_alu instid0(SALU_CYCLE_1) | instskip(SKIP_3) | instid1(VALU_DEP_1)
	s_or_b32 exec_lo, exec_lo, s0
	v_and_b32_e32 v62, 7, v123
	s_mov_b32 s2, 0
	s_mov_b32 s0, exec_lo
	v_cmpx_ne_u32_e32 0, v62
	s_cbranch_execz .LBB27_239
; %bb.236:
	v_lshl_add_u32 v63, v122, 2, 0x70
	v_mov_b32_e32 v123, 0
.LBB27_237:                             ; =>This Inner Loop Header: Depth=1
	v_cmp_eq_u32_e32 vcc_lo, 1, v122
	ds_load_b32 v65, v63
	v_dual_add_nc_u32 v62, -1, v62 :: v_dual_add_nc_u32 v63, 4, v63
	v_cndmask_b32_e32 v64, v34, v35, vcc_lo
	v_cmp_eq_u32_e32 vcc_lo, 2, v122
	s_delay_alu instid0(VALU_DEP_2) | instskip(SKIP_1) | instid1(VALU_DEP_2)
	v_cndmask_b32_e32 v64, v64, v36, vcc_lo
	v_cmp_eq_u32_e32 vcc_lo, 3, v122
	v_cndmask_b32_e32 v64, v64, v37, vcc_lo
	v_cmp_eq_u32_e32 vcc_lo, 4, v122
	s_delay_alu instid0(VALU_DEP_2) | instskip(SKIP_1) | instid1(VALU_DEP_2)
	v_cndmask_b32_e32 v64, v64, v38, vcc_lo
	v_cmp_eq_u32_e32 vcc_lo, 5, v122
	;; [unrolled: 5-line block ×12, first 2 shown]
	v_cndmask_b32_e32 v64, v64, v59, vcc_lo
	v_cmp_eq_u32_e32 vcc_lo, 26, v122
	s_delay_alu instid0(VALU_DEP_2) | instskip(SKIP_2) | instid1(VALU_DEP_3)
	v_cndmask_b32_e32 v64, v64, v60, vcc_lo
	v_cmp_eq_u32_e32 vcc_lo, 27, v122
	v_add_nc_u64_e32 v[122:123], 1, v[122:123]
	v_cndmask_b32_e32 v64, v64, v61, vcc_lo
	v_cmp_eq_u32_e32 vcc_lo, 0, v62
	s_wait_dscnt 0x0
	s_delay_alu instid0(VALU_DEP_2) | instskip(SKIP_1) | instid1(SALU_CYCLE_1)
	v_fmac_f32_e32 v126, v64, v65
	s_or_b32 s2, vcc_lo, s2
	s_and_not1_b32 exec_lo, exec_lo, s2
	s_cbranch_execnz .LBB27_237
; %bb.238:
	s_or_b32 exec_lo, exec_lo, s2
.LBB27_239:
	s_delay_alu instid0(SALU_CYCLE_1)
	s_or_b32 exec_lo, exec_lo, s0
.LBB27_240:
	s_delay_alu instid0(SALU_CYCLE_1)
	s_or_b32 exec_lo, exec_lo, s5
	v_mov_b32_e32 v45, 0
	ds_load_b32 v45, v45 offset:44
	s_wait_dscnt 0x0
	v_mul_f32_e32 v45, v126, v45
.LBB27_241:
	s_or_b32 exec_lo, exec_lo, s4
	v_cmp_lt_u32_e64 s0, 10, v0
	ds_store_b32 v125, v44
	s_wait_dscnt 0x0
	s_barrier_signal -1
	s_barrier_wait -1
	s_and_saveexec_b32 s4, s0
	s_cbranch_execz .LBB27_257
; %bb.242:
	s_and_not1_b32 vcc_lo, exec_lo, s30
	s_cbranch_vccnz .LBB27_244
; %bb.243:
	v_cmp_eq_u32_e32 vcc_lo, 1, v0
	ds_load_b32 v123, v125
	v_cndmask_b32_e32 v122, v34, v35, vcc_lo
	v_cmp_eq_u32_e32 vcc_lo, 2, v0
	s_delay_alu instid0(VALU_DEP_2) | instskip(SKIP_1) | instid1(VALU_DEP_2)
	v_cndmask_b32_e32 v122, v122, v36, vcc_lo
	v_cmp_eq_u32_e32 vcc_lo, 3, v0
	v_cndmask_b32_e32 v122, v122, v37, vcc_lo
	v_cmp_eq_u32_e32 vcc_lo, 4, v0
	s_delay_alu instid0(VALU_DEP_2) | instskip(SKIP_1) | instid1(VALU_DEP_2)
	v_cndmask_b32_e32 v122, v122, v38, vcc_lo
	v_cmp_eq_u32_e32 vcc_lo, 5, v0
	;; [unrolled: 5-line block ×13, first 2 shown]
	v_cndmask_b32_e32 v122, v122, v61, vcc_lo
	s_wait_dscnt 0x0
	s_delay_alu instid0(VALU_DEP_1)
	v_mul_f32_e32 v126, v122, v123
	s_cbranch_execz .LBB27_245
	s_branch .LBB27_246
.LBB27_244:
                                        ; implicit-def: $vgpr126
.LBB27_245:
	ds_load_b32 v126, v125
.LBB27_246:
	s_and_saveexec_b32 s5, s1
	s_cbranch_execz .LBB27_256
; %bb.247:
	v_dual_add_nc_u32 v122, -12, v0 :: v_dual_add_nc_u32 v123, -11, v0
	s_delay_alu instid0(VALU_DEP_1)
	v_cmp_lt_u32_e32 vcc_lo, 6, v122
	v_mov_b32_e32 v122, 11
	s_and_saveexec_b32 s1, vcc_lo
	s_cbranch_execz .LBB27_251
; %bb.248:
	v_and_b32_e32 v122, -8, v123
	s_mov_b32 s6, 0
	s_mov_b64 s[2:3], 18
	s_movk_i32 s7, 0x9c
	s_delay_alu instid0(VALU_DEP_1)
	v_sub_nc_u32_e32 v124, 0, v122
.LBB27_249:                             ; =>This Inner Loop Header: Depth=1
	s_add_co_i32 m0, s2, -7
	v_movrels_b32_e32 v127, v34
	v_mov_b32_e32 v122, s7
	s_add_co_i32 m0, s2, -6
	s_add_co_i32 s7, s7, 32
	v_movrels_b32_e32 v136, v34
	ds_load_2addr_b32 v[128:129], v122 offset1:1
	ds_load_2addr_b32 v[130:131], v122 offset0:2 offset1:3
	s_add_co_i32 m0, s2, -5
	s_wait_dscnt 0x1
	v_fmac_f32_e32 v126, v127, v128
	ds_load_2addr_b32 v[132:133], v122 offset0:4 offset1:5
	ds_load_2addr_b32 v[134:135], v122 offset0:6 offset1:7
	v_movrels_b32_e32 v122, v34
	s_add_co_i32 m0, s2, -4
	v_fmac_f32_e32 v126, v136, v129
	v_movrels_b32_e32 v127, v34
	s_add_co_i32 m0, s2, -3
	s_wait_dscnt 0x2
	s_delay_alu instid0(VALU_DEP_2) | instskip(SKIP_2) | instid1(VALU_DEP_2)
	v_fmac_f32_e32 v126, v122, v130
	v_movrels_b32_e32 v122, v34
	s_add_co_i32 m0, s2, -2
	v_fmac_f32_e32 v126, v127, v131
	v_movrels_b32_e32 v127, v34
	s_add_co_i32 m0, s2, -1
	s_wait_dscnt 0x1
	s_delay_alu instid0(VALU_DEP_2)
	v_fmac_f32_e32 v126, v122, v132
	v_movrels_b32_e32 v122, v34
	s_mov_b32 m0, s2
	s_add_nc_u64 s[2:3], s[2:3], 8
	v_movrels_b32_e32 v128, v34
	v_dual_fmac_f32 v126, v127, v133 :: v_dual_add_nc_u32 v127, s2, v124
	s_add_co_i32 s8, s2, -7
	s_wait_dscnt 0x0
	s_delay_alu instid0(VALU_DEP_1) | instskip(NEXT) | instid1(VALU_DEP_2)
	v_fmac_f32_e32 v126, v122, v134
	v_cmp_eq_u32_e32 vcc_lo, 18, v127
	s_delay_alu instid0(VALU_DEP_2) | instskip(SKIP_1) | instid1(SALU_CYCLE_1)
	v_dual_mov_b32 v122, s8 :: v_dual_fmac_f32 v126, v128, v135
	s_or_b32 s6, vcc_lo, s6
	s_and_not1_b32 exec_lo, exec_lo, s6
	s_cbranch_execnz .LBB27_249
; %bb.250:
	s_or_b32 exec_lo, exec_lo, s6
.LBB27_251:
	s_delay_alu instid0(SALU_CYCLE_1) | instskip(SKIP_3) | instid1(VALU_DEP_1)
	s_or_b32 exec_lo, exec_lo, s1
	v_and_b32_e32 v62, 7, v123
	s_mov_b32 s2, 0
	s_mov_b32 s1, exec_lo
	v_cmpx_ne_u32_e32 0, v62
	s_cbranch_execz .LBB27_255
; %bb.252:
	v_lshl_add_u32 v63, v122, 2, 0x70
	v_mov_b32_e32 v123, 0
.LBB27_253:                             ; =>This Inner Loop Header: Depth=1
	v_cmp_eq_u32_e32 vcc_lo, 1, v122
	ds_load_b32 v65, v63
	v_dual_add_nc_u32 v62, -1, v62 :: v_dual_add_nc_u32 v63, 4, v63
	v_cndmask_b32_e32 v64, v34, v35, vcc_lo
	v_cmp_eq_u32_e32 vcc_lo, 2, v122
	s_delay_alu instid0(VALU_DEP_2) | instskip(SKIP_1) | instid1(VALU_DEP_2)
	v_cndmask_b32_e32 v64, v64, v36, vcc_lo
	v_cmp_eq_u32_e32 vcc_lo, 3, v122
	v_cndmask_b32_e32 v64, v64, v37, vcc_lo
	v_cmp_eq_u32_e32 vcc_lo, 4, v122
	s_delay_alu instid0(VALU_DEP_2) | instskip(SKIP_1) | instid1(VALU_DEP_2)
	v_cndmask_b32_e32 v64, v64, v38, vcc_lo
	v_cmp_eq_u32_e32 vcc_lo, 5, v122
	;; [unrolled: 5-line block ×12, first 2 shown]
	v_cndmask_b32_e32 v64, v64, v59, vcc_lo
	v_cmp_eq_u32_e32 vcc_lo, 26, v122
	s_delay_alu instid0(VALU_DEP_2) | instskip(SKIP_2) | instid1(VALU_DEP_3)
	v_cndmask_b32_e32 v64, v64, v60, vcc_lo
	v_cmp_eq_u32_e32 vcc_lo, 27, v122
	v_add_nc_u64_e32 v[122:123], 1, v[122:123]
	v_cndmask_b32_e32 v64, v64, v61, vcc_lo
	v_cmp_eq_u32_e32 vcc_lo, 0, v62
	s_wait_dscnt 0x0
	s_delay_alu instid0(VALU_DEP_2) | instskip(SKIP_1) | instid1(SALU_CYCLE_1)
	v_fmac_f32_e32 v126, v64, v65
	s_or_b32 s2, vcc_lo, s2
	s_and_not1_b32 exec_lo, exec_lo, s2
	s_cbranch_execnz .LBB27_253
; %bb.254:
	s_or_b32 exec_lo, exec_lo, s2
.LBB27_255:
	s_delay_alu instid0(SALU_CYCLE_1)
	s_or_b32 exec_lo, exec_lo, s1
.LBB27_256:
	s_delay_alu instid0(SALU_CYCLE_1)
	s_or_b32 exec_lo, exec_lo, s5
	v_mov_b32_e32 v44, 0
	ds_load_b32 v44, v44 offset:40
	s_wait_dscnt 0x0
	v_mul_f32_e32 v44, v126, v44
.LBB27_257:
	s_or_b32 exec_lo, exec_lo, s4
	v_cmp_lt_u32_e64 s1, 9, v0
	ds_store_b32 v125, v43
	s_wait_dscnt 0x0
	s_barrier_signal -1
	s_barrier_wait -1
	s_and_saveexec_b32 s4, s1
	s_cbranch_execz .LBB27_273
; %bb.258:
	s_and_not1_b32 vcc_lo, exec_lo, s30
	s_cbranch_vccnz .LBB27_260
; %bb.259:
	v_cmp_eq_u32_e32 vcc_lo, 1, v0
	ds_load_b32 v123, v125
	v_cndmask_b32_e32 v122, v34, v35, vcc_lo
	v_cmp_eq_u32_e32 vcc_lo, 2, v0
	s_delay_alu instid0(VALU_DEP_2) | instskip(SKIP_1) | instid1(VALU_DEP_2)
	v_cndmask_b32_e32 v122, v122, v36, vcc_lo
	v_cmp_eq_u32_e32 vcc_lo, 3, v0
	v_cndmask_b32_e32 v122, v122, v37, vcc_lo
	v_cmp_eq_u32_e32 vcc_lo, 4, v0
	s_delay_alu instid0(VALU_DEP_2) | instskip(SKIP_1) | instid1(VALU_DEP_2)
	v_cndmask_b32_e32 v122, v122, v38, vcc_lo
	v_cmp_eq_u32_e32 vcc_lo, 5, v0
	;; [unrolled: 5-line block ×13, first 2 shown]
	v_cndmask_b32_e32 v122, v122, v61, vcc_lo
	s_wait_dscnt 0x0
	s_delay_alu instid0(VALU_DEP_1)
	v_mul_f32_e32 v126, v122, v123
	s_cbranch_execz .LBB27_261
	s_branch .LBB27_262
.LBB27_260:
                                        ; implicit-def: $vgpr126
.LBB27_261:
	ds_load_b32 v126, v125
.LBB27_262:
	s_and_saveexec_b32 s5, s0
	s_cbranch_execz .LBB27_272
; %bb.263:
	v_dual_add_nc_u32 v122, -11, v0 :: v_dual_add_nc_u32 v123, -10, v0
	s_delay_alu instid0(VALU_DEP_1)
	v_cmp_lt_u32_e32 vcc_lo, 6, v122
	v_mov_b32_e32 v122, 10
	s_and_saveexec_b32 s0, vcc_lo
	s_cbranch_execz .LBB27_267
; %bb.264:
	v_and_b32_e32 v122, -8, v123
	s_mov_b32 s6, 0
	s_mov_b64 s[2:3], 17
	s_movk_i32 s7, 0x98
	s_delay_alu instid0(VALU_DEP_1)
	v_sub_nc_u32_e32 v124, 0, v122
.LBB27_265:                             ; =>This Inner Loop Header: Depth=1
	s_add_co_i32 m0, s2, -7
	v_movrels_b32_e32 v127, v34
	v_mov_b32_e32 v122, s7
	s_add_co_i32 m0, s2, -6
	s_add_co_i32 s7, s7, 32
	v_movrels_b32_e32 v136, v34
	s_add_co_i32 m0, s2, -5
	ds_load_2addr_b64 v[128:131], v122 offset1:1
	ds_load_2addr_b64 v[132:135], v122 offset0:2 offset1:3
	v_movrels_b32_e32 v122, v34
	s_add_co_i32 m0, s2, -4
	s_wait_dscnt 0x1
	v_fmac_f32_e32 v126, v127, v128
	v_movrels_b32_e32 v127, v34
	s_add_co_i32 m0, s2, -3
	s_delay_alu instid0(VALU_DEP_2) | instskip(NEXT) | instid1(VALU_DEP_1)
	v_fmac_f32_e32 v126, v136, v129
	v_fmac_f32_e32 v126, v122, v130
	v_movrels_b32_e32 v122, v34
	s_add_co_i32 m0, s2, -2
	s_delay_alu instid0(VALU_DEP_2) | instskip(SKIP_3) | instid1(VALU_DEP_2)
	v_fmac_f32_e32 v126, v127, v131
	v_movrels_b32_e32 v127, v34
	s_add_co_i32 m0, s2, -1
	s_wait_dscnt 0x0
	v_fmac_f32_e32 v126, v122, v132
	v_movrels_b32_e32 v122, v34
	s_mov_b32 m0, s2
	s_add_nc_u64 s[2:3], s[2:3], 8
	v_movrels_b32_e32 v128, v34
	v_dual_fmac_f32 v126, v127, v133 :: v_dual_add_nc_u32 v127, s2, v124
	s_add_co_i32 s8, s2, -7
	s_delay_alu instid0(VALU_DEP_1) | instskip(NEXT) | instid1(VALU_DEP_2)
	v_fmac_f32_e32 v126, v122, v134
	v_cmp_eq_u32_e32 vcc_lo, 17, v127
	s_delay_alu instid0(VALU_DEP_2) | instskip(SKIP_1) | instid1(SALU_CYCLE_1)
	v_dual_mov_b32 v122, s8 :: v_dual_fmac_f32 v126, v128, v135
	s_or_b32 s6, vcc_lo, s6
	s_and_not1_b32 exec_lo, exec_lo, s6
	s_cbranch_execnz .LBB27_265
; %bb.266:
	s_or_b32 exec_lo, exec_lo, s6
.LBB27_267:
	s_delay_alu instid0(SALU_CYCLE_1) | instskip(SKIP_3) | instid1(VALU_DEP_1)
	s_or_b32 exec_lo, exec_lo, s0
	v_and_b32_e32 v62, 7, v123
	s_mov_b32 s2, 0
	s_mov_b32 s0, exec_lo
	v_cmpx_ne_u32_e32 0, v62
	s_cbranch_execz .LBB27_271
; %bb.268:
	v_lshl_add_u32 v63, v122, 2, 0x70
	v_mov_b32_e32 v123, 0
.LBB27_269:                             ; =>This Inner Loop Header: Depth=1
	v_cmp_eq_u32_e32 vcc_lo, 1, v122
	ds_load_b32 v65, v63
	v_dual_add_nc_u32 v62, -1, v62 :: v_dual_add_nc_u32 v63, 4, v63
	v_cndmask_b32_e32 v64, v34, v35, vcc_lo
	v_cmp_eq_u32_e32 vcc_lo, 2, v122
	s_delay_alu instid0(VALU_DEP_2) | instskip(SKIP_1) | instid1(VALU_DEP_2)
	v_cndmask_b32_e32 v64, v64, v36, vcc_lo
	v_cmp_eq_u32_e32 vcc_lo, 3, v122
	v_cndmask_b32_e32 v64, v64, v37, vcc_lo
	v_cmp_eq_u32_e32 vcc_lo, 4, v122
	s_delay_alu instid0(VALU_DEP_2) | instskip(SKIP_1) | instid1(VALU_DEP_2)
	v_cndmask_b32_e32 v64, v64, v38, vcc_lo
	v_cmp_eq_u32_e32 vcc_lo, 5, v122
	v_cndmask_b32_e32 v64, v64, v39, vcc_lo
	v_cmp_eq_u32_e32 vcc_lo, 6, v122
	s_delay_alu instid0(VALU_DEP_2) | instskip(SKIP_1) | instid1(VALU_DEP_2)
	v_cndmask_b32_e32 v64, v64, v40, vcc_lo
	v_cmp_eq_u32_e32 vcc_lo, 7, v122
	v_cndmask_b32_e32 v64, v64, v41, vcc_lo
	v_cmp_eq_u32_e32 vcc_lo, 8, v122
	s_delay_alu instid0(VALU_DEP_2) | instskip(SKIP_1) | instid1(VALU_DEP_2)
	v_cndmask_b32_e32 v64, v64, v42, vcc_lo
	v_cmp_eq_u32_e32 vcc_lo, 9, v122
	v_cndmask_b32_e32 v64, v64, v43, vcc_lo
	v_cmp_eq_u32_e32 vcc_lo, 10, v122
	s_delay_alu instid0(VALU_DEP_2) | instskip(SKIP_1) | instid1(VALU_DEP_2)
	v_cndmask_b32_e32 v64, v64, v44, vcc_lo
	v_cmp_eq_u32_e32 vcc_lo, 11, v122
	v_cndmask_b32_e32 v64, v64, v45, vcc_lo
	v_cmp_eq_u32_e32 vcc_lo, 12, v122
	s_delay_alu instid0(VALU_DEP_2) | instskip(SKIP_1) | instid1(VALU_DEP_2)
	v_cndmask_b32_e32 v64, v64, v46, vcc_lo
	v_cmp_eq_u32_e32 vcc_lo, 13, v122
	v_cndmask_b32_e32 v64, v64, v47, vcc_lo
	v_cmp_eq_u32_e32 vcc_lo, 14, v122
	s_delay_alu instid0(VALU_DEP_2) | instskip(SKIP_1) | instid1(VALU_DEP_2)
	v_cndmask_b32_e32 v64, v64, v48, vcc_lo
	v_cmp_eq_u32_e32 vcc_lo, 15, v122
	v_cndmask_b32_e32 v64, v64, v49, vcc_lo
	v_cmp_eq_u32_e32 vcc_lo, 16, v122
	s_delay_alu instid0(VALU_DEP_2) | instskip(SKIP_1) | instid1(VALU_DEP_2)
	v_cndmask_b32_e32 v64, v64, v50, vcc_lo
	v_cmp_eq_u32_e32 vcc_lo, 17, v122
	v_cndmask_b32_e32 v64, v64, v51, vcc_lo
	v_cmp_eq_u32_e32 vcc_lo, 18, v122
	s_delay_alu instid0(VALU_DEP_2) | instskip(SKIP_1) | instid1(VALU_DEP_2)
	v_cndmask_b32_e32 v64, v64, v52, vcc_lo
	v_cmp_eq_u32_e32 vcc_lo, 19, v122
	v_cndmask_b32_e32 v64, v64, v53, vcc_lo
	v_cmp_eq_u32_e32 vcc_lo, 20, v122
	s_delay_alu instid0(VALU_DEP_2) | instskip(SKIP_1) | instid1(VALU_DEP_2)
	v_cndmask_b32_e32 v64, v64, v54, vcc_lo
	v_cmp_eq_u32_e32 vcc_lo, 21, v122
	v_cndmask_b32_e32 v64, v64, v55, vcc_lo
	v_cmp_eq_u32_e32 vcc_lo, 22, v122
	s_delay_alu instid0(VALU_DEP_2) | instskip(SKIP_1) | instid1(VALU_DEP_2)
	v_cndmask_b32_e32 v64, v64, v56, vcc_lo
	v_cmp_eq_u32_e32 vcc_lo, 23, v122
	v_cndmask_b32_e32 v64, v64, v57, vcc_lo
	v_cmp_eq_u32_e32 vcc_lo, 24, v122
	s_delay_alu instid0(VALU_DEP_2) | instskip(SKIP_1) | instid1(VALU_DEP_2)
	v_cndmask_b32_e32 v64, v64, v58, vcc_lo
	v_cmp_eq_u32_e32 vcc_lo, 25, v122
	v_cndmask_b32_e32 v64, v64, v59, vcc_lo
	v_cmp_eq_u32_e32 vcc_lo, 26, v122
	s_delay_alu instid0(VALU_DEP_2) | instskip(SKIP_2) | instid1(VALU_DEP_3)
	v_cndmask_b32_e32 v64, v64, v60, vcc_lo
	v_cmp_eq_u32_e32 vcc_lo, 27, v122
	v_add_nc_u64_e32 v[122:123], 1, v[122:123]
	v_cndmask_b32_e32 v64, v64, v61, vcc_lo
	v_cmp_eq_u32_e32 vcc_lo, 0, v62
	s_wait_dscnt 0x0
	s_delay_alu instid0(VALU_DEP_2) | instskip(SKIP_1) | instid1(SALU_CYCLE_1)
	v_fmac_f32_e32 v126, v64, v65
	s_or_b32 s2, vcc_lo, s2
	s_and_not1_b32 exec_lo, exec_lo, s2
	s_cbranch_execnz .LBB27_269
; %bb.270:
	s_or_b32 exec_lo, exec_lo, s2
.LBB27_271:
	s_delay_alu instid0(SALU_CYCLE_1)
	s_or_b32 exec_lo, exec_lo, s0
.LBB27_272:
	s_delay_alu instid0(SALU_CYCLE_1)
	s_or_b32 exec_lo, exec_lo, s5
	v_mov_b32_e32 v43, 0
	ds_load_b32 v43, v43 offset:36
	s_wait_dscnt 0x0
	v_mul_f32_e32 v43, v126, v43
.LBB27_273:
	s_or_b32 exec_lo, exec_lo, s4
	v_cmp_lt_u32_e64 s0, 8, v0
	ds_store_b32 v125, v42
	s_wait_dscnt 0x0
	s_barrier_signal -1
	s_barrier_wait -1
	s_and_saveexec_b32 s4, s0
	s_cbranch_execz .LBB27_289
; %bb.274:
	s_and_not1_b32 vcc_lo, exec_lo, s30
	s_cbranch_vccnz .LBB27_276
; %bb.275:
	v_cmp_eq_u32_e32 vcc_lo, 1, v0
	ds_load_b32 v123, v125
	v_cndmask_b32_e32 v122, v34, v35, vcc_lo
	v_cmp_eq_u32_e32 vcc_lo, 2, v0
	s_delay_alu instid0(VALU_DEP_2) | instskip(SKIP_1) | instid1(VALU_DEP_2)
	v_cndmask_b32_e32 v122, v122, v36, vcc_lo
	v_cmp_eq_u32_e32 vcc_lo, 3, v0
	v_cndmask_b32_e32 v122, v122, v37, vcc_lo
	v_cmp_eq_u32_e32 vcc_lo, 4, v0
	s_delay_alu instid0(VALU_DEP_2) | instskip(SKIP_1) | instid1(VALU_DEP_2)
	v_cndmask_b32_e32 v122, v122, v38, vcc_lo
	v_cmp_eq_u32_e32 vcc_lo, 5, v0
	;; [unrolled: 5-line block ×13, first 2 shown]
	v_cndmask_b32_e32 v122, v122, v61, vcc_lo
	s_wait_dscnt 0x0
	s_delay_alu instid0(VALU_DEP_1)
	v_mul_f32_e32 v126, v122, v123
	s_cbranch_execz .LBB27_277
	s_branch .LBB27_278
.LBB27_276:
                                        ; implicit-def: $vgpr126
.LBB27_277:
	ds_load_b32 v126, v125
.LBB27_278:
	s_and_saveexec_b32 s5, s1
	s_cbranch_execz .LBB27_288
; %bb.279:
	v_dual_add_nc_u32 v122, -10, v0 :: v_dual_add_nc_u32 v123, -9, v0
	s_delay_alu instid0(VALU_DEP_1)
	v_cmp_lt_u32_e32 vcc_lo, 6, v122
	v_mov_b32_e32 v122, 9
	s_and_saveexec_b32 s1, vcc_lo
	s_cbranch_execz .LBB27_283
; %bb.280:
	v_and_b32_e32 v122, -8, v123
	s_mov_b32 s6, 0
	s_mov_b64 s[2:3], 16
	s_movk_i32 s7, 0x94
	s_delay_alu instid0(VALU_DEP_1)
	v_sub_nc_u32_e32 v124, 0, v122
.LBB27_281:                             ; =>This Inner Loop Header: Depth=1
	s_add_co_i32 m0, s2, -7
	v_movrels_b32_e32 v127, v34
	v_mov_b32_e32 v122, s7
	s_add_co_i32 m0, s2, -6
	s_add_co_i32 s7, s7, 32
	v_movrels_b32_e32 v136, v34
	ds_load_2addr_b32 v[128:129], v122 offset1:1
	ds_load_2addr_b32 v[130:131], v122 offset0:2 offset1:3
	s_add_co_i32 m0, s2, -5
	s_wait_dscnt 0x1
	v_fmac_f32_e32 v126, v127, v128
	ds_load_2addr_b32 v[132:133], v122 offset0:4 offset1:5
	ds_load_2addr_b32 v[134:135], v122 offset0:6 offset1:7
	v_movrels_b32_e32 v122, v34
	s_add_co_i32 m0, s2, -4
	v_fmac_f32_e32 v126, v136, v129
	v_movrels_b32_e32 v127, v34
	s_add_co_i32 m0, s2, -3
	s_wait_dscnt 0x2
	s_delay_alu instid0(VALU_DEP_2) | instskip(SKIP_2) | instid1(VALU_DEP_2)
	v_fmac_f32_e32 v126, v122, v130
	v_movrels_b32_e32 v122, v34
	s_add_co_i32 m0, s2, -2
	v_fmac_f32_e32 v126, v127, v131
	v_movrels_b32_e32 v127, v34
	s_add_co_i32 m0, s2, -1
	s_wait_dscnt 0x1
	s_delay_alu instid0(VALU_DEP_2)
	v_fmac_f32_e32 v126, v122, v132
	v_movrels_b32_e32 v122, v34
	s_mov_b32 m0, s2
	s_add_nc_u64 s[2:3], s[2:3], 8
	v_movrels_b32_e32 v128, v34
	v_dual_fmac_f32 v126, v127, v133 :: v_dual_add_nc_u32 v127, s2, v124
	s_add_co_i32 s8, s2, -7
	s_wait_dscnt 0x0
	s_delay_alu instid0(VALU_DEP_1) | instskip(NEXT) | instid1(VALU_DEP_2)
	v_fmac_f32_e32 v126, v122, v134
	v_cmp_eq_u32_e32 vcc_lo, 16, v127
	s_delay_alu instid0(VALU_DEP_2) | instskip(SKIP_1) | instid1(SALU_CYCLE_1)
	v_dual_mov_b32 v122, s8 :: v_dual_fmac_f32 v126, v128, v135
	s_or_b32 s6, vcc_lo, s6
	s_and_not1_b32 exec_lo, exec_lo, s6
	s_cbranch_execnz .LBB27_281
; %bb.282:
	s_or_b32 exec_lo, exec_lo, s6
.LBB27_283:
	s_delay_alu instid0(SALU_CYCLE_1) | instskip(SKIP_3) | instid1(VALU_DEP_1)
	s_or_b32 exec_lo, exec_lo, s1
	v_and_b32_e32 v62, 7, v123
	s_mov_b32 s2, 0
	s_mov_b32 s1, exec_lo
	v_cmpx_ne_u32_e32 0, v62
	s_cbranch_execz .LBB27_287
; %bb.284:
	v_lshl_add_u32 v63, v122, 2, 0x70
	v_mov_b32_e32 v123, 0
.LBB27_285:                             ; =>This Inner Loop Header: Depth=1
	v_cmp_eq_u32_e32 vcc_lo, 1, v122
	ds_load_b32 v65, v63
	v_dual_add_nc_u32 v62, -1, v62 :: v_dual_add_nc_u32 v63, 4, v63
	v_cndmask_b32_e32 v64, v34, v35, vcc_lo
	v_cmp_eq_u32_e32 vcc_lo, 2, v122
	s_delay_alu instid0(VALU_DEP_2) | instskip(SKIP_1) | instid1(VALU_DEP_2)
	v_cndmask_b32_e32 v64, v64, v36, vcc_lo
	v_cmp_eq_u32_e32 vcc_lo, 3, v122
	v_cndmask_b32_e32 v64, v64, v37, vcc_lo
	v_cmp_eq_u32_e32 vcc_lo, 4, v122
	s_delay_alu instid0(VALU_DEP_2) | instskip(SKIP_1) | instid1(VALU_DEP_2)
	v_cndmask_b32_e32 v64, v64, v38, vcc_lo
	v_cmp_eq_u32_e32 vcc_lo, 5, v122
	;; [unrolled: 5-line block ×12, first 2 shown]
	v_cndmask_b32_e32 v64, v64, v59, vcc_lo
	v_cmp_eq_u32_e32 vcc_lo, 26, v122
	s_delay_alu instid0(VALU_DEP_2) | instskip(SKIP_2) | instid1(VALU_DEP_3)
	v_cndmask_b32_e32 v64, v64, v60, vcc_lo
	v_cmp_eq_u32_e32 vcc_lo, 27, v122
	v_add_nc_u64_e32 v[122:123], 1, v[122:123]
	v_cndmask_b32_e32 v64, v64, v61, vcc_lo
	v_cmp_eq_u32_e32 vcc_lo, 0, v62
	s_wait_dscnt 0x0
	s_delay_alu instid0(VALU_DEP_2) | instskip(SKIP_1) | instid1(SALU_CYCLE_1)
	v_fmac_f32_e32 v126, v64, v65
	s_or_b32 s2, vcc_lo, s2
	s_and_not1_b32 exec_lo, exec_lo, s2
	s_cbranch_execnz .LBB27_285
; %bb.286:
	s_or_b32 exec_lo, exec_lo, s2
.LBB27_287:
	s_delay_alu instid0(SALU_CYCLE_1)
	s_or_b32 exec_lo, exec_lo, s1
.LBB27_288:
	s_delay_alu instid0(SALU_CYCLE_1)
	s_or_b32 exec_lo, exec_lo, s5
	v_mov_b32_e32 v42, 0
	ds_load_b32 v42, v42 offset:32
	s_wait_dscnt 0x0
	v_mul_f32_e32 v42, v126, v42
.LBB27_289:
	s_or_b32 exec_lo, exec_lo, s4
	v_cmp_lt_u32_e64 s1, 7, v0
	ds_store_b32 v125, v41
	s_wait_dscnt 0x0
	s_barrier_signal -1
	s_barrier_wait -1
	s_and_saveexec_b32 s4, s1
	s_cbranch_execz .LBB27_305
; %bb.290:
	s_and_not1_b32 vcc_lo, exec_lo, s30
	s_cbranch_vccnz .LBB27_292
; %bb.291:
	v_cmp_eq_u32_e32 vcc_lo, 1, v0
	ds_load_b32 v123, v125
	v_cndmask_b32_e32 v122, v34, v35, vcc_lo
	v_cmp_eq_u32_e32 vcc_lo, 2, v0
	s_delay_alu instid0(VALU_DEP_2) | instskip(SKIP_1) | instid1(VALU_DEP_2)
	v_cndmask_b32_e32 v122, v122, v36, vcc_lo
	v_cmp_eq_u32_e32 vcc_lo, 3, v0
	v_cndmask_b32_e32 v122, v122, v37, vcc_lo
	v_cmp_eq_u32_e32 vcc_lo, 4, v0
	s_delay_alu instid0(VALU_DEP_2) | instskip(SKIP_1) | instid1(VALU_DEP_2)
	v_cndmask_b32_e32 v122, v122, v38, vcc_lo
	v_cmp_eq_u32_e32 vcc_lo, 5, v0
	;; [unrolled: 5-line block ×13, first 2 shown]
	v_cndmask_b32_e32 v122, v122, v61, vcc_lo
	s_wait_dscnt 0x0
	s_delay_alu instid0(VALU_DEP_1)
	v_mul_f32_e32 v126, v122, v123
	s_cbranch_execz .LBB27_293
	s_branch .LBB27_294
.LBB27_292:
                                        ; implicit-def: $vgpr126
.LBB27_293:
	ds_load_b32 v126, v125
.LBB27_294:
	s_and_saveexec_b32 s5, s0
	s_cbranch_execz .LBB27_304
; %bb.295:
	v_add_nc_u32_e32 v122, -9, v0
	s_delay_alu instid0(VALU_DEP_1)
	v_cmp_lt_u32_e32 vcc_lo, 6, v122
	v_mov_b32_e32 v122, 8
	s_and_saveexec_b32 s0, vcc_lo
	s_cbranch_execz .LBB27_299
; %bb.296:
	v_and_b32_e32 v122, 24, v0
	s_mov_b32 s6, 0
	s_mov_b64 s[2:3], 15
	s_movk_i32 s7, 0x90
	s_delay_alu instid0(VALU_DEP_1)
	v_sub_nc_u32_e32 v124, 0, v122
.LBB27_297:                             ; =>This Inner Loop Header: Depth=1
	s_add_co_i32 m0, s2, -7
	v_movrels_b32_e32 v123, v34
	v_mov_b32_e32 v122, s7
	s_add_co_i32 m0, s2, -6
	s_add_co_i32 s7, s7, 32
	v_movrels_b32_e32 v127, v34
	s_add_co_i32 m0, s2, -5
	ds_load_b128 v[128:131], v122
	ds_load_b128 v[132:135], v122 offset:16
	v_movrels_b32_e32 v122, v34
	s_add_co_i32 m0, s2, -4
	s_wait_dscnt 0x1
	v_fmac_f32_e32 v126, v123, v128
	v_movrels_b32_e32 v123, v34
	s_add_co_i32 m0, s2, -3
	s_delay_alu instid0(VALU_DEP_2) | instskip(NEXT) | instid1(VALU_DEP_1)
	v_fmac_f32_e32 v126, v127, v129
	v_fmac_f32_e32 v126, v122, v130
	v_movrels_b32_e32 v122, v34
	s_add_co_i32 m0, s2, -2
	s_delay_alu instid0(VALU_DEP_2) | instskip(SKIP_3) | instid1(VALU_DEP_2)
	v_fmac_f32_e32 v126, v123, v131
	v_movrels_b32_e32 v123, v34
	s_add_co_i32 m0, s2, -1
	s_wait_dscnt 0x0
	v_fmac_f32_e32 v126, v122, v132
	v_movrels_b32_e32 v122, v34
	s_mov_b32 m0, s2
	s_add_nc_u64 s[2:3], s[2:3], 8
	v_movrels_b32_e32 v127, v34
	v_dual_fmac_f32 v126, v123, v133 :: v_dual_add_nc_u32 v123, s2, v124
	s_add_co_i32 s8, s2, -7
	s_delay_alu instid0(VALU_DEP_1) | instskip(NEXT) | instid1(VALU_DEP_2)
	v_fmac_f32_e32 v126, v122, v134
	v_cmp_eq_u32_e32 vcc_lo, 7, v123
	s_delay_alu instid0(VALU_DEP_2) | instskip(SKIP_1) | instid1(SALU_CYCLE_1)
	v_dual_mov_b32 v122, s8 :: v_dual_fmac_f32 v126, v127, v135
	s_or_b32 s6, vcc_lo, s6
	s_and_not1_b32 exec_lo, exec_lo, s6
	s_cbranch_execnz .LBB27_297
; %bb.298:
	s_or_b32 exec_lo, exec_lo, s6
.LBB27_299:
	s_delay_alu instid0(SALU_CYCLE_1) | instskip(SKIP_3) | instid1(VALU_DEP_1)
	s_or_b32 exec_lo, exec_lo, s0
	v_and_b32_e32 v62, 7, v0
	s_mov_b32 s2, 0
	s_mov_b32 s0, exec_lo
	v_cmpx_ne_u32_e32 0, v62
	s_cbranch_execz .LBB27_303
; %bb.300:
	v_lshl_add_u32 v63, v122, 2, 0x70
	v_mov_b32_e32 v123, 0
.LBB27_301:                             ; =>This Inner Loop Header: Depth=1
	v_cmp_eq_u32_e32 vcc_lo, 1, v122
	ds_load_b32 v65, v63
	v_dual_add_nc_u32 v62, -1, v62 :: v_dual_add_nc_u32 v63, 4, v63
	v_cndmask_b32_e32 v64, v34, v35, vcc_lo
	v_cmp_eq_u32_e32 vcc_lo, 2, v122
	s_delay_alu instid0(VALU_DEP_2) | instskip(SKIP_1) | instid1(VALU_DEP_2)
	v_cndmask_b32_e32 v64, v64, v36, vcc_lo
	v_cmp_eq_u32_e32 vcc_lo, 3, v122
	v_cndmask_b32_e32 v64, v64, v37, vcc_lo
	v_cmp_eq_u32_e32 vcc_lo, 4, v122
	s_delay_alu instid0(VALU_DEP_2) | instskip(SKIP_1) | instid1(VALU_DEP_2)
	v_cndmask_b32_e32 v64, v64, v38, vcc_lo
	v_cmp_eq_u32_e32 vcc_lo, 5, v122
	;; [unrolled: 5-line block ×12, first 2 shown]
	v_cndmask_b32_e32 v64, v64, v59, vcc_lo
	v_cmp_eq_u32_e32 vcc_lo, 26, v122
	s_delay_alu instid0(VALU_DEP_2) | instskip(SKIP_2) | instid1(VALU_DEP_3)
	v_cndmask_b32_e32 v64, v64, v60, vcc_lo
	v_cmp_eq_u32_e32 vcc_lo, 27, v122
	v_add_nc_u64_e32 v[122:123], 1, v[122:123]
	v_cndmask_b32_e32 v64, v64, v61, vcc_lo
	v_cmp_eq_u32_e32 vcc_lo, 0, v62
	s_wait_dscnt 0x0
	s_delay_alu instid0(VALU_DEP_2) | instskip(SKIP_1) | instid1(SALU_CYCLE_1)
	v_fmac_f32_e32 v126, v64, v65
	s_or_b32 s2, vcc_lo, s2
	s_and_not1_b32 exec_lo, exec_lo, s2
	s_cbranch_execnz .LBB27_301
; %bb.302:
	s_or_b32 exec_lo, exec_lo, s2
.LBB27_303:
	s_delay_alu instid0(SALU_CYCLE_1)
	s_or_b32 exec_lo, exec_lo, s0
.LBB27_304:
	s_delay_alu instid0(SALU_CYCLE_1)
	s_or_b32 exec_lo, exec_lo, s5
	v_mov_b32_e32 v41, 0
	ds_load_b32 v41, v41 offset:28
	s_wait_dscnt 0x0
	v_mul_f32_e32 v41, v126, v41
.LBB27_305:
	s_or_b32 exec_lo, exec_lo, s4
	v_cmp_lt_u32_e64 s0, 6, v0
	ds_store_b32 v125, v40
	s_wait_dscnt 0x0
	s_barrier_signal -1
	s_barrier_wait -1
	s_and_saveexec_b32 s4, s0
	s_cbranch_execz .LBB27_321
; %bb.306:
	s_and_not1_b32 vcc_lo, exec_lo, s30
	s_cbranch_vccnz .LBB27_308
; %bb.307:
	v_cmp_eq_u32_e32 vcc_lo, 1, v0
	ds_load_b32 v123, v125
	v_cndmask_b32_e32 v122, v34, v35, vcc_lo
	v_cmp_eq_u32_e32 vcc_lo, 2, v0
	s_delay_alu instid0(VALU_DEP_2) | instskip(SKIP_1) | instid1(VALU_DEP_2)
	v_cndmask_b32_e32 v122, v122, v36, vcc_lo
	v_cmp_eq_u32_e32 vcc_lo, 3, v0
	v_cndmask_b32_e32 v122, v122, v37, vcc_lo
	v_cmp_eq_u32_e32 vcc_lo, 4, v0
	s_delay_alu instid0(VALU_DEP_2) | instskip(SKIP_1) | instid1(VALU_DEP_2)
	v_cndmask_b32_e32 v122, v122, v38, vcc_lo
	v_cmp_eq_u32_e32 vcc_lo, 5, v0
	;; [unrolled: 5-line block ×13, first 2 shown]
	v_cndmask_b32_e32 v122, v122, v61, vcc_lo
	s_wait_dscnt 0x0
	s_delay_alu instid0(VALU_DEP_1)
	v_mul_f32_e32 v126, v122, v123
	s_cbranch_execz .LBB27_309
	s_branch .LBB27_310
.LBB27_308:
                                        ; implicit-def: $vgpr126
.LBB27_309:
	ds_load_b32 v126, v125
.LBB27_310:
	s_and_saveexec_b32 s5, s1
	s_cbranch_execz .LBB27_320
; %bb.311:
	v_dual_add_nc_u32 v122, -8, v0 :: v_dual_add_nc_u32 v123, -7, v0
	s_delay_alu instid0(VALU_DEP_1)
	v_cmp_lt_u32_e32 vcc_lo, 6, v122
	v_mov_b32_e32 v122, 7
	s_and_saveexec_b32 s1, vcc_lo
	s_cbranch_execz .LBB27_315
; %bb.312:
	v_and_b32_e32 v122, -8, v123
	s_mov_b32 s6, 0
	s_mov_b64 s[2:3], 14
	s_movk_i32 s7, 0x8c
	s_delay_alu instid0(VALU_DEP_1)
	v_sub_nc_u32_e32 v124, 0, v122
.LBB27_313:                             ; =>This Inner Loop Header: Depth=1
	s_add_co_i32 m0, s2, -7
	v_movrels_b32_e32 v127, v34
	v_mov_b32_e32 v122, s7
	s_add_co_i32 m0, s2, -6
	s_add_co_i32 s7, s7, 32
	v_movrels_b32_e32 v136, v34
	ds_load_2addr_b32 v[128:129], v122 offset1:1
	ds_load_2addr_b32 v[130:131], v122 offset0:2 offset1:3
	s_add_co_i32 m0, s2, -5
	s_wait_dscnt 0x1
	v_fmac_f32_e32 v126, v127, v128
	ds_load_2addr_b32 v[132:133], v122 offset0:4 offset1:5
	ds_load_2addr_b32 v[134:135], v122 offset0:6 offset1:7
	v_movrels_b32_e32 v122, v34
	s_add_co_i32 m0, s2, -4
	v_fmac_f32_e32 v126, v136, v129
	v_movrels_b32_e32 v127, v34
	s_add_co_i32 m0, s2, -3
	s_wait_dscnt 0x2
	s_delay_alu instid0(VALU_DEP_2) | instskip(SKIP_2) | instid1(VALU_DEP_2)
	v_fmac_f32_e32 v126, v122, v130
	v_movrels_b32_e32 v122, v34
	s_add_co_i32 m0, s2, -2
	v_fmac_f32_e32 v126, v127, v131
	v_movrels_b32_e32 v127, v34
	s_add_co_i32 m0, s2, -1
	s_wait_dscnt 0x1
	s_delay_alu instid0(VALU_DEP_2)
	v_fmac_f32_e32 v126, v122, v132
	v_movrels_b32_e32 v122, v34
	s_mov_b32 m0, s2
	s_add_nc_u64 s[2:3], s[2:3], 8
	v_movrels_b32_e32 v128, v34
	v_dual_fmac_f32 v126, v127, v133 :: v_dual_add_nc_u32 v127, s2, v124
	s_add_co_i32 s8, s2, -7
	s_wait_dscnt 0x0
	s_delay_alu instid0(VALU_DEP_1) | instskip(NEXT) | instid1(VALU_DEP_2)
	v_fmac_f32_e32 v126, v122, v134
	v_cmp_eq_u32_e32 vcc_lo, 14, v127
	s_delay_alu instid0(VALU_DEP_2) | instskip(SKIP_1) | instid1(SALU_CYCLE_1)
	v_dual_mov_b32 v122, s8 :: v_dual_fmac_f32 v126, v128, v135
	s_or_b32 s6, vcc_lo, s6
	s_and_not1_b32 exec_lo, exec_lo, s6
	s_cbranch_execnz .LBB27_313
; %bb.314:
	s_or_b32 exec_lo, exec_lo, s6
.LBB27_315:
	s_delay_alu instid0(SALU_CYCLE_1) | instskip(SKIP_3) | instid1(VALU_DEP_1)
	s_or_b32 exec_lo, exec_lo, s1
	v_and_b32_e32 v62, 7, v123
	s_mov_b32 s2, 0
	s_mov_b32 s1, exec_lo
	v_cmpx_ne_u32_e32 0, v62
	s_cbranch_execz .LBB27_319
; %bb.316:
	v_lshl_add_u32 v63, v122, 2, 0x70
	v_mov_b32_e32 v123, 0
.LBB27_317:                             ; =>This Inner Loop Header: Depth=1
	v_cmp_eq_u32_e32 vcc_lo, 1, v122
	ds_load_b32 v65, v63
	v_dual_add_nc_u32 v62, -1, v62 :: v_dual_add_nc_u32 v63, 4, v63
	v_cndmask_b32_e32 v64, v34, v35, vcc_lo
	v_cmp_eq_u32_e32 vcc_lo, 2, v122
	s_delay_alu instid0(VALU_DEP_2) | instskip(SKIP_1) | instid1(VALU_DEP_2)
	v_cndmask_b32_e32 v64, v64, v36, vcc_lo
	v_cmp_eq_u32_e32 vcc_lo, 3, v122
	v_cndmask_b32_e32 v64, v64, v37, vcc_lo
	v_cmp_eq_u32_e32 vcc_lo, 4, v122
	s_delay_alu instid0(VALU_DEP_2) | instskip(SKIP_1) | instid1(VALU_DEP_2)
	v_cndmask_b32_e32 v64, v64, v38, vcc_lo
	v_cmp_eq_u32_e32 vcc_lo, 5, v122
	;; [unrolled: 5-line block ×12, first 2 shown]
	v_cndmask_b32_e32 v64, v64, v59, vcc_lo
	v_cmp_eq_u32_e32 vcc_lo, 26, v122
	s_delay_alu instid0(VALU_DEP_2) | instskip(SKIP_2) | instid1(VALU_DEP_3)
	v_cndmask_b32_e32 v64, v64, v60, vcc_lo
	v_cmp_eq_u32_e32 vcc_lo, 27, v122
	v_add_nc_u64_e32 v[122:123], 1, v[122:123]
	v_cndmask_b32_e32 v64, v64, v61, vcc_lo
	v_cmp_eq_u32_e32 vcc_lo, 0, v62
	s_wait_dscnt 0x0
	s_delay_alu instid0(VALU_DEP_2) | instskip(SKIP_1) | instid1(SALU_CYCLE_1)
	v_fmac_f32_e32 v126, v64, v65
	s_or_b32 s2, vcc_lo, s2
	s_and_not1_b32 exec_lo, exec_lo, s2
	s_cbranch_execnz .LBB27_317
; %bb.318:
	s_or_b32 exec_lo, exec_lo, s2
.LBB27_319:
	s_delay_alu instid0(SALU_CYCLE_1)
	s_or_b32 exec_lo, exec_lo, s1
.LBB27_320:
	s_delay_alu instid0(SALU_CYCLE_1)
	s_or_b32 exec_lo, exec_lo, s5
	v_mov_b32_e32 v40, 0
	ds_load_b32 v40, v40 offset:24
	s_wait_dscnt 0x0
	v_mul_f32_e32 v40, v126, v40
.LBB27_321:
	s_or_b32 exec_lo, exec_lo, s4
	v_cmp_lt_u32_e64 s1, 5, v0
	ds_store_b32 v125, v39
	s_wait_dscnt 0x0
	s_barrier_signal -1
	s_barrier_wait -1
	s_and_saveexec_b32 s4, s1
	s_cbranch_execz .LBB27_337
; %bb.322:
	s_and_not1_b32 vcc_lo, exec_lo, s30
	s_cbranch_vccnz .LBB27_324
; %bb.323:
	v_cmp_eq_u32_e32 vcc_lo, 1, v0
	ds_load_b32 v123, v125
	v_cndmask_b32_e32 v122, v34, v35, vcc_lo
	v_cmp_eq_u32_e32 vcc_lo, 2, v0
	s_delay_alu instid0(VALU_DEP_2) | instskip(SKIP_1) | instid1(VALU_DEP_2)
	v_cndmask_b32_e32 v122, v122, v36, vcc_lo
	v_cmp_eq_u32_e32 vcc_lo, 3, v0
	v_cndmask_b32_e32 v122, v122, v37, vcc_lo
	v_cmp_eq_u32_e32 vcc_lo, 4, v0
	s_delay_alu instid0(VALU_DEP_2) | instskip(SKIP_1) | instid1(VALU_DEP_2)
	v_cndmask_b32_e32 v122, v122, v38, vcc_lo
	v_cmp_eq_u32_e32 vcc_lo, 5, v0
	;; [unrolled: 5-line block ×13, first 2 shown]
	v_cndmask_b32_e32 v122, v122, v61, vcc_lo
	s_wait_dscnt 0x0
	s_delay_alu instid0(VALU_DEP_1)
	v_mul_f32_e32 v126, v122, v123
	s_cbranch_execz .LBB27_325
	s_branch .LBB27_326
.LBB27_324:
                                        ; implicit-def: $vgpr126
.LBB27_325:
	ds_load_b32 v126, v125
.LBB27_326:
	s_and_saveexec_b32 s5, s0
	s_cbranch_execz .LBB27_336
; %bb.327:
	v_dual_add_nc_u32 v124, -7, v0 :: v_dual_add_nc_u32 v123, -6, v0
	v_mov_b32_e32 v122, 6
	s_mov_b32 s0, exec_lo
	s_delay_alu instid0(VALU_DEP_2)
	v_cmpx_lt_u32_e32 6, v124
	s_cbranch_execz .LBB27_331
; %bb.328:
	v_and_b32_e32 v122, -8, v123
	s_mov_b32 s6, 0
	s_mov_b64 s[2:3], 13
	s_movk_i32 s7, 0x88
	s_delay_alu instid0(VALU_DEP_1)
	v_sub_nc_u32_e32 v124, 0, v122
.LBB27_329:                             ; =>This Inner Loop Header: Depth=1
	s_add_co_i32 m0, s2, -7
	v_movrels_b32_e32 v127, v34
	v_mov_b32_e32 v122, s7
	s_add_co_i32 m0, s2, -6
	s_add_co_i32 s7, s7, 32
	v_movrels_b32_e32 v136, v34
	s_add_co_i32 m0, s2, -5
	ds_load_2addr_b64 v[128:131], v122 offset1:1
	ds_load_2addr_b64 v[132:135], v122 offset0:2 offset1:3
	v_movrels_b32_e32 v122, v34
	s_add_co_i32 m0, s2, -4
	s_wait_dscnt 0x1
	v_fmac_f32_e32 v126, v127, v128
	v_movrels_b32_e32 v127, v34
	s_add_co_i32 m0, s2, -3
	s_delay_alu instid0(VALU_DEP_2) | instskip(NEXT) | instid1(VALU_DEP_1)
	v_fmac_f32_e32 v126, v136, v129
	v_fmac_f32_e32 v126, v122, v130
	v_movrels_b32_e32 v122, v34
	s_add_co_i32 m0, s2, -2
	s_delay_alu instid0(VALU_DEP_2) | instskip(SKIP_3) | instid1(VALU_DEP_2)
	v_fmac_f32_e32 v126, v127, v131
	v_movrels_b32_e32 v127, v34
	s_add_co_i32 m0, s2, -1
	s_wait_dscnt 0x0
	v_fmac_f32_e32 v126, v122, v132
	v_movrels_b32_e32 v122, v34
	s_mov_b32 m0, s2
	s_add_nc_u64 s[2:3], s[2:3], 8
	v_movrels_b32_e32 v128, v34
	v_dual_fmac_f32 v126, v127, v133 :: v_dual_add_nc_u32 v127, s2, v124
	s_add_co_i32 s8, s2, -7
	s_delay_alu instid0(VALU_DEP_1) | instskip(NEXT) | instid1(VALU_DEP_2)
	v_fmac_f32_e32 v126, v122, v134
	v_cmp_eq_u32_e32 vcc_lo, 13, v127
	s_delay_alu instid0(VALU_DEP_2) | instskip(SKIP_1) | instid1(SALU_CYCLE_1)
	v_dual_mov_b32 v122, s8 :: v_dual_fmac_f32 v126, v128, v135
	s_or_b32 s6, vcc_lo, s6
	s_and_not1_b32 exec_lo, exec_lo, s6
	s_cbranch_execnz .LBB27_329
; %bb.330:
	s_or_b32 exec_lo, exec_lo, s6
.LBB27_331:
	s_delay_alu instid0(SALU_CYCLE_1) | instskip(SKIP_3) | instid1(VALU_DEP_1)
	s_or_b32 exec_lo, exec_lo, s0
	v_and_b32_e32 v62, 7, v123
	s_mov_b32 s2, 0
	s_mov_b32 s0, exec_lo
	v_cmpx_ne_u32_e32 0, v62
	s_cbranch_execz .LBB27_335
; %bb.332:
	v_lshl_add_u32 v63, v122, 2, 0x70
	v_mov_b32_e32 v123, 0
.LBB27_333:                             ; =>This Inner Loop Header: Depth=1
	v_cmp_eq_u32_e32 vcc_lo, 1, v122
	ds_load_b32 v65, v63
	v_dual_add_nc_u32 v62, -1, v62 :: v_dual_add_nc_u32 v63, 4, v63
	v_cndmask_b32_e32 v64, v34, v35, vcc_lo
	v_cmp_eq_u32_e32 vcc_lo, 2, v122
	s_delay_alu instid0(VALU_DEP_2) | instskip(SKIP_1) | instid1(VALU_DEP_2)
	v_cndmask_b32_e32 v64, v64, v36, vcc_lo
	v_cmp_eq_u32_e32 vcc_lo, 3, v122
	v_cndmask_b32_e32 v64, v64, v37, vcc_lo
	v_cmp_eq_u32_e32 vcc_lo, 4, v122
	s_delay_alu instid0(VALU_DEP_2) | instskip(SKIP_1) | instid1(VALU_DEP_2)
	v_cndmask_b32_e32 v64, v64, v38, vcc_lo
	v_cmp_eq_u32_e32 vcc_lo, 5, v122
	;; [unrolled: 5-line block ×12, first 2 shown]
	v_cndmask_b32_e32 v64, v64, v59, vcc_lo
	v_cmp_eq_u32_e32 vcc_lo, 26, v122
	s_delay_alu instid0(VALU_DEP_2) | instskip(SKIP_2) | instid1(VALU_DEP_3)
	v_cndmask_b32_e32 v64, v64, v60, vcc_lo
	v_cmp_eq_u32_e32 vcc_lo, 27, v122
	v_add_nc_u64_e32 v[122:123], 1, v[122:123]
	v_cndmask_b32_e32 v64, v64, v61, vcc_lo
	v_cmp_eq_u32_e32 vcc_lo, 0, v62
	s_wait_dscnt 0x0
	s_delay_alu instid0(VALU_DEP_2) | instskip(SKIP_1) | instid1(SALU_CYCLE_1)
	v_fmac_f32_e32 v126, v64, v65
	s_or_b32 s2, vcc_lo, s2
	s_and_not1_b32 exec_lo, exec_lo, s2
	s_cbranch_execnz .LBB27_333
; %bb.334:
	s_or_b32 exec_lo, exec_lo, s2
.LBB27_335:
	s_delay_alu instid0(SALU_CYCLE_1)
	s_or_b32 exec_lo, exec_lo, s0
.LBB27_336:
	s_delay_alu instid0(SALU_CYCLE_1)
	s_or_b32 exec_lo, exec_lo, s5
	v_mov_b32_e32 v39, 0
	ds_load_b32 v39, v39 offset:20
	s_wait_dscnt 0x0
	v_mul_f32_e32 v39, v126, v39
.LBB27_337:
	s_or_b32 exec_lo, exec_lo, s4
	v_cmp_lt_u32_e64 s0, 4, v0
	ds_store_b32 v125, v38
	s_wait_dscnt 0x0
	s_barrier_signal -1
	s_barrier_wait -1
	s_and_saveexec_b32 s4, s0
	s_cbranch_execz .LBB27_353
; %bb.338:
	s_and_not1_b32 vcc_lo, exec_lo, s30
	s_cbranch_vccnz .LBB27_340
; %bb.339:
	v_cmp_eq_u32_e32 vcc_lo, 1, v0
	ds_load_b32 v123, v125
	v_cndmask_b32_e32 v122, v34, v35, vcc_lo
	v_cmp_eq_u32_e32 vcc_lo, 2, v0
	s_delay_alu instid0(VALU_DEP_2) | instskip(SKIP_1) | instid1(VALU_DEP_2)
	v_cndmask_b32_e32 v122, v122, v36, vcc_lo
	v_cmp_eq_u32_e32 vcc_lo, 3, v0
	v_cndmask_b32_e32 v122, v122, v37, vcc_lo
	v_cmp_eq_u32_e32 vcc_lo, 4, v0
	s_delay_alu instid0(VALU_DEP_2) | instskip(SKIP_1) | instid1(VALU_DEP_2)
	v_cndmask_b32_e32 v122, v122, v38, vcc_lo
	v_cmp_eq_u32_e32 vcc_lo, 5, v0
	;; [unrolled: 5-line block ×13, first 2 shown]
	v_cndmask_b32_e32 v122, v122, v61, vcc_lo
	s_wait_dscnt 0x0
	s_delay_alu instid0(VALU_DEP_1)
	v_mul_f32_e32 v126, v122, v123
	s_cbranch_execz .LBB27_341
	s_branch .LBB27_342
.LBB27_340:
                                        ; implicit-def: $vgpr126
.LBB27_341:
	ds_load_b32 v126, v125
.LBB27_342:
	s_and_saveexec_b32 s5, s1
	s_cbranch_execz .LBB27_352
; %bb.343:
	v_dual_add_nc_u32 v122, -6, v0 :: v_dual_add_nc_u32 v123, -5, v0
	s_delay_alu instid0(VALU_DEP_1)
	v_cmp_lt_u32_e32 vcc_lo, 6, v122
	v_mov_b32_e32 v122, 5
	s_and_saveexec_b32 s1, vcc_lo
	s_cbranch_execz .LBB27_347
; %bb.344:
	v_and_b32_e32 v122, -8, v123
	s_mov_b32 s6, 0
	s_mov_b64 s[2:3], 12
	s_movk_i32 s7, 0x84
	s_delay_alu instid0(VALU_DEP_1)
	v_sub_nc_u32_e32 v124, 0, v122
.LBB27_345:                             ; =>This Inner Loop Header: Depth=1
	s_add_co_i32 m0, s2, -7
	v_movrels_b32_e32 v127, v34
	v_mov_b32_e32 v122, s7
	s_add_co_i32 m0, s2, -6
	s_add_co_i32 s7, s7, 32
	v_movrels_b32_e32 v136, v34
	ds_load_2addr_b32 v[128:129], v122 offset1:1
	ds_load_2addr_b32 v[130:131], v122 offset0:2 offset1:3
	s_add_co_i32 m0, s2, -5
	s_wait_dscnt 0x1
	v_fmac_f32_e32 v126, v127, v128
	ds_load_2addr_b32 v[132:133], v122 offset0:4 offset1:5
	ds_load_2addr_b32 v[134:135], v122 offset0:6 offset1:7
	v_movrels_b32_e32 v122, v34
	s_add_co_i32 m0, s2, -4
	v_fmac_f32_e32 v126, v136, v129
	v_movrels_b32_e32 v127, v34
	s_add_co_i32 m0, s2, -3
	s_wait_dscnt 0x2
	s_delay_alu instid0(VALU_DEP_2) | instskip(SKIP_2) | instid1(VALU_DEP_2)
	v_fmac_f32_e32 v126, v122, v130
	v_movrels_b32_e32 v122, v34
	s_add_co_i32 m0, s2, -2
	v_fmac_f32_e32 v126, v127, v131
	v_movrels_b32_e32 v127, v34
	s_add_co_i32 m0, s2, -1
	s_wait_dscnt 0x1
	s_delay_alu instid0(VALU_DEP_2)
	v_fmac_f32_e32 v126, v122, v132
	v_movrels_b32_e32 v122, v34
	s_mov_b32 m0, s2
	s_add_nc_u64 s[2:3], s[2:3], 8
	v_movrels_b32_e32 v128, v34
	v_dual_fmac_f32 v126, v127, v133 :: v_dual_add_nc_u32 v127, s2, v124
	s_add_co_i32 s8, s2, -7
	s_wait_dscnt 0x0
	s_delay_alu instid0(VALU_DEP_1) | instskip(NEXT) | instid1(VALU_DEP_2)
	v_fmac_f32_e32 v126, v122, v134
	v_cmp_eq_u32_e32 vcc_lo, 12, v127
	s_delay_alu instid0(VALU_DEP_2) | instskip(SKIP_1) | instid1(SALU_CYCLE_1)
	v_dual_mov_b32 v122, s8 :: v_dual_fmac_f32 v126, v128, v135
	s_or_b32 s6, vcc_lo, s6
	s_and_not1_b32 exec_lo, exec_lo, s6
	s_cbranch_execnz .LBB27_345
; %bb.346:
	s_or_b32 exec_lo, exec_lo, s6
.LBB27_347:
	s_delay_alu instid0(SALU_CYCLE_1) | instskip(SKIP_3) | instid1(VALU_DEP_1)
	s_or_b32 exec_lo, exec_lo, s1
	v_and_b32_e32 v62, 7, v123
	s_mov_b32 s2, 0
	s_mov_b32 s1, exec_lo
	v_cmpx_ne_u32_e32 0, v62
	s_cbranch_execz .LBB27_351
; %bb.348:
	v_lshl_add_u32 v63, v122, 2, 0x70
	v_mov_b32_e32 v123, 0
.LBB27_349:                             ; =>This Inner Loop Header: Depth=1
	v_cmp_eq_u32_e32 vcc_lo, 1, v122
	ds_load_b32 v65, v63
	v_dual_add_nc_u32 v62, -1, v62 :: v_dual_add_nc_u32 v63, 4, v63
	v_cndmask_b32_e32 v64, v34, v35, vcc_lo
	v_cmp_eq_u32_e32 vcc_lo, 2, v122
	s_delay_alu instid0(VALU_DEP_2) | instskip(SKIP_1) | instid1(VALU_DEP_2)
	v_cndmask_b32_e32 v64, v64, v36, vcc_lo
	v_cmp_eq_u32_e32 vcc_lo, 3, v122
	v_cndmask_b32_e32 v64, v64, v37, vcc_lo
	v_cmp_eq_u32_e32 vcc_lo, 4, v122
	s_delay_alu instid0(VALU_DEP_2) | instskip(SKIP_1) | instid1(VALU_DEP_2)
	v_cndmask_b32_e32 v64, v64, v38, vcc_lo
	v_cmp_eq_u32_e32 vcc_lo, 5, v122
	;; [unrolled: 5-line block ×12, first 2 shown]
	v_cndmask_b32_e32 v64, v64, v59, vcc_lo
	v_cmp_eq_u32_e32 vcc_lo, 26, v122
	s_delay_alu instid0(VALU_DEP_2) | instskip(SKIP_2) | instid1(VALU_DEP_3)
	v_cndmask_b32_e32 v64, v64, v60, vcc_lo
	v_cmp_eq_u32_e32 vcc_lo, 27, v122
	v_add_nc_u64_e32 v[122:123], 1, v[122:123]
	v_cndmask_b32_e32 v64, v64, v61, vcc_lo
	v_cmp_eq_u32_e32 vcc_lo, 0, v62
	s_wait_dscnt 0x0
	s_delay_alu instid0(VALU_DEP_2) | instskip(SKIP_1) | instid1(SALU_CYCLE_1)
	v_fmac_f32_e32 v126, v64, v65
	s_or_b32 s2, vcc_lo, s2
	s_and_not1_b32 exec_lo, exec_lo, s2
	s_cbranch_execnz .LBB27_349
; %bb.350:
	s_or_b32 exec_lo, exec_lo, s2
.LBB27_351:
	s_delay_alu instid0(SALU_CYCLE_1)
	s_or_b32 exec_lo, exec_lo, s1
.LBB27_352:
	s_delay_alu instid0(SALU_CYCLE_1)
	s_or_b32 exec_lo, exec_lo, s5
	v_mov_b32_e32 v38, 0
	ds_load_b32 v38, v38 offset:16
	s_wait_dscnt 0x0
	v_mul_f32_e32 v38, v126, v38
.LBB27_353:
	s_or_b32 exec_lo, exec_lo, s4
	v_cmp_lt_u32_e64 s1, 3, v0
	ds_store_b32 v125, v37
	s_wait_dscnt 0x0
	s_barrier_signal -1
	s_barrier_wait -1
	s_and_saveexec_b32 s4, s1
	s_cbranch_execz .LBB27_369
; %bb.354:
	s_and_not1_b32 vcc_lo, exec_lo, s30
	s_cbranch_vccnz .LBB27_356
; %bb.355:
	v_cmp_eq_u32_e32 vcc_lo, 1, v0
	ds_load_b32 v123, v125
	v_cndmask_b32_e32 v122, v34, v35, vcc_lo
	v_cmp_eq_u32_e32 vcc_lo, 2, v0
	s_delay_alu instid0(VALU_DEP_2) | instskip(SKIP_1) | instid1(VALU_DEP_2)
	v_cndmask_b32_e32 v122, v122, v36, vcc_lo
	v_cmp_eq_u32_e32 vcc_lo, 3, v0
	v_cndmask_b32_e32 v122, v122, v37, vcc_lo
	v_cmp_eq_u32_e32 vcc_lo, 4, v0
	s_delay_alu instid0(VALU_DEP_2) | instskip(SKIP_1) | instid1(VALU_DEP_2)
	v_cndmask_b32_e32 v122, v122, v38, vcc_lo
	v_cmp_eq_u32_e32 vcc_lo, 5, v0
	;; [unrolled: 5-line block ×13, first 2 shown]
	v_cndmask_b32_e32 v122, v122, v61, vcc_lo
	s_wait_dscnt 0x0
	s_delay_alu instid0(VALU_DEP_1)
	v_mul_f32_e32 v126, v122, v123
	s_cbranch_execz .LBB27_357
	s_branch .LBB27_358
.LBB27_356:
                                        ; implicit-def: $vgpr126
.LBB27_357:
	ds_load_b32 v126, v125
.LBB27_358:
	s_and_saveexec_b32 s5, s0
	s_cbranch_execz .LBB27_368
; %bb.359:
	v_dual_add_nc_u32 v122, -5, v0 :: v_dual_add_nc_u32 v123, -4, v0
	s_delay_alu instid0(VALU_DEP_1)
	v_cmp_lt_u32_e32 vcc_lo, 6, v122
	v_mov_b32_e32 v122, 4
	s_and_saveexec_b32 s0, vcc_lo
	s_cbranch_execz .LBB27_363
; %bb.360:
	v_and_b32_e32 v122, -8, v123
	s_mov_b32 s6, 0
	s_mov_b64 s[2:3], 5
	s_movk_i32 s7, 0x80
	s_delay_alu instid0(VALU_DEP_1)
	v_sub_nc_u32_e32 v124, 0, v122
.LBB27_361:                             ; =>This Inner Loop Header: Depth=1
	s_add_co_i32 m0, s2, -1
	v_movrels_b32_e32 v127, v34
	v_mov_b32_e32 v122, s7
	s_mov_b32 m0, s2
	s_add_co_i32 s7, s7, 32
	v_movrels_b32_e32 v136, v34
	s_add_co_i32 m0, s2, 1
	ds_load_b128 v[128:131], v122
	ds_load_b128 v[132:135], v122 offset:16
	v_movrels_b32_e32 v122, v34
	s_add_co_i32 m0, s2, 2
	s_wait_dscnt 0x1
	v_fmac_f32_e32 v126, v127, v128
	v_movrels_b32_e32 v127, v34
	s_add_co_i32 m0, s2, 3
	s_delay_alu instid0(VALU_DEP_2) | instskip(NEXT) | instid1(VALU_DEP_1)
	v_fmac_f32_e32 v126, v136, v129
	v_fmac_f32_e32 v126, v122, v130
	v_movrels_b32_e32 v122, v34
	s_add_co_i32 m0, s2, 4
	s_delay_alu instid0(VALU_DEP_2) | instskip(SKIP_3) | instid1(VALU_DEP_2)
	v_fmac_f32_e32 v126, v127, v131
	v_movrels_b32_e32 v127, v34
	s_add_co_i32 m0, s2, 5
	s_wait_dscnt 0x0
	v_fmac_f32_e32 v126, v122, v132
	v_movrels_b32_e32 v122, v34
	s_add_co_i32 m0, s2, 6
	s_add_nc_u64 s[2:3], s[2:3], 8
	v_movrels_b32_e32 v128, v34
	v_dual_fmac_f32 v126, v127, v133 :: v_dual_add_nc_u32 v127, s2, v124
	s_add_co_i32 s8, s2, -1
	s_delay_alu instid0(VALU_DEP_1) | instskip(NEXT) | instid1(VALU_DEP_2)
	v_fmac_f32_e32 v126, v122, v134
	v_cmp_eq_u32_e32 vcc_lo, 5, v127
	s_delay_alu instid0(VALU_DEP_2) | instskip(SKIP_1) | instid1(SALU_CYCLE_1)
	v_dual_mov_b32 v122, s8 :: v_dual_fmac_f32 v126, v128, v135
	s_or_b32 s6, vcc_lo, s6
	s_and_not1_b32 exec_lo, exec_lo, s6
	s_cbranch_execnz .LBB27_361
; %bb.362:
	s_or_b32 exec_lo, exec_lo, s6
.LBB27_363:
	s_delay_alu instid0(SALU_CYCLE_1) | instskip(SKIP_3) | instid1(VALU_DEP_1)
	s_or_b32 exec_lo, exec_lo, s0
	v_and_b32_e32 v62, 7, v123
	s_mov_b32 s2, 0
	s_mov_b32 s0, exec_lo
	v_cmpx_ne_u32_e32 0, v62
	s_cbranch_execz .LBB27_367
; %bb.364:
	v_lshl_add_u32 v63, v122, 2, 0x70
	v_mov_b32_e32 v123, 0
.LBB27_365:                             ; =>This Inner Loop Header: Depth=1
	v_cmp_eq_u32_e32 vcc_lo, 1, v122
	ds_load_b32 v65, v63
	v_dual_add_nc_u32 v62, -1, v62 :: v_dual_add_nc_u32 v63, 4, v63
	v_cndmask_b32_e32 v64, v34, v35, vcc_lo
	v_cmp_eq_u32_e32 vcc_lo, 2, v122
	s_delay_alu instid0(VALU_DEP_2) | instskip(SKIP_1) | instid1(VALU_DEP_2)
	v_cndmask_b32_e32 v64, v64, v36, vcc_lo
	v_cmp_eq_u32_e32 vcc_lo, 3, v122
	v_cndmask_b32_e32 v64, v64, v37, vcc_lo
	v_cmp_eq_u32_e32 vcc_lo, 4, v122
	s_delay_alu instid0(VALU_DEP_2) | instskip(SKIP_1) | instid1(VALU_DEP_2)
	v_cndmask_b32_e32 v64, v64, v38, vcc_lo
	v_cmp_eq_u32_e32 vcc_lo, 5, v122
	;; [unrolled: 5-line block ×12, first 2 shown]
	v_cndmask_b32_e32 v64, v64, v59, vcc_lo
	v_cmp_eq_u32_e32 vcc_lo, 26, v122
	s_delay_alu instid0(VALU_DEP_2) | instskip(SKIP_2) | instid1(VALU_DEP_3)
	v_cndmask_b32_e32 v64, v64, v60, vcc_lo
	v_cmp_eq_u32_e32 vcc_lo, 27, v122
	v_add_nc_u64_e32 v[122:123], 1, v[122:123]
	v_cndmask_b32_e32 v64, v64, v61, vcc_lo
	v_cmp_eq_u32_e32 vcc_lo, 0, v62
	s_wait_dscnt 0x0
	s_delay_alu instid0(VALU_DEP_2) | instskip(SKIP_1) | instid1(SALU_CYCLE_1)
	v_fmac_f32_e32 v126, v64, v65
	s_or_b32 s2, vcc_lo, s2
	s_and_not1_b32 exec_lo, exec_lo, s2
	s_cbranch_execnz .LBB27_365
; %bb.366:
	s_or_b32 exec_lo, exec_lo, s2
.LBB27_367:
	s_delay_alu instid0(SALU_CYCLE_1)
	s_or_b32 exec_lo, exec_lo, s0
.LBB27_368:
	s_delay_alu instid0(SALU_CYCLE_1)
	s_or_b32 exec_lo, exec_lo, s5
	v_mov_b32_e32 v37, 0
	ds_load_b32 v37, v37 offset:12
	s_wait_dscnt 0x0
	v_mul_f32_e32 v37, v126, v37
.LBB27_369:
	s_or_b32 exec_lo, exec_lo, s4
	v_cmp_lt_u32_e64 s0, 2, v0
	ds_store_b32 v125, v36
	s_wait_dscnt 0x0
	s_barrier_signal -1
	s_barrier_wait -1
	s_and_saveexec_b32 s4, s0
	s_cbranch_execz .LBB27_385
; %bb.370:
	s_and_not1_b32 vcc_lo, exec_lo, s30
	s_cbranch_vccnz .LBB27_372
; %bb.371:
	v_cmp_eq_u32_e32 vcc_lo, 1, v0
	ds_load_b32 v123, v125
	v_cndmask_b32_e32 v122, v34, v35, vcc_lo
	v_cmp_eq_u32_e32 vcc_lo, 2, v0
	s_delay_alu instid0(VALU_DEP_2) | instskip(SKIP_1) | instid1(VALU_DEP_2)
	v_cndmask_b32_e32 v122, v122, v36, vcc_lo
	v_cmp_eq_u32_e32 vcc_lo, 3, v0
	v_cndmask_b32_e32 v122, v122, v37, vcc_lo
	v_cmp_eq_u32_e32 vcc_lo, 4, v0
	s_delay_alu instid0(VALU_DEP_2) | instskip(SKIP_1) | instid1(VALU_DEP_2)
	v_cndmask_b32_e32 v122, v122, v38, vcc_lo
	v_cmp_eq_u32_e32 vcc_lo, 5, v0
	;; [unrolled: 5-line block ×13, first 2 shown]
	v_cndmask_b32_e32 v122, v122, v61, vcc_lo
	s_wait_dscnt 0x0
	s_delay_alu instid0(VALU_DEP_1)
	v_mul_f32_e32 v126, v122, v123
	s_cbranch_execz .LBB27_373
	s_branch .LBB27_374
.LBB27_372:
                                        ; implicit-def: $vgpr126
.LBB27_373:
	ds_load_b32 v126, v125
.LBB27_374:
	s_and_saveexec_b32 s5, s1
	s_cbranch_execz .LBB27_384
; %bb.375:
	v_dual_add_nc_u32 v122, -4, v0 :: v_dual_add_nc_u32 v123, -3, v0
	s_delay_alu instid0(VALU_DEP_1)
	v_cmp_lt_u32_e32 vcc_lo, 6, v122
	v_mov_b32_e32 v122, 3
	s_and_saveexec_b32 s1, vcc_lo
	s_cbranch_execz .LBB27_379
; %bb.376:
	v_and_b32_e32 v122, -8, v123
	s_mov_b32 s6, 0
	s_mov_b64 s[2:3], 10
	s_movk_i32 s7, 0x7c
	s_delay_alu instid0(VALU_DEP_1)
	v_sub_nc_u32_e32 v124, 0, v122
.LBB27_377:                             ; =>This Inner Loop Header: Depth=1
	s_add_co_i32 m0, s2, -7
	v_movrels_b32_e32 v127, v34
	v_mov_b32_e32 v122, s7
	s_add_co_i32 m0, s2, -6
	s_add_co_i32 s7, s7, 32
	v_movrels_b32_e32 v136, v34
	ds_load_2addr_b32 v[128:129], v122 offset1:1
	ds_load_2addr_b32 v[130:131], v122 offset0:2 offset1:3
	s_add_co_i32 m0, s2, -5
	s_wait_dscnt 0x1
	v_fmac_f32_e32 v126, v127, v128
	ds_load_2addr_b32 v[132:133], v122 offset0:4 offset1:5
	ds_load_2addr_b32 v[134:135], v122 offset0:6 offset1:7
	v_movrels_b32_e32 v122, v34
	s_add_co_i32 m0, s2, -4
	v_fmac_f32_e32 v126, v136, v129
	v_movrels_b32_e32 v127, v34
	s_add_co_i32 m0, s2, -3
	s_wait_dscnt 0x2
	s_delay_alu instid0(VALU_DEP_2) | instskip(SKIP_2) | instid1(VALU_DEP_2)
	v_fmac_f32_e32 v126, v122, v130
	v_movrels_b32_e32 v122, v34
	s_add_co_i32 m0, s2, -2
	v_fmac_f32_e32 v126, v127, v131
	v_movrels_b32_e32 v127, v34
	s_add_co_i32 m0, s2, -1
	s_wait_dscnt 0x1
	s_delay_alu instid0(VALU_DEP_2)
	v_fmac_f32_e32 v126, v122, v132
	v_movrels_b32_e32 v122, v34
	s_mov_b32 m0, s2
	s_add_nc_u64 s[2:3], s[2:3], 8
	v_movrels_b32_e32 v128, v34
	v_dual_fmac_f32 v126, v127, v133 :: v_dual_add_nc_u32 v127, s2, v124
	s_add_co_i32 s8, s2, -7
	s_wait_dscnt 0x0
	s_delay_alu instid0(VALU_DEP_1) | instskip(NEXT) | instid1(VALU_DEP_2)
	v_fmac_f32_e32 v126, v122, v134
	v_cmp_eq_u32_e32 vcc_lo, 10, v127
	s_delay_alu instid0(VALU_DEP_2) | instskip(SKIP_1) | instid1(SALU_CYCLE_1)
	v_dual_mov_b32 v122, s8 :: v_dual_fmac_f32 v126, v128, v135
	s_or_b32 s6, vcc_lo, s6
	s_and_not1_b32 exec_lo, exec_lo, s6
	s_cbranch_execnz .LBB27_377
; %bb.378:
	s_or_b32 exec_lo, exec_lo, s6
.LBB27_379:
	s_delay_alu instid0(SALU_CYCLE_1) | instskip(SKIP_3) | instid1(VALU_DEP_1)
	s_or_b32 exec_lo, exec_lo, s1
	v_and_b32_e32 v62, 7, v123
	s_mov_b32 s2, 0
	s_mov_b32 s1, exec_lo
	v_cmpx_ne_u32_e32 0, v62
	s_cbranch_execz .LBB27_383
; %bb.380:
	v_lshl_add_u32 v63, v122, 2, 0x70
	v_mov_b32_e32 v123, 0
.LBB27_381:                             ; =>This Inner Loop Header: Depth=1
	v_cmp_eq_u32_e32 vcc_lo, 1, v122
	ds_load_b32 v65, v63
	v_dual_add_nc_u32 v62, -1, v62 :: v_dual_add_nc_u32 v63, 4, v63
	v_cndmask_b32_e32 v64, v34, v35, vcc_lo
	v_cmp_eq_u32_e32 vcc_lo, 2, v122
	s_delay_alu instid0(VALU_DEP_2) | instskip(SKIP_1) | instid1(VALU_DEP_2)
	v_cndmask_b32_e32 v64, v64, v36, vcc_lo
	v_cmp_eq_u32_e32 vcc_lo, 3, v122
	v_cndmask_b32_e32 v64, v64, v37, vcc_lo
	v_cmp_eq_u32_e32 vcc_lo, 4, v122
	s_delay_alu instid0(VALU_DEP_2) | instskip(SKIP_1) | instid1(VALU_DEP_2)
	v_cndmask_b32_e32 v64, v64, v38, vcc_lo
	v_cmp_eq_u32_e32 vcc_lo, 5, v122
	;; [unrolled: 5-line block ×12, first 2 shown]
	v_cndmask_b32_e32 v64, v64, v59, vcc_lo
	v_cmp_eq_u32_e32 vcc_lo, 26, v122
	s_delay_alu instid0(VALU_DEP_2) | instskip(SKIP_2) | instid1(VALU_DEP_3)
	v_cndmask_b32_e32 v64, v64, v60, vcc_lo
	v_cmp_eq_u32_e32 vcc_lo, 27, v122
	v_add_nc_u64_e32 v[122:123], 1, v[122:123]
	v_cndmask_b32_e32 v64, v64, v61, vcc_lo
	v_cmp_eq_u32_e32 vcc_lo, 0, v62
	s_wait_dscnt 0x0
	s_delay_alu instid0(VALU_DEP_2) | instskip(SKIP_1) | instid1(SALU_CYCLE_1)
	v_fmac_f32_e32 v126, v64, v65
	s_or_b32 s2, vcc_lo, s2
	s_and_not1_b32 exec_lo, exec_lo, s2
	s_cbranch_execnz .LBB27_381
; %bb.382:
	s_or_b32 exec_lo, exec_lo, s2
.LBB27_383:
	s_delay_alu instid0(SALU_CYCLE_1)
	s_or_b32 exec_lo, exec_lo, s1
.LBB27_384:
	s_delay_alu instid0(SALU_CYCLE_1)
	s_or_b32 exec_lo, exec_lo, s5
	v_mov_b32_e32 v36, 0
	ds_load_b32 v36, v36 offset:8
	s_wait_dscnt 0x0
	v_mul_f32_e32 v36, v126, v36
.LBB27_385:
	s_or_b32 exec_lo, exec_lo, s4
	v_cmp_lt_u32_e64 s1, 1, v0
	ds_store_b32 v125, v35
	s_wait_dscnt 0x0
	s_barrier_signal -1
	s_barrier_wait -1
	s_and_saveexec_b32 s4, s1
	s_cbranch_execz .LBB27_401
; %bb.386:
	s_and_not1_b32 vcc_lo, exec_lo, s30
	s_cbranch_vccnz .LBB27_388
; %bb.387:
	v_cmp_eq_u32_e32 vcc_lo, 1, v0
	ds_load_b32 v123, v125
	v_cndmask_b32_e32 v122, v34, v35, vcc_lo
	v_cmp_eq_u32_e32 vcc_lo, 2, v0
	s_delay_alu instid0(VALU_DEP_2) | instskip(SKIP_1) | instid1(VALU_DEP_2)
	v_cndmask_b32_e32 v122, v122, v36, vcc_lo
	v_cmp_eq_u32_e32 vcc_lo, 3, v0
	v_cndmask_b32_e32 v122, v122, v37, vcc_lo
	v_cmp_eq_u32_e32 vcc_lo, 4, v0
	s_delay_alu instid0(VALU_DEP_2) | instskip(SKIP_1) | instid1(VALU_DEP_2)
	v_cndmask_b32_e32 v122, v122, v38, vcc_lo
	v_cmp_eq_u32_e32 vcc_lo, 5, v0
	;; [unrolled: 5-line block ×13, first 2 shown]
	v_cndmask_b32_e32 v122, v122, v61, vcc_lo
	s_wait_dscnt 0x0
	s_delay_alu instid0(VALU_DEP_1)
	v_mul_f32_e32 v126, v122, v123
	s_cbranch_execz .LBB27_389
	s_branch .LBB27_390
.LBB27_388:
                                        ; implicit-def: $vgpr126
.LBB27_389:
	ds_load_b32 v126, v125
.LBB27_390:
	s_and_saveexec_b32 s5, s0
	s_cbranch_execz .LBB27_400
; %bb.391:
	v_dual_add_nc_u32 v122, -3, v0 :: v_dual_add_nc_u32 v123, -2, v0
	s_delay_alu instid0(VALU_DEP_1)
	v_cmp_lt_u32_e32 vcc_lo, 6, v122
	v_mov_b32_e32 v122, 2
	s_and_saveexec_b32 s0, vcc_lo
	s_cbranch_execz .LBB27_395
; %bb.392:
	v_and_b32_e32 v122, -8, v123
	s_mov_b32 s6, 0
	s_mov_b64 s[2:3], 9
	s_movk_i32 s7, 0x78
	s_delay_alu instid0(VALU_DEP_1)
	v_sub_nc_u32_e32 v124, 0, v122
.LBB27_393:                             ; =>This Inner Loop Header: Depth=1
	s_add_co_i32 m0, s2, -7
	v_movrels_b32_e32 v127, v34
	v_mov_b32_e32 v122, s7
	s_add_co_i32 m0, s2, -6
	s_add_co_i32 s7, s7, 32
	v_movrels_b32_e32 v136, v34
	s_add_co_i32 m0, s2, -5
	ds_load_2addr_b64 v[128:131], v122 offset1:1
	ds_load_2addr_b64 v[132:135], v122 offset0:2 offset1:3
	v_movrels_b32_e32 v122, v34
	s_add_co_i32 m0, s2, -4
	s_wait_dscnt 0x1
	v_fmac_f32_e32 v126, v127, v128
	v_movrels_b32_e32 v127, v34
	s_add_co_i32 m0, s2, -3
	s_delay_alu instid0(VALU_DEP_2) | instskip(NEXT) | instid1(VALU_DEP_1)
	v_fmac_f32_e32 v126, v136, v129
	v_fmac_f32_e32 v126, v122, v130
	v_movrels_b32_e32 v122, v34
	s_add_co_i32 m0, s2, -2
	s_delay_alu instid0(VALU_DEP_2) | instskip(SKIP_3) | instid1(VALU_DEP_2)
	v_fmac_f32_e32 v126, v127, v131
	v_movrels_b32_e32 v127, v34
	s_add_co_i32 m0, s2, -1
	s_wait_dscnt 0x0
	v_fmac_f32_e32 v126, v122, v132
	v_movrels_b32_e32 v122, v34
	s_mov_b32 m0, s2
	s_add_nc_u64 s[2:3], s[2:3], 8
	v_movrels_b32_e32 v128, v34
	v_dual_fmac_f32 v126, v127, v133 :: v_dual_add_nc_u32 v127, s2, v124
	s_add_co_i32 s8, s2, -7
	s_delay_alu instid0(VALU_DEP_1) | instskip(NEXT) | instid1(VALU_DEP_2)
	v_fmac_f32_e32 v126, v122, v134
	v_cmp_eq_u32_e32 vcc_lo, 9, v127
	s_delay_alu instid0(VALU_DEP_2) | instskip(SKIP_1) | instid1(SALU_CYCLE_1)
	v_dual_mov_b32 v122, s8 :: v_dual_fmac_f32 v126, v128, v135
	s_or_b32 s6, vcc_lo, s6
	s_and_not1_b32 exec_lo, exec_lo, s6
	s_cbranch_execnz .LBB27_393
; %bb.394:
	s_or_b32 exec_lo, exec_lo, s6
.LBB27_395:
	s_delay_alu instid0(SALU_CYCLE_1) | instskip(SKIP_3) | instid1(VALU_DEP_1)
	s_or_b32 exec_lo, exec_lo, s0
	v_and_b32_e32 v62, 7, v123
	s_mov_b32 s2, 0
	s_mov_b32 s0, exec_lo
	v_cmpx_ne_u32_e32 0, v62
	s_cbranch_execz .LBB27_399
; %bb.396:
	v_lshl_add_u32 v63, v122, 2, 0x70
	v_mov_b32_e32 v123, 0
.LBB27_397:                             ; =>This Inner Loop Header: Depth=1
	v_cmp_eq_u32_e32 vcc_lo, 1, v122
	ds_load_b32 v65, v63
	v_dual_add_nc_u32 v62, -1, v62 :: v_dual_add_nc_u32 v63, 4, v63
	v_cndmask_b32_e32 v64, v34, v35, vcc_lo
	v_cmp_eq_u32_e32 vcc_lo, 2, v122
	s_delay_alu instid0(VALU_DEP_2) | instskip(SKIP_1) | instid1(VALU_DEP_2)
	v_cndmask_b32_e32 v64, v64, v36, vcc_lo
	v_cmp_eq_u32_e32 vcc_lo, 3, v122
	v_cndmask_b32_e32 v64, v64, v37, vcc_lo
	v_cmp_eq_u32_e32 vcc_lo, 4, v122
	s_delay_alu instid0(VALU_DEP_2) | instskip(SKIP_1) | instid1(VALU_DEP_2)
	v_cndmask_b32_e32 v64, v64, v38, vcc_lo
	v_cmp_eq_u32_e32 vcc_lo, 5, v122
	;; [unrolled: 5-line block ×12, first 2 shown]
	v_cndmask_b32_e32 v64, v64, v59, vcc_lo
	v_cmp_eq_u32_e32 vcc_lo, 26, v122
	s_delay_alu instid0(VALU_DEP_2) | instskip(SKIP_2) | instid1(VALU_DEP_3)
	v_cndmask_b32_e32 v64, v64, v60, vcc_lo
	v_cmp_eq_u32_e32 vcc_lo, 27, v122
	v_add_nc_u64_e32 v[122:123], 1, v[122:123]
	v_cndmask_b32_e32 v64, v64, v61, vcc_lo
	v_cmp_eq_u32_e32 vcc_lo, 0, v62
	s_wait_dscnt 0x0
	s_delay_alu instid0(VALU_DEP_2) | instskip(SKIP_1) | instid1(SALU_CYCLE_1)
	v_fmac_f32_e32 v126, v64, v65
	s_or_b32 s2, vcc_lo, s2
	s_and_not1_b32 exec_lo, exec_lo, s2
	s_cbranch_execnz .LBB27_397
; %bb.398:
	s_or_b32 exec_lo, exec_lo, s2
.LBB27_399:
	s_delay_alu instid0(SALU_CYCLE_1)
	s_or_b32 exec_lo, exec_lo, s0
.LBB27_400:
	s_delay_alu instid0(SALU_CYCLE_1)
	s_or_b32 exec_lo, exec_lo, s5
	v_mov_b32_e32 v35, 0
	ds_load_b32 v35, v35 offset:4
	s_wait_dscnt 0x0
	v_mul_f32_e32 v35, v126, v35
.LBB27_401:
	s_or_b32 exec_lo, exec_lo, s4
	s_mov_b32 s2, 0
	s_mov_b32 s3, exec_lo
	ds_store_b32 v125, v34
	s_wait_dscnt 0x0
	s_barrier_signal -1
	s_barrier_wait -1
	v_cmpx_ne_u32_e32 0, v0
	s_cbranch_execz .LBB27_417
; %bb.402:
	s_and_not1_b32 vcc_lo, exec_lo, s30
	s_cbranch_vccnz .LBB27_404
; %bb.403:
	v_cmp_eq_u32_e32 vcc_lo, 1, v0
	ds_load_b32 v123, v125
	v_cndmask_b32_e32 v122, v34, v35, vcc_lo
	v_cmp_eq_u32_e32 vcc_lo, 2, v0
	s_delay_alu instid0(VALU_DEP_2) | instskip(SKIP_1) | instid1(VALU_DEP_2)
	v_cndmask_b32_e32 v122, v122, v36, vcc_lo
	v_cmp_eq_u32_e32 vcc_lo, 3, v0
	v_cndmask_b32_e32 v122, v122, v37, vcc_lo
	v_cmp_eq_u32_e32 vcc_lo, 4, v0
	s_delay_alu instid0(VALU_DEP_2) | instskip(SKIP_1) | instid1(VALU_DEP_2)
	v_cndmask_b32_e32 v122, v122, v38, vcc_lo
	v_cmp_eq_u32_e32 vcc_lo, 5, v0
	;; [unrolled: 5-line block ×13, first 2 shown]
	v_cndmask_b32_e32 v122, v122, v61, vcc_lo
	s_wait_dscnt 0x0
	s_delay_alu instid0(VALU_DEP_1)
	v_mul_f32_e32 v126, v122, v123
	s_cbranch_execz .LBB27_405
	s_branch .LBB27_406
.LBB27_404:
                                        ; implicit-def: $vgpr126
.LBB27_405:
	ds_load_b32 v126, v125
.LBB27_406:
	s_and_saveexec_b32 s4, s1
	s_cbranch_execz .LBB27_416
; %bb.407:
	v_dual_add_nc_u32 v122, -2, v0 :: v_dual_add_nc_u32 v123, -1, v0
	s_delay_alu instid0(VALU_DEP_1)
	v_cmp_lt_u32_e32 vcc_lo, 6, v122
	v_mov_b32_e32 v122, 1
	s_and_saveexec_b32 s5, vcc_lo
	s_cbranch_execz .LBB27_411
; %bb.408:
	v_and_b32_e32 v122, -8, v123
	s_mov_b32 s6, 0
	s_mov_b64 s[0:1], 8
	s_movk_i32 s7, 0x74
	s_delay_alu instid0(VALU_DEP_1)
	v_sub_nc_u32_e32 v124, 0, v122
.LBB27_409:                             ; =>This Inner Loop Header: Depth=1
	s_add_co_i32 m0, s0, -7
	v_movrels_b32_e32 v127, v34
	v_mov_b32_e32 v122, s7
	s_add_co_i32 m0, s0, -6
	s_add_co_i32 s7, s7, 32
	v_movrels_b32_e32 v136, v34
	ds_load_2addr_b32 v[128:129], v122 offset1:1
	ds_load_2addr_b32 v[130:131], v122 offset0:2 offset1:3
	s_add_co_i32 m0, s0, -5
	s_wait_dscnt 0x1
	v_fmac_f32_e32 v126, v127, v128
	ds_load_2addr_b32 v[132:133], v122 offset0:4 offset1:5
	ds_load_2addr_b32 v[134:135], v122 offset0:6 offset1:7
	v_movrels_b32_e32 v122, v34
	s_add_co_i32 m0, s0, -4
	v_fmac_f32_e32 v126, v136, v129
	v_movrels_b32_e32 v127, v34
	s_add_co_i32 m0, s0, -3
	s_wait_dscnt 0x2
	s_delay_alu instid0(VALU_DEP_2) | instskip(SKIP_2) | instid1(VALU_DEP_2)
	v_fmac_f32_e32 v126, v122, v130
	v_movrels_b32_e32 v122, v34
	s_add_co_i32 m0, s0, -2
	v_fmac_f32_e32 v126, v127, v131
	v_movrels_b32_e32 v127, v34
	s_add_co_i32 m0, s0, -1
	s_wait_dscnt 0x1
	s_delay_alu instid0(VALU_DEP_2)
	v_fmac_f32_e32 v126, v122, v132
	v_movrels_b32_e32 v122, v34
	s_mov_b32 m0, s0
	s_add_nc_u64 s[0:1], s[0:1], 8
	v_movrels_b32_e32 v128, v34
	v_dual_fmac_f32 v126, v127, v133 :: v_dual_add_nc_u32 v127, s0, v124
	s_add_co_i32 s8, s0, -7
	s_wait_dscnt 0x0
	s_delay_alu instid0(VALU_DEP_1) | instskip(NEXT) | instid1(VALU_DEP_2)
	v_fmac_f32_e32 v126, v122, v134
	v_cmp_eq_u32_e32 vcc_lo, 8, v127
	s_delay_alu instid0(VALU_DEP_2) | instskip(SKIP_1) | instid1(SALU_CYCLE_1)
	v_dual_mov_b32 v122, s8 :: v_dual_fmac_f32 v126, v128, v135
	s_or_b32 s6, vcc_lo, s6
	s_and_not1_b32 exec_lo, exec_lo, s6
	s_cbranch_execnz .LBB27_409
; %bb.410:
	s_or_b32 exec_lo, exec_lo, s6
.LBB27_411:
	s_delay_alu instid0(SALU_CYCLE_1) | instskip(SKIP_3) | instid1(VALU_DEP_1)
	s_or_b32 exec_lo, exec_lo, s5
	v_and_b32_e32 v62, 7, v123
	s_mov_b32 s1, 0
	s_mov_b32 s0, exec_lo
	v_cmpx_ne_u32_e32 0, v62
	s_cbranch_execz .LBB27_415
; %bb.412:
	v_lshl_add_u32 v63, v122, 2, 0x70
	v_mov_b32_e32 v123, 0
.LBB27_413:                             ; =>This Inner Loop Header: Depth=1
	v_cmp_eq_u32_e32 vcc_lo, 1, v122
	ds_load_b32 v65, v63
	v_dual_add_nc_u32 v62, -1, v62 :: v_dual_add_nc_u32 v63, 4, v63
	v_cndmask_b32_e32 v64, v34, v35, vcc_lo
	v_cmp_eq_u32_e32 vcc_lo, 2, v122
	s_delay_alu instid0(VALU_DEP_2) | instskip(SKIP_1) | instid1(VALU_DEP_2)
	v_cndmask_b32_e32 v64, v64, v36, vcc_lo
	v_cmp_eq_u32_e32 vcc_lo, 3, v122
	v_cndmask_b32_e32 v64, v64, v37, vcc_lo
	v_cmp_eq_u32_e32 vcc_lo, 4, v122
	s_delay_alu instid0(VALU_DEP_2) | instskip(SKIP_1) | instid1(VALU_DEP_2)
	v_cndmask_b32_e32 v64, v64, v38, vcc_lo
	v_cmp_eq_u32_e32 vcc_lo, 5, v122
	v_cndmask_b32_e32 v64, v64, v39, vcc_lo
	v_cmp_eq_u32_e32 vcc_lo, 6, v122
	s_delay_alu instid0(VALU_DEP_2) | instskip(SKIP_1) | instid1(VALU_DEP_2)
	v_cndmask_b32_e32 v64, v64, v40, vcc_lo
	v_cmp_eq_u32_e32 vcc_lo, 7, v122
	v_cndmask_b32_e32 v64, v64, v41, vcc_lo
	v_cmp_eq_u32_e32 vcc_lo, 8, v122
	s_delay_alu instid0(VALU_DEP_2) | instskip(SKIP_1) | instid1(VALU_DEP_2)
	v_cndmask_b32_e32 v64, v64, v42, vcc_lo
	v_cmp_eq_u32_e32 vcc_lo, 9, v122
	v_cndmask_b32_e32 v64, v64, v43, vcc_lo
	v_cmp_eq_u32_e32 vcc_lo, 10, v122
	s_delay_alu instid0(VALU_DEP_2) | instskip(SKIP_1) | instid1(VALU_DEP_2)
	v_cndmask_b32_e32 v64, v64, v44, vcc_lo
	v_cmp_eq_u32_e32 vcc_lo, 11, v122
	v_cndmask_b32_e32 v64, v64, v45, vcc_lo
	v_cmp_eq_u32_e32 vcc_lo, 12, v122
	s_delay_alu instid0(VALU_DEP_2) | instskip(SKIP_1) | instid1(VALU_DEP_2)
	v_cndmask_b32_e32 v64, v64, v46, vcc_lo
	v_cmp_eq_u32_e32 vcc_lo, 13, v122
	v_cndmask_b32_e32 v64, v64, v47, vcc_lo
	v_cmp_eq_u32_e32 vcc_lo, 14, v122
	s_delay_alu instid0(VALU_DEP_2) | instskip(SKIP_1) | instid1(VALU_DEP_2)
	v_cndmask_b32_e32 v64, v64, v48, vcc_lo
	v_cmp_eq_u32_e32 vcc_lo, 15, v122
	v_cndmask_b32_e32 v64, v64, v49, vcc_lo
	v_cmp_eq_u32_e32 vcc_lo, 16, v122
	s_delay_alu instid0(VALU_DEP_2) | instskip(SKIP_1) | instid1(VALU_DEP_2)
	v_cndmask_b32_e32 v64, v64, v50, vcc_lo
	v_cmp_eq_u32_e32 vcc_lo, 17, v122
	v_cndmask_b32_e32 v64, v64, v51, vcc_lo
	v_cmp_eq_u32_e32 vcc_lo, 18, v122
	s_delay_alu instid0(VALU_DEP_2) | instskip(SKIP_1) | instid1(VALU_DEP_2)
	v_cndmask_b32_e32 v64, v64, v52, vcc_lo
	v_cmp_eq_u32_e32 vcc_lo, 19, v122
	v_cndmask_b32_e32 v64, v64, v53, vcc_lo
	v_cmp_eq_u32_e32 vcc_lo, 20, v122
	s_delay_alu instid0(VALU_DEP_2) | instskip(SKIP_1) | instid1(VALU_DEP_2)
	v_cndmask_b32_e32 v64, v64, v54, vcc_lo
	v_cmp_eq_u32_e32 vcc_lo, 21, v122
	v_cndmask_b32_e32 v64, v64, v55, vcc_lo
	v_cmp_eq_u32_e32 vcc_lo, 22, v122
	s_delay_alu instid0(VALU_DEP_2) | instskip(SKIP_1) | instid1(VALU_DEP_2)
	v_cndmask_b32_e32 v64, v64, v56, vcc_lo
	v_cmp_eq_u32_e32 vcc_lo, 23, v122
	v_cndmask_b32_e32 v64, v64, v57, vcc_lo
	v_cmp_eq_u32_e32 vcc_lo, 24, v122
	s_delay_alu instid0(VALU_DEP_2) | instskip(SKIP_1) | instid1(VALU_DEP_2)
	v_cndmask_b32_e32 v64, v64, v58, vcc_lo
	v_cmp_eq_u32_e32 vcc_lo, 25, v122
	v_cndmask_b32_e32 v64, v64, v59, vcc_lo
	v_cmp_eq_u32_e32 vcc_lo, 26, v122
	s_delay_alu instid0(VALU_DEP_2) | instskip(SKIP_2) | instid1(VALU_DEP_3)
	v_cndmask_b32_e32 v64, v64, v60, vcc_lo
	v_cmp_eq_u32_e32 vcc_lo, 27, v122
	v_add_nc_u64_e32 v[122:123], 1, v[122:123]
	v_cndmask_b32_e32 v64, v64, v61, vcc_lo
	v_cmp_eq_u32_e32 vcc_lo, 0, v62
	s_wait_dscnt 0x0
	s_delay_alu instid0(VALU_DEP_2) | instskip(SKIP_1) | instid1(SALU_CYCLE_1)
	v_fmac_f32_e32 v126, v64, v65
	s_or_b32 s1, vcc_lo, s1
	s_and_not1_b32 exec_lo, exec_lo, s1
	s_cbranch_execnz .LBB27_413
; %bb.414:
	s_or_b32 exec_lo, exec_lo, s1
.LBB27_415:
	s_delay_alu instid0(SALU_CYCLE_1)
	s_or_b32 exec_lo, exec_lo, s0
.LBB27_416:
	s_delay_alu instid0(SALU_CYCLE_1)
	s_or_b32 exec_lo, exec_lo, s4
	v_mov_b32_e32 v34, 0
	ds_load_b32 v34, v34
	s_wait_dscnt 0x0
	v_mul_f32_e32 v34, v126, v34
.LBB27_417:
	s_or_b32 exec_lo, exec_lo, s3
	s_delay_alu instid0(SALU_CYCLE_1)
	s_and_b32 vcc_lo, exec_lo, s2
	s_cbranch_vccz .LBB27_691
.LBB27_418:
	v_cmp_eq_u32_e64 s0, 0, v0
	s_wait_loadcnt 0x1b
	ds_store_b32 v125, v3
	s_wait_loadcnt_dscnt 0x0
	s_barrier_signal -1
	s_barrier_wait -1
	s_and_saveexec_b32 s1, s0
	s_cbranch_execz .LBB27_424
; %bb.419:
	s_and_b32 vcc_lo, exec_lo, s30
	s_cbranch_vccz .LBB27_421
; %bb.420:
	v_cmp_eq_u32_e32 vcc_lo, 1, v0
	ds_load_b32 v30, v125
	v_cndmask_b32_e32 v3, v2, v3, vcc_lo
	v_cmp_eq_u32_e32 vcc_lo, 2, v0
	s_delay_alu instid0(VALU_DEP_2) | instskip(SKIP_1) | instid1(VALU_DEP_2)
	v_cndmask_b32_e32 v3, v3, v4, vcc_lo
	v_cmp_eq_u32_e32 vcc_lo, 3, v0
	v_cndmask_b32_e32 v3, v3, v5, vcc_lo
	v_cmp_eq_u32_e32 vcc_lo, 4, v0
	s_delay_alu instid0(VALU_DEP_2) | instskip(SKIP_1) | instid1(VALU_DEP_2)
	v_cndmask_b32_e32 v3, v3, v6, vcc_lo
	v_cmp_eq_u32_e32 vcc_lo, 5, v0
	;; [unrolled: 5-line block ×13, first 2 shown]
	v_cndmask_b32_e32 v3, v3, v29, vcc_lo
	s_wait_dscnt 0x0
	s_delay_alu instid0(VALU_DEP_1)
	v_mul_f32_e32 v3, v3, v30
	s_cbranch_execz .LBB27_422
	s_branch .LBB27_423
.LBB27_421:
                                        ; implicit-def: $vgpr3
.LBB27_422:
	ds_load_b32 v3, v125
.LBB27_423:
	v_mov_b32_e32 v30, 0
	ds_load_b32 v30, v30 offset:4
	s_wait_dscnt 0x0
	v_mul_f32_e32 v3, v3, v30
.LBB27_424:
	s_or_b32 exec_lo, exec_lo, s1
	v_cndmask_b32_e64 v34, 0, 1, s30
	s_mov_b32 s1, exec_lo
	ds_store_b32 v125, v4
	s_wait_dscnt 0x0
	s_barrier_signal -1
	s_barrier_wait -1
	v_cmpx_gt_u32_e32 2, v0
	s_cbranch_execz .LBB27_430
; %bb.425:
	s_and_not1_b32 vcc_lo, exec_lo, s30
	s_cbranch_vccnz .LBB27_427
; %bb.426:
	v_cmp_eq_u32_e32 vcc_lo, 1, v0
	v_cndmask_b32_e32 v30, v2, v3, vcc_lo
	v_cmp_eq_u32_e32 vcc_lo, 2, v0
	s_delay_alu instid0(VALU_DEP_2) | instskip(SKIP_4) | instid1(VALU_DEP_2)
	v_cndmask_b32_e32 v4, v30, v4, vcc_lo
	v_cmp_eq_u32_e32 vcc_lo, 3, v0
	ds_load_b32 v30, v125
	v_cndmask_b32_e32 v4, v4, v5, vcc_lo
	v_cmp_eq_u32_e32 vcc_lo, 4, v0
	v_cndmask_b32_e32 v4, v4, v6, vcc_lo
	v_cmp_eq_u32_e32 vcc_lo, 5, v0
	s_delay_alu instid0(VALU_DEP_2) | instskip(SKIP_1) | instid1(VALU_DEP_2)
	v_cndmask_b32_e32 v4, v4, v7, vcc_lo
	v_cmp_eq_u32_e32 vcc_lo, 6, v0
	v_cndmask_b32_e32 v4, v4, v8, vcc_lo
	v_cmp_eq_u32_e32 vcc_lo, 7, v0
	s_delay_alu instid0(VALU_DEP_2) | instskip(SKIP_1) | instid1(VALU_DEP_2)
	;; [unrolled: 5-line block ×11, first 2 shown]
	v_cndmask_b32_e32 v4, v4, v27, vcc_lo
	v_cmp_eq_u32_e32 vcc_lo, 26, v0
	v_cndmask_b32_e32 v4, v4, v28, vcc_lo
	v_cmp_eq_u32_e32 vcc_lo, 27, v0
	s_delay_alu instid0(VALU_DEP_2) | instskip(SKIP_1) | instid1(VALU_DEP_1)
	v_cndmask_b32_e32 v4, v4, v29, vcc_lo
	s_wait_dscnt 0x0
	v_mul_f32_e32 v4, v4, v30
	s_cbranch_execz .LBB27_428
	s_branch .LBB27_429
.LBB27_427:
                                        ; implicit-def: $vgpr4
.LBB27_428:
	ds_load_b32 v4, v125
.LBB27_429:
	v_mov_b32_e32 v30, 0
	ds_load_2addr_b32 v[30:31], v30 offset0:2 offset1:29
	s_wait_dscnt 0x0
	v_fma_f32 v31, v3, v31, v4
	s_delay_alu instid0(VALU_DEP_1) | instskip(NEXT) | instid1(VALU_DEP_1)
	v_cndmask_b32_e64 v4, v4, v31, s0
	v_mul_f32_e32 v4, v4, v30
.LBB27_430:
	s_or_b32 exec_lo, exec_lo, s1
	v_add_nc_u32_e32 v35, 1, v0
	v_cmp_gt_u32_e64 s1, 3, v0
	ds_store_b32 v125, v5
	s_wait_dscnt 0x0
	s_barrier_signal -1
	s_barrier_wait -1
	s_and_saveexec_b32 s2, s1
	s_cbranch_execz .LBB27_438
; %bb.431:
	v_cmp_ne_u32_e32 vcc_lo, 1, v34
	s_cbranch_vccnz .LBB27_433
; %bb.432:
	v_cmp_eq_u32_e32 vcc_lo, 1, v0
	ds_load_b32 v31, v125
	v_cndmask_b32_e32 v30, v2, v3, vcc_lo
	v_cmp_eq_u32_e32 vcc_lo, 2, v0
	s_delay_alu instid0(VALU_DEP_2) | instskip(SKIP_1) | instid1(VALU_DEP_2)
	v_cndmask_b32_e32 v30, v30, v4, vcc_lo
	v_cmp_eq_u32_e32 vcc_lo, 3, v0
	v_cndmask_b32_e32 v30, v30, v5, vcc_lo
	v_cmp_eq_u32_e32 vcc_lo, 4, v0
	s_delay_alu instid0(VALU_DEP_2) | instskip(SKIP_1) | instid1(VALU_DEP_2)
	v_cndmask_b32_e32 v30, v30, v6, vcc_lo
	v_cmp_eq_u32_e32 vcc_lo, 5, v0
	;; [unrolled: 5-line block ×13, first 2 shown]
	v_cndmask_b32_e32 v30, v30, v29, vcc_lo
	s_wait_dscnt 0x0
	s_delay_alu instid0(VALU_DEP_1)
	v_mul_f32_e32 v30, v30, v31
	s_cbranch_execz .LBB27_434
	s_branch .LBB27_435
.LBB27_433:
                                        ; implicit-def: $vgpr30
.LBB27_434:
	ds_load_b32 v30, v125
.LBB27_435:
	s_mov_b32 s3, exec_lo
	v_cmpx_ne_u32_e32 2, v0
	s_cbranch_execz .LBB27_437
; %bb.436:
	v_cmp_eq_u32_e32 vcc_lo, 1, v35
	v_dual_mov_b32 v32, 0 :: v_dual_cndmask_b32 v31, v2, v3
	v_cmp_eq_u32_e32 vcc_lo, 2, v35
	ds_load_b32 v32, v32 offset:120
	v_cndmask_b32_e32 v31, v31, v4, vcc_lo
	v_cmp_eq_u32_e32 vcc_lo, 3, v35
	s_delay_alu instid0(VALU_DEP_2) | instskip(SKIP_4) | instid1(VALU_DEP_2)
	v_cndmask_b32_e32 v5, v31, v5, vcc_lo
	v_cmp_eq_u32_e32 vcc_lo, 4, v35
	ds_load_b32 v31, v125 offset:4
	v_cndmask_b32_e32 v5, v5, v6, vcc_lo
	v_cmp_eq_u32_e32 vcc_lo, 5, v35
	v_cndmask_b32_e32 v5, v5, v7, vcc_lo
	v_cmp_eq_u32_e32 vcc_lo, 6, v35
	s_delay_alu instid0(VALU_DEP_2) | instskip(SKIP_1) | instid1(VALU_DEP_2)
	v_cndmask_b32_e32 v5, v5, v8, vcc_lo
	v_cmp_eq_u32_e32 vcc_lo, 7, v35
	v_cndmask_b32_e32 v5, v5, v9, vcc_lo
	v_cmp_eq_u32_e32 vcc_lo, 8, v35
	s_delay_alu instid0(VALU_DEP_2) | instskip(SKIP_1) | instid1(VALU_DEP_2)
	;; [unrolled: 5-line block ×11, first 2 shown]
	v_cndmask_b32_e32 v5, v5, v28, vcc_lo
	v_cmp_eq_u32_e32 vcc_lo, 27, v35
	v_cndmask_b32_e32 v5, v5, v29, vcc_lo
	s_wait_dscnt 0x0
	s_delay_alu instid0(VALU_DEP_1) | instskip(NEXT) | instid1(VALU_DEP_1)
	v_fmac_f32_e32 v30, v5, v31
	v_fma_f32 v5, v4, v32, v30
	s_delay_alu instid0(VALU_DEP_1)
	v_cndmask_b32_e64 v30, v30, v5, s0
.LBB27_437:
	s_or_b32 exec_lo, exec_lo, s3
	v_mov_b32_e32 v5, 0
	ds_load_b32 v5, v5 offset:12
	s_wait_dscnt 0x0
	v_mul_f32_e32 v5, v30, v5
.LBB27_438:
	s_or_b32 exec_lo, exec_lo, s2
	s_delay_alu instid0(SALU_CYCLE_1)
	s_mov_b32 s2, exec_lo
	ds_store_b32 v125, v6
	s_wait_dscnt 0x0
	s_barrier_signal -1
	s_barrier_wait -1
	v_cmpx_gt_u32_e32 4, v0
	s_cbranch_execz .LBB27_448
; %bb.439:
	v_cmp_ne_u32_e32 vcc_lo, 1, v34
	s_cbranch_vccnz .LBB27_441
; %bb.440:
	v_cmp_eq_u32_e32 vcc_lo, 1, v0
	ds_load_b32 v31, v125
	v_cndmask_b32_e32 v30, v2, v3, vcc_lo
	v_cmp_eq_u32_e32 vcc_lo, 2, v0
	s_delay_alu instid0(VALU_DEP_2) | instskip(SKIP_1) | instid1(VALU_DEP_2)
	v_cndmask_b32_e32 v30, v30, v4, vcc_lo
	v_cmp_eq_u32_e32 vcc_lo, 3, v0
	v_cndmask_b32_e32 v30, v30, v5, vcc_lo
	v_cmp_eq_u32_e32 vcc_lo, 4, v0
	s_delay_alu instid0(VALU_DEP_2) | instskip(SKIP_1) | instid1(VALU_DEP_2)
	v_cndmask_b32_e32 v30, v30, v6, vcc_lo
	v_cmp_eq_u32_e32 vcc_lo, 5, v0
	;; [unrolled: 5-line block ×13, first 2 shown]
	v_cndmask_b32_e32 v30, v30, v29, vcc_lo
	s_wait_dscnt 0x0
	s_delay_alu instid0(VALU_DEP_1)
	v_mul_f32_e32 v32, v30, v31
	s_cbranch_execz .LBB27_442
	s_branch .LBB27_443
.LBB27_441:
                                        ; implicit-def: $vgpr32
.LBB27_442:
	ds_load_b32 v32, v125
.LBB27_443:
	s_mov_b32 s3, exec_lo
	v_cmpx_ne_u32_e32 3, v0
	s_cbranch_execz .LBB27_447
; %bb.444:
	v_mov_b64_e32 v[30:31], v[0:1]
	v_lshl_add_u32 v33, v0, 2, 0x74
	s_mov_b32 s4, 0
.LBB27_445:                             ; =>This Inner Loop Header: Depth=1
	s_delay_alu instid0(VALU_DEP_2)
	v_add_nc_u64_e32 v[30:31], 1, v[30:31]
	ds_load_b32 v37, v33
	v_add_nc_u32_e32 v33, 4, v33
	v_cmp_eq_u32_e32 vcc_lo, 1, v30
	v_cndmask_b32_e32 v36, v2, v3, vcc_lo
	v_cmp_eq_u32_e32 vcc_lo, 2, v30
	s_delay_alu instid0(VALU_DEP_2) | instskip(SKIP_1) | instid1(VALU_DEP_2)
	v_cndmask_b32_e32 v36, v36, v4, vcc_lo
	v_cmp_eq_u32_e32 vcc_lo, 3, v30
	v_cndmask_b32_e32 v36, v36, v5, vcc_lo
	v_cmp_eq_u32_e32 vcc_lo, 4, v30
	s_delay_alu instid0(VALU_DEP_2) | instskip(SKIP_1) | instid1(VALU_DEP_2)
	v_cndmask_b32_e32 v36, v36, v6, vcc_lo
	;; [unrolled: 5-line block ×13, first 2 shown]
	v_cmp_eq_u32_e32 vcc_lo, 27, v30
	v_cndmask_b32_e32 v36, v36, v29, vcc_lo
	v_cmp_lt_u32_e32 vcc_lo, 2, v30
	s_wait_dscnt 0x0
	s_delay_alu instid0(VALU_DEP_2) | instskip(SKIP_1) | instid1(SALU_CYCLE_1)
	v_fmac_f32_e32 v32, v36, v37
	s_or_b32 s4, vcc_lo, s4
	s_and_not1_b32 exec_lo, exec_lo, s4
	s_cbranch_execnz .LBB27_445
; %bb.446:
	s_or_b32 exec_lo, exec_lo, s4
.LBB27_447:
	s_delay_alu instid0(SALU_CYCLE_1)
	s_or_b32 exec_lo, exec_lo, s3
	v_mov_b32_e32 v6, 0
	ds_load_b32 v6, v6 offset:16
	s_wait_dscnt 0x0
	v_mul_f32_e32 v6, v32, v6
.LBB27_448:
	s_or_b32 exec_lo, exec_lo, s2
	v_cmp_gt_u32_e64 s2, 5, v0
	ds_store_b32 v125, v7
	s_wait_dscnt 0x0
	s_barrier_signal -1
	s_barrier_wait -1
	s_and_saveexec_b32 s3, s2
	s_cbranch_execz .LBB27_458
; %bb.449:
	v_cmp_ne_u32_e32 vcc_lo, 1, v34
	s_cbranch_vccnz .LBB27_451
; %bb.450:
	v_cmp_eq_u32_e32 vcc_lo, 1, v0
	ds_load_b32 v31, v125
	v_cndmask_b32_e32 v30, v2, v3, vcc_lo
	v_cmp_eq_u32_e32 vcc_lo, 2, v0
	s_delay_alu instid0(VALU_DEP_2) | instskip(SKIP_1) | instid1(VALU_DEP_2)
	v_cndmask_b32_e32 v30, v30, v4, vcc_lo
	v_cmp_eq_u32_e32 vcc_lo, 3, v0
	v_cndmask_b32_e32 v30, v30, v5, vcc_lo
	v_cmp_eq_u32_e32 vcc_lo, 4, v0
	s_delay_alu instid0(VALU_DEP_2) | instskip(SKIP_1) | instid1(VALU_DEP_2)
	v_cndmask_b32_e32 v30, v30, v6, vcc_lo
	v_cmp_eq_u32_e32 vcc_lo, 5, v0
	;; [unrolled: 5-line block ×13, first 2 shown]
	v_cndmask_b32_e32 v30, v30, v29, vcc_lo
	s_wait_dscnt 0x0
	s_delay_alu instid0(VALU_DEP_1)
	v_mul_f32_e32 v32, v30, v31
	s_cbranch_execz .LBB27_452
	s_branch .LBB27_453
.LBB27_451:
                                        ; implicit-def: $vgpr32
.LBB27_452:
	ds_load_b32 v32, v125
.LBB27_453:
	s_mov_b32 s4, exec_lo
	v_cmpx_ne_u32_e32 4, v0
	s_cbranch_execz .LBB27_457
; %bb.454:
	v_mov_b64_e32 v[30:31], v[0:1]
	v_lshl_add_u32 v33, v0, 2, 0x74
	s_mov_b32 s5, 0
.LBB27_455:                             ; =>This Inner Loop Header: Depth=1
	s_delay_alu instid0(VALU_DEP_2)
	v_add_nc_u64_e32 v[30:31], 1, v[30:31]
	ds_load_b32 v37, v33
	v_add_nc_u32_e32 v33, 4, v33
	v_cmp_eq_u32_e32 vcc_lo, 1, v30
	v_cndmask_b32_e32 v36, v2, v3, vcc_lo
	v_cmp_eq_u32_e32 vcc_lo, 2, v30
	s_delay_alu instid0(VALU_DEP_2) | instskip(SKIP_1) | instid1(VALU_DEP_2)
	v_cndmask_b32_e32 v36, v36, v4, vcc_lo
	v_cmp_eq_u32_e32 vcc_lo, 3, v30
	v_cndmask_b32_e32 v36, v36, v5, vcc_lo
	v_cmp_eq_u32_e32 vcc_lo, 4, v30
	s_delay_alu instid0(VALU_DEP_2) | instskip(SKIP_1) | instid1(VALU_DEP_2)
	v_cndmask_b32_e32 v36, v36, v6, vcc_lo
	;; [unrolled: 5-line block ×13, first 2 shown]
	v_cmp_eq_u32_e32 vcc_lo, 27, v30
	v_cndmask_b32_e32 v36, v36, v29, vcc_lo
	v_cmp_lt_u32_e32 vcc_lo, 3, v30
	s_wait_dscnt 0x0
	s_delay_alu instid0(VALU_DEP_2) | instskip(SKIP_1) | instid1(SALU_CYCLE_1)
	v_fmac_f32_e32 v32, v36, v37
	s_or_b32 s5, vcc_lo, s5
	s_and_not1_b32 exec_lo, exec_lo, s5
	s_cbranch_execnz .LBB27_455
; %bb.456:
	s_or_b32 exec_lo, exec_lo, s5
.LBB27_457:
	s_delay_alu instid0(SALU_CYCLE_1)
	s_or_b32 exec_lo, exec_lo, s4
	v_mov_b32_e32 v7, 0
	ds_load_b32 v7, v7 offset:20
	s_wait_dscnt 0x0
	v_mul_f32_e32 v7, v32, v7
.LBB27_458:
	s_or_b32 exec_lo, exec_lo, s3
	s_delay_alu instid0(SALU_CYCLE_1)
	s_mov_b32 s3, exec_lo
	ds_store_b32 v125, v8
	s_wait_dscnt 0x0
	s_barrier_signal -1
	s_barrier_wait -1
	v_cmpx_gt_u32_e32 6, v0
	s_cbranch_execz .LBB27_468
; %bb.459:
	v_cmp_ne_u32_e32 vcc_lo, 1, v34
	s_cbranch_vccnz .LBB27_461
; %bb.460:
	v_cmp_eq_u32_e32 vcc_lo, 1, v0
	ds_load_b32 v31, v125
	v_cndmask_b32_e32 v30, v2, v3, vcc_lo
	v_cmp_eq_u32_e32 vcc_lo, 2, v0
	s_delay_alu instid0(VALU_DEP_2) | instskip(SKIP_1) | instid1(VALU_DEP_2)
	v_cndmask_b32_e32 v30, v30, v4, vcc_lo
	v_cmp_eq_u32_e32 vcc_lo, 3, v0
	v_cndmask_b32_e32 v30, v30, v5, vcc_lo
	v_cmp_eq_u32_e32 vcc_lo, 4, v0
	s_delay_alu instid0(VALU_DEP_2) | instskip(SKIP_1) | instid1(VALU_DEP_2)
	v_cndmask_b32_e32 v30, v30, v6, vcc_lo
	v_cmp_eq_u32_e32 vcc_lo, 5, v0
	;; [unrolled: 5-line block ×13, first 2 shown]
	v_cndmask_b32_e32 v30, v30, v29, vcc_lo
	s_wait_dscnt 0x0
	s_delay_alu instid0(VALU_DEP_1)
	v_mul_f32_e32 v32, v30, v31
	s_cbranch_execz .LBB27_462
	s_branch .LBB27_463
.LBB27_461:
                                        ; implicit-def: $vgpr32
.LBB27_462:
	ds_load_b32 v32, v125
.LBB27_463:
	s_mov_b32 s4, exec_lo
	v_cmpx_ne_u32_e32 5, v0
	s_cbranch_execz .LBB27_467
; %bb.464:
	v_mov_b64_e32 v[30:31], v[0:1]
	v_lshl_add_u32 v33, v0, 2, 0x74
	s_mov_b32 s5, 0
.LBB27_465:                             ; =>This Inner Loop Header: Depth=1
	s_delay_alu instid0(VALU_DEP_2)
	v_add_nc_u64_e32 v[30:31], 1, v[30:31]
	ds_load_b32 v37, v33
	v_add_nc_u32_e32 v33, 4, v33
	v_cmp_eq_u32_e32 vcc_lo, 1, v30
	v_cndmask_b32_e32 v36, v2, v3, vcc_lo
	v_cmp_eq_u32_e32 vcc_lo, 2, v30
	s_delay_alu instid0(VALU_DEP_2) | instskip(SKIP_1) | instid1(VALU_DEP_2)
	v_cndmask_b32_e32 v36, v36, v4, vcc_lo
	v_cmp_eq_u32_e32 vcc_lo, 3, v30
	v_cndmask_b32_e32 v36, v36, v5, vcc_lo
	v_cmp_eq_u32_e32 vcc_lo, 4, v30
	s_delay_alu instid0(VALU_DEP_2) | instskip(SKIP_1) | instid1(VALU_DEP_2)
	v_cndmask_b32_e32 v36, v36, v6, vcc_lo
	;; [unrolled: 5-line block ×13, first 2 shown]
	v_cmp_eq_u32_e32 vcc_lo, 27, v30
	v_cndmask_b32_e32 v36, v36, v29, vcc_lo
	v_cmp_lt_u32_e32 vcc_lo, 4, v30
	s_wait_dscnt 0x0
	s_delay_alu instid0(VALU_DEP_2) | instskip(SKIP_1) | instid1(SALU_CYCLE_1)
	v_fmac_f32_e32 v32, v36, v37
	s_or_b32 s5, vcc_lo, s5
	s_and_not1_b32 exec_lo, exec_lo, s5
	s_cbranch_execnz .LBB27_465
; %bb.466:
	s_or_b32 exec_lo, exec_lo, s5
.LBB27_467:
	s_delay_alu instid0(SALU_CYCLE_1)
	s_or_b32 exec_lo, exec_lo, s4
	v_mov_b32_e32 v8, 0
	ds_load_b32 v8, v8 offset:24
	s_wait_dscnt 0x0
	v_mul_f32_e32 v8, v32, v8
.LBB27_468:
	s_or_b32 exec_lo, exec_lo, s3
	v_cmp_gt_u32_e64 s3, 7, v0
	ds_store_b32 v125, v9
	s_wait_dscnt 0x0
	s_barrier_signal -1
	s_barrier_wait -1
	s_and_saveexec_b32 s4, s3
	s_cbranch_execz .LBB27_478
; %bb.469:
	v_cmp_ne_u32_e32 vcc_lo, 1, v34
	s_cbranch_vccnz .LBB27_471
; %bb.470:
	v_cmp_eq_u32_e32 vcc_lo, 1, v0
	ds_load_b32 v31, v125
	v_cndmask_b32_e32 v30, v2, v3, vcc_lo
	v_cmp_eq_u32_e32 vcc_lo, 2, v0
	s_delay_alu instid0(VALU_DEP_2) | instskip(SKIP_1) | instid1(VALU_DEP_2)
	v_cndmask_b32_e32 v30, v30, v4, vcc_lo
	v_cmp_eq_u32_e32 vcc_lo, 3, v0
	v_cndmask_b32_e32 v30, v30, v5, vcc_lo
	v_cmp_eq_u32_e32 vcc_lo, 4, v0
	s_delay_alu instid0(VALU_DEP_2) | instskip(SKIP_1) | instid1(VALU_DEP_2)
	v_cndmask_b32_e32 v30, v30, v6, vcc_lo
	v_cmp_eq_u32_e32 vcc_lo, 5, v0
	;; [unrolled: 5-line block ×13, first 2 shown]
	v_cndmask_b32_e32 v30, v30, v29, vcc_lo
	s_wait_dscnt 0x0
	s_delay_alu instid0(VALU_DEP_1)
	v_mul_f32_e32 v32, v30, v31
	s_cbranch_execz .LBB27_472
	s_branch .LBB27_473
.LBB27_471:
                                        ; implicit-def: $vgpr32
.LBB27_472:
	ds_load_b32 v32, v125
.LBB27_473:
	s_mov_b32 s5, exec_lo
	v_cmpx_ne_u32_e32 6, v0
	s_cbranch_execz .LBB27_477
; %bb.474:
	v_mov_b64_e32 v[30:31], v[0:1]
	v_lshl_add_u32 v33, v0, 2, 0x74
	s_mov_b32 s6, 0
.LBB27_475:                             ; =>This Inner Loop Header: Depth=1
	s_delay_alu instid0(VALU_DEP_2)
	v_add_nc_u64_e32 v[30:31], 1, v[30:31]
	ds_load_b32 v37, v33
	v_add_nc_u32_e32 v33, 4, v33
	v_cmp_eq_u32_e32 vcc_lo, 1, v30
	v_cndmask_b32_e32 v36, v2, v3, vcc_lo
	v_cmp_eq_u32_e32 vcc_lo, 2, v30
	s_delay_alu instid0(VALU_DEP_2) | instskip(SKIP_1) | instid1(VALU_DEP_2)
	v_cndmask_b32_e32 v36, v36, v4, vcc_lo
	v_cmp_eq_u32_e32 vcc_lo, 3, v30
	v_cndmask_b32_e32 v36, v36, v5, vcc_lo
	v_cmp_eq_u32_e32 vcc_lo, 4, v30
	s_delay_alu instid0(VALU_DEP_2) | instskip(SKIP_1) | instid1(VALU_DEP_2)
	v_cndmask_b32_e32 v36, v36, v6, vcc_lo
	;; [unrolled: 5-line block ×13, first 2 shown]
	v_cmp_eq_u32_e32 vcc_lo, 27, v30
	v_cndmask_b32_e32 v36, v36, v29, vcc_lo
	v_cmp_lt_u32_e32 vcc_lo, 5, v30
	s_wait_dscnt 0x0
	s_delay_alu instid0(VALU_DEP_2) | instskip(SKIP_1) | instid1(SALU_CYCLE_1)
	v_fmac_f32_e32 v32, v36, v37
	s_or_b32 s6, vcc_lo, s6
	s_and_not1_b32 exec_lo, exec_lo, s6
	s_cbranch_execnz .LBB27_475
; %bb.476:
	s_or_b32 exec_lo, exec_lo, s6
.LBB27_477:
	s_delay_alu instid0(SALU_CYCLE_1)
	s_or_b32 exec_lo, exec_lo, s5
	v_mov_b32_e32 v9, 0
	ds_load_b32 v9, v9 offset:28
	s_wait_dscnt 0x0
	v_mul_f32_e32 v9, v32, v9
.LBB27_478:
	s_or_b32 exec_lo, exec_lo, s4
	s_delay_alu instid0(SALU_CYCLE_1)
	s_mov_b32 s4, exec_lo
	ds_store_b32 v125, v10
	s_wait_dscnt 0x0
	s_barrier_signal -1
	s_barrier_wait -1
	v_cmpx_gt_u32_e32 8, v0
	s_cbranch_execz .LBB27_488
; %bb.479:
	v_cmp_ne_u32_e32 vcc_lo, 1, v34
	s_cbranch_vccnz .LBB27_481
; %bb.480:
	v_cmp_eq_u32_e32 vcc_lo, 1, v0
	ds_load_b32 v31, v125
	v_cndmask_b32_e32 v30, v2, v3, vcc_lo
	v_cmp_eq_u32_e32 vcc_lo, 2, v0
	s_delay_alu instid0(VALU_DEP_2) | instskip(SKIP_1) | instid1(VALU_DEP_2)
	v_cndmask_b32_e32 v30, v30, v4, vcc_lo
	v_cmp_eq_u32_e32 vcc_lo, 3, v0
	v_cndmask_b32_e32 v30, v30, v5, vcc_lo
	v_cmp_eq_u32_e32 vcc_lo, 4, v0
	s_delay_alu instid0(VALU_DEP_2) | instskip(SKIP_1) | instid1(VALU_DEP_2)
	v_cndmask_b32_e32 v30, v30, v6, vcc_lo
	v_cmp_eq_u32_e32 vcc_lo, 5, v0
	;; [unrolled: 5-line block ×13, first 2 shown]
	v_cndmask_b32_e32 v30, v30, v29, vcc_lo
	s_wait_dscnt 0x0
	s_delay_alu instid0(VALU_DEP_1)
	v_mul_f32_e32 v32, v30, v31
	s_cbranch_execz .LBB27_482
	s_branch .LBB27_483
.LBB27_481:
                                        ; implicit-def: $vgpr32
.LBB27_482:
	ds_load_b32 v32, v125
.LBB27_483:
	s_mov_b32 s5, exec_lo
	v_cmpx_ne_u32_e32 7, v0
	s_cbranch_execz .LBB27_487
; %bb.484:
	v_mov_b64_e32 v[30:31], v[0:1]
	v_lshl_add_u32 v33, v0, 2, 0x74
	s_mov_b32 s6, 0
.LBB27_485:                             ; =>This Inner Loop Header: Depth=1
	s_delay_alu instid0(VALU_DEP_2)
	v_add_nc_u64_e32 v[30:31], 1, v[30:31]
	ds_load_b32 v37, v33
	v_add_nc_u32_e32 v33, 4, v33
	v_cmp_eq_u32_e32 vcc_lo, 1, v30
	v_cndmask_b32_e32 v36, v2, v3, vcc_lo
	v_cmp_eq_u32_e32 vcc_lo, 2, v30
	s_delay_alu instid0(VALU_DEP_2) | instskip(SKIP_1) | instid1(VALU_DEP_2)
	v_cndmask_b32_e32 v36, v36, v4, vcc_lo
	v_cmp_eq_u32_e32 vcc_lo, 3, v30
	v_cndmask_b32_e32 v36, v36, v5, vcc_lo
	v_cmp_eq_u32_e32 vcc_lo, 4, v30
	s_delay_alu instid0(VALU_DEP_2) | instskip(SKIP_1) | instid1(VALU_DEP_2)
	v_cndmask_b32_e32 v36, v36, v6, vcc_lo
	v_cmp_eq_u32_e32 vcc_lo, 5, v30
	v_cndmask_b32_e32 v36, v36, v7, vcc_lo
	v_cmp_eq_u32_e32 vcc_lo, 6, v30
	s_delay_alu instid0(VALU_DEP_2) | instskip(SKIP_1) | instid1(VALU_DEP_2)
	v_cndmask_b32_e32 v36, v36, v8, vcc_lo
	v_cmp_eq_u32_e32 vcc_lo, 7, v30
	v_cndmask_b32_e32 v36, v36, v9, vcc_lo
	v_cmp_eq_u32_e32 vcc_lo, 8, v30
	s_delay_alu instid0(VALU_DEP_2) | instskip(SKIP_1) | instid1(VALU_DEP_2)
	v_cndmask_b32_e32 v36, v36, v10, vcc_lo
	v_cmp_eq_u32_e32 vcc_lo, 9, v30
	v_cndmask_b32_e32 v36, v36, v11, vcc_lo
	v_cmp_eq_u32_e32 vcc_lo, 10, v30
	s_delay_alu instid0(VALU_DEP_2) | instskip(SKIP_1) | instid1(VALU_DEP_2)
	v_cndmask_b32_e32 v36, v36, v12, vcc_lo
	v_cmp_eq_u32_e32 vcc_lo, 11, v30
	v_cndmask_b32_e32 v36, v36, v13, vcc_lo
	v_cmp_eq_u32_e32 vcc_lo, 12, v30
	s_delay_alu instid0(VALU_DEP_2) | instskip(SKIP_1) | instid1(VALU_DEP_2)
	v_cndmask_b32_e32 v36, v36, v14, vcc_lo
	v_cmp_eq_u32_e32 vcc_lo, 13, v30
	v_cndmask_b32_e32 v36, v36, v15, vcc_lo
	v_cmp_eq_u32_e32 vcc_lo, 14, v30
	s_delay_alu instid0(VALU_DEP_2) | instskip(SKIP_1) | instid1(VALU_DEP_2)
	v_cndmask_b32_e32 v36, v36, v16, vcc_lo
	v_cmp_eq_u32_e32 vcc_lo, 15, v30
	v_cndmask_b32_e32 v36, v36, v17, vcc_lo
	v_cmp_eq_u32_e32 vcc_lo, 16, v30
	s_delay_alu instid0(VALU_DEP_2) | instskip(SKIP_1) | instid1(VALU_DEP_2)
	v_cndmask_b32_e32 v36, v36, v18, vcc_lo
	v_cmp_eq_u32_e32 vcc_lo, 17, v30
	v_cndmask_b32_e32 v36, v36, v19, vcc_lo
	v_cmp_eq_u32_e32 vcc_lo, 18, v30
	s_delay_alu instid0(VALU_DEP_2) | instskip(SKIP_1) | instid1(VALU_DEP_2)
	v_cndmask_b32_e32 v36, v36, v20, vcc_lo
	v_cmp_eq_u32_e32 vcc_lo, 19, v30
	v_cndmask_b32_e32 v36, v36, v21, vcc_lo
	v_cmp_eq_u32_e32 vcc_lo, 20, v30
	s_delay_alu instid0(VALU_DEP_2) | instskip(SKIP_1) | instid1(VALU_DEP_2)
	v_cndmask_b32_e32 v36, v36, v22, vcc_lo
	v_cmp_eq_u32_e32 vcc_lo, 21, v30
	v_cndmask_b32_e32 v36, v36, v23, vcc_lo
	v_cmp_eq_u32_e32 vcc_lo, 22, v30
	s_delay_alu instid0(VALU_DEP_2) | instskip(SKIP_1) | instid1(VALU_DEP_2)
	v_cndmask_b32_e32 v36, v36, v24, vcc_lo
	v_cmp_eq_u32_e32 vcc_lo, 23, v30
	v_cndmask_b32_e32 v36, v36, v25, vcc_lo
	v_cmp_eq_u32_e32 vcc_lo, 24, v30
	s_delay_alu instid0(VALU_DEP_2) | instskip(SKIP_1) | instid1(VALU_DEP_2)
	v_cndmask_b32_e32 v36, v36, v26, vcc_lo
	v_cmp_eq_u32_e32 vcc_lo, 25, v30
	v_cndmask_b32_e32 v36, v36, v27, vcc_lo
	v_cmp_eq_u32_e32 vcc_lo, 26, v30
	s_delay_alu instid0(VALU_DEP_2) | instskip(SKIP_1) | instid1(VALU_DEP_2)
	v_cndmask_b32_e32 v36, v36, v28, vcc_lo
	v_cmp_eq_u32_e32 vcc_lo, 27, v30
	v_cndmask_b32_e32 v36, v36, v29, vcc_lo
	v_cmp_lt_u32_e32 vcc_lo, 6, v30
	s_wait_dscnt 0x0
	s_delay_alu instid0(VALU_DEP_2) | instskip(SKIP_1) | instid1(SALU_CYCLE_1)
	v_fmac_f32_e32 v32, v36, v37
	s_or_b32 s6, vcc_lo, s6
	s_and_not1_b32 exec_lo, exec_lo, s6
	s_cbranch_execnz .LBB27_485
; %bb.486:
	s_or_b32 exec_lo, exec_lo, s6
.LBB27_487:
	s_delay_alu instid0(SALU_CYCLE_1)
	s_or_b32 exec_lo, exec_lo, s5
	v_mov_b32_e32 v10, 0
	ds_load_b32 v10, v10 offset:32
	s_wait_dscnt 0x0
	v_mul_f32_e32 v10, v32, v10
.LBB27_488:
	s_or_b32 exec_lo, exec_lo, s4
	s_delay_alu instid0(SALU_CYCLE_1)
	s_mov_b32 s4, exec_lo
	ds_store_b32 v125, v11
	s_wait_dscnt 0x0
	s_barrier_signal -1
	s_barrier_wait -1
	v_cmpx_gt_u32_e32 9, v0
	s_cbranch_execz .LBB27_510
; %bb.489:
	v_cmp_ne_u32_e32 vcc_lo, 1, v34
	s_cbranch_vccnz .LBB27_491
; %bb.490:
	v_cmp_eq_u32_e32 vcc_lo, 1, v0
	ds_load_b32 v31, v125
	v_cndmask_b32_e32 v30, v2, v3, vcc_lo
	v_cmp_eq_u32_e32 vcc_lo, 2, v0
	s_delay_alu instid0(VALU_DEP_2) | instskip(SKIP_1) | instid1(VALU_DEP_2)
	v_cndmask_b32_e32 v30, v30, v4, vcc_lo
	v_cmp_eq_u32_e32 vcc_lo, 3, v0
	v_cndmask_b32_e32 v30, v30, v5, vcc_lo
	v_cmp_eq_u32_e32 vcc_lo, 4, v0
	s_delay_alu instid0(VALU_DEP_2) | instskip(SKIP_1) | instid1(VALU_DEP_2)
	v_cndmask_b32_e32 v30, v30, v6, vcc_lo
	v_cmp_eq_u32_e32 vcc_lo, 5, v0
	;; [unrolled: 5-line block ×13, first 2 shown]
	v_cndmask_b32_e32 v30, v30, v29, vcc_lo
	s_wait_dscnt 0x0
	s_delay_alu instid0(VALU_DEP_1)
	v_mul_f32_e32 v30, v30, v31
	s_cbranch_execz .LBB27_492
	s_branch .LBB27_493
.LBB27_491:
                                        ; implicit-def: $vgpr30
.LBB27_492:
	ds_load_b32 v30, v125
.LBB27_493:
	s_mov_b32 s5, exec_lo
	v_cmpx_ne_u32_e32 8, v0
	s_cbranch_execz .LBB27_509
; %bb.494:
	v_cmp_eq_u32_e32 vcc_lo, 1, v35
	ds_load_b32 v32, v125 offset:4
	v_cndmask_b32_e32 v31, v2, v3, vcc_lo
	v_cmp_eq_u32_e32 vcc_lo, 2, v35
	s_delay_alu instid0(VALU_DEP_2) | instskip(SKIP_1) | instid1(VALU_DEP_2)
	v_cndmask_b32_e32 v31, v31, v4, vcc_lo
	v_cmp_eq_u32_e32 vcc_lo, 3, v35
	v_cndmask_b32_e32 v31, v31, v5, vcc_lo
	v_cmp_eq_u32_e32 vcc_lo, 4, v35
	s_delay_alu instid0(VALU_DEP_2) | instskip(SKIP_1) | instid1(VALU_DEP_2)
	v_cndmask_b32_e32 v31, v31, v6, vcc_lo
	v_cmp_eq_u32_e32 vcc_lo, 5, v35
	v_cndmask_b32_e32 v31, v31, v7, vcc_lo
	v_cmp_eq_u32_e32 vcc_lo, 6, v35
	s_delay_alu instid0(VALU_DEP_2) | instskip(SKIP_1) | instid1(VALU_DEP_2)
	v_cndmask_b32_e32 v31, v31, v8, vcc_lo
	v_cmp_eq_u32_e32 vcc_lo, 7, v35
	v_cndmask_b32_e32 v31, v31, v9, vcc_lo
	v_cmp_eq_u32_e32 vcc_lo, 8, v35
	s_delay_alu instid0(VALU_DEP_2) | instskip(SKIP_1) | instid1(VALU_DEP_2)
	v_cndmask_b32_e32 v31, v31, v10, vcc_lo
	v_cmp_eq_u32_e32 vcc_lo, 9, v35
	v_cndmask_b32_e32 v31, v31, v11, vcc_lo
	v_cmp_eq_u32_e32 vcc_lo, 10, v35
	s_delay_alu instid0(VALU_DEP_2) | instskip(SKIP_1) | instid1(VALU_DEP_2)
	v_cndmask_b32_e32 v31, v31, v12, vcc_lo
	v_cmp_eq_u32_e32 vcc_lo, 11, v35
	v_cndmask_b32_e32 v31, v31, v13, vcc_lo
	v_cmp_eq_u32_e32 vcc_lo, 12, v35
	s_delay_alu instid0(VALU_DEP_2) | instskip(SKIP_1) | instid1(VALU_DEP_2)
	v_cndmask_b32_e32 v31, v31, v14, vcc_lo
	v_cmp_eq_u32_e32 vcc_lo, 13, v35
	v_cndmask_b32_e32 v31, v31, v15, vcc_lo
	v_cmp_eq_u32_e32 vcc_lo, 14, v35
	s_delay_alu instid0(VALU_DEP_2) | instskip(SKIP_1) | instid1(VALU_DEP_2)
	v_cndmask_b32_e32 v31, v31, v16, vcc_lo
	v_cmp_eq_u32_e32 vcc_lo, 15, v35
	v_cndmask_b32_e32 v31, v31, v17, vcc_lo
	v_cmp_eq_u32_e32 vcc_lo, 16, v35
	s_delay_alu instid0(VALU_DEP_2) | instskip(SKIP_1) | instid1(VALU_DEP_2)
	v_cndmask_b32_e32 v31, v31, v18, vcc_lo
	v_cmp_eq_u32_e32 vcc_lo, 17, v35
	v_cndmask_b32_e32 v31, v31, v19, vcc_lo
	v_cmp_eq_u32_e32 vcc_lo, 18, v35
	s_delay_alu instid0(VALU_DEP_2) | instskip(SKIP_1) | instid1(VALU_DEP_2)
	v_cndmask_b32_e32 v31, v31, v20, vcc_lo
	v_cmp_eq_u32_e32 vcc_lo, 19, v35
	v_cndmask_b32_e32 v31, v31, v21, vcc_lo
	v_cmp_eq_u32_e32 vcc_lo, 20, v35
	s_delay_alu instid0(VALU_DEP_2) | instskip(SKIP_1) | instid1(VALU_DEP_2)
	v_cndmask_b32_e32 v31, v31, v22, vcc_lo
	v_cmp_eq_u32_e32 vcc_lo, 21, v35
	v_cndmask_b32_e32 v31, v31, v23, vcc_lo
	v_cmp_eq_u32_e32 vcc_lo, 22, v35
	s_delay_alu instid0(VALU_DEP_2) | instskip(SKIP_1) | instid1(VALU_DEP_2)
	v_cndmask_b32_e32 v31, v31, v24, vcc_lo
	v_cmp_eq_u32_e32 vcc_lo, 23, v35
	v_cndmask_b32_e32 v31, v31, v25, vcc_lo
	v_cmp_eq_u32_e32 vcc_lo, 24, v35
	s_delay_alu instid0(VALU_DEP_2) | instskip(SKIP_1) | instid1(VALU_DEP_2)
	v_cndmask_b32_e32 v31, v31, v26, vcc_lo
	v_cmp_eq_u32_e32 vcc_lo, 25, v35
	v_cndmask_b32_e32 v31, v31, v27, vcc_lo
	v_cmp_eq_u32_e32 vcc_lo, 26, v35
	s_delay_alu instid0(VALU_DEP_2) | instskip(SKIP_1) | instid1(VALU_DEP_2)
	v_cndmask_b32_e32 v31, v31, v28, vcc_lo
	v_cmp_eq_u32_e32 vcc_lo, 27, v35
	v_cndmask_b32_e32 v31, v31, v29, vcc_lo
	s_wait_dscnt 0x0
	s_delay_alu instid0(VALU_DEP_1)
	v_fmac_f32_e32 v30, v31, v32
	s_and_saveexec_b32 s6, s3
	s_cbranch_execz .LBB27_508
; %bb.495:
	v_add_nc_u32_e32 v31, 2, v0
	ds_load_b32 v33, v125 offset:8
	s_mov_b32 s3, exec_lo
	v_cmp_eq_u32_e32 vcc_lo, 1, v31
	v_cndmask_b32_e32 v32, v2, v3, vcc_lo
	v_cmp_eq_u32_e32 vcc_lo, 2, v31
	s_delay_alu instid0(VALU_DEP_2) | instskip(SKIP_1) | instid1(VALU_DEP_2)
	v_cndmask_b32_e32 v32, v32, v4, vcc_lo
	v_cmp_eq_u32_e32 vcc_lo, 3, v31
	v_cndmask_b32_e32 v32, v32, v5, vcc_lo
	v_cmp_eq_u32_e32 vcc_lo, 4, v31
	s_delay_alu instid0(VALU_DEP_2) | instskip(SKIP_1) | instid1(VALU_DEP_2)
	v_cndmask_b32_e32 v32, v32, v6, vcc_lo
	v_cmp_eq_u32_e32 vcc_lo, 5, v31
	v_cndmask_b32_e32 v32, v32, v7, vcc_lo
	v_cmp_eq_u32_e32 vcc_lo, 6, v31
	s_delay_alu instid0(VALU_DEP_2) | instskip(SKIP_1) | instid1(VALU_DEP_2)
	v_cndmask_b32_e32 v32, v32, v8, vcc_lo
	v_cmp_eq_u32_e32 vcc_lo, 7, v31
	v_cndmask_b32_e32 v32, v32, v9, vcc_lo
	v_cmp_eq_u32_e32 vcc_lo, 8, v31
	s_delay_alu instid0(VALU_DEP_2) | instskip(SKIP_1) | instid1(VALU_DEP_2)
	v_cndmask_b32_e32 v32, v32, v10, vcc_lo
	v_cmp_eq_u32_e32 vcc_lo, 9, v31
	v_cndmask_b32_e32 v32, v32, v11, vcc_lo
	v_cmp_eq_u32_e32 vcc_lo, 10, v31
	s_delay_alu instid0(VALU_DEP_2) | instskip(SKIP_1) | instid1(VALU_DEP_2)
	v_cndmask_b32_e32 v32, v32, v12, vcc_lo
	v_cmp_eq_u32_e32 vcc_lo, 11, v31
	v_cndmask_b32_e32 v32, v32, v13, vcc_lo
	v_cmp_eq_u32_e32 vcc_lo, 12, v31
	s_delay_alu instid0(VALU_DEP_2) | instskip(SKIP_1) | instid1(VALU_DEP_2)
	v_cndmask_b32_e32 v32, v32, v14, vcc_lo
	v_cmp_eq_u32_e32 vcc_lo, 13, v31
	v_cndmask_b32_e32 v32, v32, v15, vcc_lo
	v_cmp_eq_u32_e32 vcc_lo, 14, v31
	s_delay_alu instid0(VALU_DEP_2) | instskip(SKIP_1) | instid1(VALU_DEP_2)
	v_cndmask_b32_e32 v32, v32, v16, vcc_lo
	v_cmp_eq_u32_e32 vcc_lo, 15, v31
	v_cndmask_b32_e32 v32, v32, v17, vcc_lo
	v_cmp_eq_u32_e32 vcc_lo, 16, v31
	s_delay_alu instid0(VALU_DEP_2) | instskip(SKIP_1) | instid1(VALU_DEP_2)
	v_cndmask_b32_e32 v32, v32, v18, vcc_lo
	v_cmp_eq_u32_e32 vcc_lo, 17, v31
	v_cndmask_b32_e32 v32, v32, v19, vcc_lo
	v_cmp_eq_u32_e32 vcc_lo, 18, v31
	s_delay_alu instid0(VALU_DEP_2) | instskip(SKIP_1) | instid1(VALU_DEP_2)
	v_cndmask_b32_e32 v32, v32, v20, vcc_lo
	v_cmp_eq_u32_e32 vcc_lo, 19, v31
	v_cndmask_b32_e32 v32, v32, v21, vcc_lo
	v_cmp_eq_u32_e32 vcc_lo, 20, v31
	s_delay_alu instid0(VALU_DEP_2) | instskip(SKIP_1) | instid1(VALU_DEP_2)
	v_cndmask_b32_e32 v32, v32, v22, vcc_lo
	v_cmp_eq_u32_e32 vcc_lo, 21, v31
	v_cndmask_b32_e32 v32, v32, v23, vcc_lo
	v_cmp_eq_u32_e32 vcc_lo, 22, v31
	s_delay_alu instid0(VALU_DEP_2) | instskip(SKIP_1) | instid1(VALU_DEP_2)
	v_cndmask_b32_e32 v32, v32, v24, vcc_lo
	v_cmp_eq_u32_e32 vcc_lo, 23, v31
	v_cndmask_b32_e32 v32, v32, v25, vcc_lo
	v_cmp_eq_u32_e32 vcc_lo, 24, v31
	s_delay_alu instid0(VALU_DEP_2) | instskip(SKIP_1) | instid1(VALU_DEP_2)
	v_cndmask_b32_e32 v32, v32, v26, vcc_lo
	v_cmp_eq_u32_e32 vcc_lo, 25, v31
	v_cndmask_b32_e32 v32, v32, v27, vcc_lo
	v_cmp_eq_u32_e32 vcc_lo, 26, v31
	s_delay_alu instid0(VALU_DEP_2) | instskip(SKIP_1) | instid1(VALU_DEP_2)
	v_cndmask_b32_e32 v32, v32, v28, vcc_lo
	v_cmp_eq_u32_e32 vcc_lo, 27, v31
	v_cndmask_b32_e32 v31, v32, v29, vcc_lo
	s_wait_dscnt 0x0
	s_delay_alu instid0(VALU_DEP_1)
	v_fmac_f32_e32 v30, v31, v33
	v_cmpx_ne_u32_e32 6, v0
	s_cbranch_execz .LBB27_507
; %bb.496:
	v_add_nc_u32_e32 v31, 3, v0
	ds_load_b32 v33, v125 offset:12
	v_cmp_eq_u32_e32 vcc_lo, 1, v31
	v_cndmask_b32_e32 v32, v2, v3, vcc_lo
	v_cmp_eq_u32_e32 vcc_lo, 2, v31
	s_delay_alu instid0(VALU_DEP_2) | instskip(SKIP_1) | instid1(VALU_DEP_2)
	v_cndmask_b32_e32 v32, v32, v4, vcc_lo
	v_cmp_eq_u32_e32 vcc_lo, 3, v31
	v_cndmask_b32_e32 v32, v32, v5, vcc_lo
	v_cmp_eq_u32_e32 vcc_lo, 4, v31
	s_delay_alu instid0(VALU_DEP_2) | instskip(SKIP_1) | instid1(VALU_DEP_2)
	v_cndmask_b32_e32 v32, v32, v6, vcc_lo
	v_cmp_eq_u32_e32 vcc_lo, 5, v31
	v_cndmask_b32_e32 v32, v32, v7, vcc_lo
	v_cmp_eq_u32_e32 vcc_lo, 6, v31
	s_delay_alu instid0(VALU_DEP_2) | instskip(SKIP_1) | instid1(VALU_DEP_2)
	v_cndmask_b32_e32 v32, v32, v8, vcc_lo
	v_cmp_eq_u32_e32 vcc_lo, 7, v31
	v_cndmask_b32_e32 v32, v32, v9, vcc_lo
	v_cmp_eq_u32_e32 vcc_lo, 8, v31
	s_delay_alu instid0(VALU_DEP_2) | instskip(SKIP_1) | instid1(VALU_DEP_2)
	v_cndmask_b32_e32 v32, v32, v10, vcc_lo
	v_cmp_eq_u32_e32 vcc_lo, 9, v31
	v_cndmask_b32_e32 v32, v32, v11, vcc_lo
	v_cmp_eq_u32_e32 vcc_lo, 10, v31
	s_delay_alu instid0(VALU_DEP_2) | instskip(SKIP_1) | instid1(VALU_DEP_2)
	v_cndmask_b32_e32 v32, v32, v12, vcc_lo
	v_cmp_eq_u32_e32 vcc_lo, 11, v31
	v_cndmask_b32_e32 v32, v32, v13, vcc_lo
	v_cmp_eq_u32_e32 vcc_lo, 12, v31
	s_delay_alu instid0(VALU_DEP_2) | instskip(SKIP_1) | instid1(VALU_DEP_2)
	v_cndmask_b32_e32 v32, v32, v14, vcc_lo
	v_cmp_eq_u32_e32 vcc_lo, 13, v31
	v_cndmask_b32_e32 v32, v32, v15, vcc_lo
	v_cmp_eq_u32_e32 vcc_lo, 14, v31
	s_delay_alu instid0(VALU_DEP_2) | instskip(SKIP_1) | instid1(VALU_DEP_2)
	v_cndmask_b32_e32 v32, v32, v16, vcc_lo
	v_cmp_eq_u32_e32 vcc_lo, 15, v31
	v_cndmask_b32_e32 v32, v32, v17, vcc_lo
	v_cmp_eq_u32_e32 vcc_lo, 16, v31
	s_delay_alu instid0(VALU_DEP_2) | instskip(SKIP_1) | instid1(VALU_DEP_2)
	v_cndmask_b32_e32 v32, v32, v18, vcc_lo
	v_cmp_eq_u32_e32 vcc_lo, 17, v31
	v_cndmask_b32_e32 v32, v32, v19, vcc_lo
	v_cmp_eq_u32_e32 vcc_lo, 18, v31
	s_delay_alu instid0(VALU_DEP_2) | instskip(SKIP_1) | instid1(VALU_DEP_2)
	v_cndmask_b32_e32 v32, v32, v20, vcc_lo
	v_cmp_eq_u32_e32 vcc_lo, 19, v31
	v_cndmask_b32_e32 v32, v32, v21, vcc_lo
	v_cmp_eq_u32_e32 vcc_lo, 20, v31
	s_delay_alu instid0(VALU_DEP_2) | instskip(SKIP_1) | instid1(VALU_DEP_2)
	v_cndmask_b32_e32 v32, v32, v22, vcc_lo
	v_cmp_eq_u32_e32 vcc_lo, 21, v31
	v_cndmask_b32_e32 v32, v32, v23, vcc_lo
	v_cmp_eq_u32_e32 vcc_lo, 22, v31
	s_delay_alu instid0(VALU_DEP_2) | instskip(SKIP_1) | instid1(VALU_DEP_2)
	v_cndmask_b32_e32 v32, v32, v24, vcc_lo
	v_cmp_eq_u32_e32 vcc_lo, 23, v31
	v_cndmask_b32_e32 v32, v32, v25, vcc_lo
	v_cmp_eq_u32_e32 vcc_lo, 24, v31
	s_delay_alu instid0(VALU_DEP_2) | instskip(SKIP_1) | instid1(VALU_DEP_2)
	v_cndmask_b32_e32 v32, v32, v26, vcc_lo
	v_cmp_eq_u32_e32 vcc_lo, 25, v31
	v_cndmask_b32_e32 v32, v32, v27, vcc_lo
	v_cmp_eq_u32_e32 vcc_lo, 26, v31
	s_delay_alu instid0(VALU_DEP_2) | instskip(SKIP_1) | instid1(VALU_DEP_2)
	v_cndmask_b32_e32 v32, v32, v28, vcc_lo
	v_cmp_eq_u32_e32 vcc_lo, 27, v31
	v_cndmask_b32_e32 v31, v32, v29, vcc_lo
	s_wait_dscnt 0x0
	s_delay_alu instid0(VALU_DEP_1)
	v_fmac_f32_e32 v30, v31, v33
	s_and_saveexec_b32 s7, s2
	s_cbranch_execz .LBB27_506
; %bb.497:
	v_add_nc_u32_e32 v31, 4, v0
	ds_load_b32 v33, v125 offset:16
	s_mov_b32 s2, exec_lo
	v_cmp_eq_u32_e32 vcc_lo, 1, v31
	v_cndmask_b32_e32 v32, v2, v3, vcc_lo
	v_cmp_eq_u32_e32 vcc_lo, 2, v31
	s_delay_alu instid0(VALU_DEP_2) | instskip(SKIP_1) | instid1(VALU_DEP_2)
	v_cndmask_b32_e32 v32, v32, v4, vcc_lo
	v_cmp_eq_u32_e32 vcc_lo, 3, v31
	v_cndmask_b32_e32 v32, v32, v5, vcc_lo
	v_cmp_eq_u32_e32 vcc_lo, 4, v31
	s_delay_alu instid0(VALU_DEP_2) | instskip(SKIP_1) | instid1(VALU_DEP_2)
	v_cndmask_b32_e32 v32, v32, v6, vcc_lo
	;; [unrolled: 5-line block ×13, first 2 shown]
	v_cmp_eq_u32_e32 vcc_lo, 27, v31
	v_cndmask_b32_e32 v31, v32, v29, vcc_lo
	s_wait_dscnt 0x0
	s_delay_alu instid0(VALU_DEP_1)
	v_fmac_f32_e32 v30, v31, v33
	v_cmpx_ne_u32_e32 4, v0
	s_cbranch_execz .LBB27_505
; %bb.498:
	v_add_nc_u32_e32 v31, 5, v0
	ds_load_b32 v33, v125 offset:20
	v_cmp_eq_u32_e32 vcc_lo, 1, v31
	v_cndmask_b32_e32 v32, v2, v3, vcc_lo
	v_cmp_eq_u32_e32 vcc_lo, 2, v31
	s_delay_alu instid0(VALU_DEP_2) | instskip(SKIP_1) | instid1(VALU_DEP_2)
	v_cndmask_b32_e32 v32, v32, v4, vcc_lo
	v_cmp_eq_u32_e32 vcc_lo, 3, v31
	v_cndmask_b32_e32 v32, v32, v5, vcc_lo
	v_cmp_eq_u32_e32 vcc_lo, 4, v31
	s_delay_alu instid0(VALU_DEP_2) | instskip(SKIP_1) | instid1(VALU_DEP_2)
	v_cndmask_b32_e32 v32, v32, v6, vcc_lo
	;; [unrolled: 5-line block ×13, first 2 shown]
	v_cmp_eq_u32_e32 vcc_lo, 27, v31
	v_cndmask_b32_e32 v31, v32, v29, vcc_lo
	s_wait_dscnt 0x0
	s_delay_alu instid0(VALU_DEP_1)
	v_fmac_f32_e32 v30, v31, v33
	s_and_saveexec_b32 s8, s1
	s_cbranch_execz .LBB27_504
; %bb.499:
	v_add_nc_u32_e32 v31, 6, v0
	ds_load_b32 v33, v125 offset:24
	s_mov_b32 s1, exec_lo
	v_cmp_eq_u32_e32 vcc_lo, 1, v31
	v_cndmask_b32_e32 v32, v2, v3, vcc_lo
	v_cmp_eq_u32_e32 vcc_lo, 2, v31
	s_delay_alu instid0(VALU_DEP_2) | instskip(SKIP_1) | instid1(VALU_DEP_2)
	v_cndmask_b32_e32 v32, v32, v4, vcc_lo
	v_cmp_eq_u32_e32 vcc_lo, 3, v31
	v_cndmask_b32_e32 v32, v32, v5, vcc_lo
	v_cmp_eq_u32_e32 vcc_lo, 4, v31
	s_delay_alu instid0(VALU_DEP_2) | instskip(SKIP_1) | instid1(VALU_DEP_2)
	v_cndmask_b32_e32 v32, v32, v6, vcc_lo
	;; [unrolled: 5-line block ×13, first 2 shown]
	v_cmp_eq_u32_e32 vcc_lo, 27, v31
	v_cndmask_b32_e32 v31, v32, v29, vcc_lo
	s_wait_dscnt 0x0
	s_delay_alu instid0(VALU_DEP_1)
	v_fmac_f32_e32 v30, v31, v33
	v_cmpx_ne_u32_e32 2, v0
	s_cbranch_execz .LBB27_503
; %bb.500:
	v_add_nc_u32_e32 v31, 7, v0
	s_delay_alu instid0(VALU_DEP_1) | instskip(SKIP_2) | instid1(VALU_DEP_2)
	v_cmp_eq_u32_e32 vcc_lo, 1, v31
	v_cndmask_b32_e32 v32, v2, v3, vcc_lo
	v_cmp_eq_u32_e32 vcc_lo, 2, v31
	v_cndmask_b32_e32 v32, v32, v4, vcc_lo
	v_cmp_eq_u32_e32 vcc_lo, 3, v31
	s_delay_alu instid0(VALU_DEP_2) | instskip(SKIP_1) | instid1(VALU_DEP_2)
	v_cndmask_b32_e32 v32, v32, v5, vcc_lo
	v_cmp_eq_u32_e32 vcc_lo, 4, v31
	v_cndmask_b32_e32 v32, v32, v6, vcc_lo
	v_cmp_eq_u32_e32 vcc_lo, 5, v31
	s_delay_alu instid0(VALU_DEP_2) | instskip(SKIP_1) | instid1(VALU_DEP_2)
	;; [unrolled: 5-line block ×3, first 2 shown]
	v_cndmask_b32_e32 v32, v32, v9, vcc_lo
	v_cmp_eq_u32_e32 vcc_lo, 8, v31
	v_cndmask_b32_e32 v32, v32, v10, vcc_lo
	v_cmp_eq_u32_e32 vcc_lo, 9, v31
	s_delay_alu instid0(VALU_DEP_2) | instskip(SKIP_4) | instid1(VALU_DEP_2)
	v_cndmask_b32_e32 v11, v32, v11, vcc_lo
	v_cmp_eq_u32_e32 vcc_lo, 10, v31
	ds_load_b32 v32, v125 offset:28
	v_cndmask_b32_e32 v11, v11, v12, vcc_lo
	v_cmp_eq_u32_e32 vcc_lo, 11, v31
	v_cndmask_b32_e32 v11, v11, v13, vcc_lo
	v_cmp_eq_u32_e32 vcc_lo, 12, v31
	s_delay_alu instid0(VALU_DEP_2) | instskip(SKIP_1) | instid1(VALU_DEP_2)
	v_cndmask_b32_e32 v11, v11, v14, vcc_lo
	v_cmp_eq_u32_e32 vcc_lo, 13, v31
	v_cndmask_b32_e32 v11, v11, v15, vcc_lo
	v_cmp_eq_u32_e32 vcc_lo, 14, v31
	s_delay_alu instid0(VALU_DEP_2) | instskip(SKIP_1) | instid1(VALU_DEP_2)
	;; [unrolled: 5-line block ×8, first 2 shown]
	v_cndmask_b32_e32 v11, v11, v28, vcc_lo
	v_cmp_eq_u32_e32 vcc_lo, 27, v31
	v_cndmask_b32_e32 v11, v11, v29, vcc_lo
	s_wait_dscnt 0x0
	s_delay_alu instid0(VALU_DEP_1)
	v_fmac_f32_e32 v30, v11, v32
	s_and_saveexec_b32 s9, s0
	s_cbranch_execz .LBB27_502
; %bb.501:
	ds_load_b32 v11, v125 offset:32
	s_wait_dscnt 0x0
	v_fmac_f32_e32 v30, v10, v11
.LBB27_502:
	s_or_b32 exec_lo, exec_lo, s9
.LBB27_503:
	s_delay_alu instid0(SALU_CYCLE_1)
	s_or_b32 exec_lo, exec_lo, s1
.LBB27_504:
	s_delay_alu instid0(SALU_CYCLE_1)
	s_or_b32 exec_lo, exec_lo, s8
.LBB27_505:
	s_delay_alu instid0(SALU_CYCLE_1)
	s_or_b32 exec_lo, exec_lo, s2
.LBB27_506:
	s_delay_alu instid0(SALU_CYCLE_1)
	s_or_b32 exec_lo, exec_lo, s7
.LBB27_507:
	s_delay_alu instid0(SALU_CYCLE_1)
	s_or_b32 exec_lo, exec_lo, s3
.LBB27_508:
	s_delay_alu instid0(SALU_CYCLE_1)
	s_or_b32 exec_lo, exec_lo, s6
.LBB27_509:
	s_delay_alu instid0(SALU_CYCLE_1)
	s_or_b32 exec_lo, exec_lo, s5
	v_mov_b32_e32 v11, 0
	ds_load_b32 v11, v11 offset:36
	s_wait_dscnt 0x0
	v_mul_f32_e32 v11, v30, v11
.LBB27_510:
	s_or_b32 exec_lo, exec_lo, s4
	s_delay_alu instid0(SALU_CYCLE_1)
	s_mov_b32 s0, exec_lo
	ds_store_b32 v125, v12
	s_wait_dscnt 0x0
	s_barrier_signal -1
	s_barrier_wait -1
	v_cmpx_gt_u32_e32 10, v0
	s_cbranch_execz .LBB27_520
; %bb.511:
	v_cmp_ne_u32_e32 vcc_lo, 1, v34
	s_cbranch_vccnz .LBB27_513
; %bb.512:
	v_cmp_eq_u32_e32 vcc_lo, 1, v0
	ds_load_b32 v31, v125
	v_cndmask_b32_e32 v30, v2, v3, vcc_lo
	v_cmp_eq_u32_e32 vcc_lo, 2, v0
	s_delay_alu instid0(VALU_DEP_2) | instskip(SKIP_1) | instid1(VALU_DEP_2)
	v_cndmask_b32_e32 v30, v30, v4, vcc_lo
	v_cmp_eq_u32_e32 vcc_lo, 3, v0
	v_cndmask_b32_e32 v30, v30, v5, vcc_lo
	v_cmp_eq_u32_e32 vcc_lo, 4, v0
	s_delay_alu instid0(VALU_DEP_2) | instskip(SKIP_1) | instid1(VALU_DEP_2)
	v_cndmask_b32_e32 v30, v30, v6, vcc_lo
	v_cmp_eq_u32_e32 vcc_lo, 5, v0
	;; [unrolled: 5-line block ×13, first 2 shown]
	v_cndmask_b32_e32 v30, v30, v29, vcc_lo
	s_wait_dscnt 0x0
	s_delay_alu instid0(VALU_DEP_1)
	v_mul_f32_e32 v32, v30, v31
	s_cbranch_execz .LBB27_514
	s_branch .LBB27_515
.LBB27_513:
                                        ; implicit-def: $vgpr32
.LBB27_514:
	ds_load_b32 v32, v125
.LBB27_515:
	s_mov_b32 s1, exec_lo
	v_cmpx_ne_u32_e32 9, v0
	s_cbranch_execz .LBB27_519
; %bb.516:
	v_mov_b64_e32 v[30:31], v[0:1]
	v_lshl_add_u32 v33, v0, 2, 0x74
	s_mov_b32 s2, 0
.LBB27_517:                             ; =>This Inner Loop Header: Depth=1
	s_delay_alu instid0(VALU_DEP_2)
	v_add_nc_u64_e32 v[30:31], 1, v[30:31]
	ds_load_b32 v36, v33
	v_add_nc_u32_e32 v33, 4, v33
	v_cmp_eq_u32_e32 vcc_lo, 1, v30
	v_cndmask_b32_e32 v35, v2, v3, vcc_lo
	v_cmp_eq_u32_e32 vcc_lo, 2, v30
	s_delay_alu instid0(VALU_DEP_2) | instskip(SKIP_1) | instid1(VALU_DEP_2)
	v_cndmask_b32_e32 v35, v35, v4, vcc_lo
	v_cmp_eq_u32_e32 vcc_lo, 3, v30
	v_cndmask_b32_e32 v35, v35, v5, vcc_lo
	v_cmp_eq_u32_e32 vcc_lo, 4, v30
	s_delay_alu instid0(VALU_DEP_2) | instskip(SKIP_1) | instid1(VALU_DEP_2)
	v_cndmask_b32_e32 v35, v35, v6, vcc_lo
	;; [unrolled: 5-line block ×13, first 2 shown]
	v_cmp_eq_u32_e32 vcc_lo, 27, v30
	v_cndmask_b32_e32 v35, v35, v29, vcc_lo
	v_cmp_lt_u32_e32 vcc_lo, 8, v30
	s_wait_dscnt 0x0
	s_delay_alu instid0(VALU_DEP_2) | instskip(SKIP_1) | instid1(SALU_CYCLE_1)
	v_fmac_f32_e32 v32, v35, v36
	s_or_b32 s2, vcc_lo, s2
	s_and_not1_b32 exec_lo, exec_lo, s2
	s_cbranch_execnz .LBB27_517
; %bb.518:
	s_or_b32 exec_lo, exec_lo, s2
.LBB27_519:
	s_delay_alu instid0(SALU_CYCLE_1)
	s_or_b32 exec_lo, exec_lo, s1
	v_mov_b32_e32 v12, 0
	ds_load_b32 v12, v12 offset:40
	s_wait_dscnt 0x0
	v_mul_f32_e32 v12, v32, v12
.LBB27_520:
	s_or_b32 exec_lo, exec_lo, s0
	s_delay_alu instid0(SALU_CYCLE_1)
	s_mov_b32 s0, exec_lo
	ds_store_b32 v125, v13
	s_wait_dscnt 0x0
	s_barrier_signal -1
	s_barrier_wait -1
	v_cmpx_gt_u32_e32 11, v0
	s_cbranch_execz .LBB27_530
; %bb.521:
	v_cmp_ne_u32_e32 vcc_lo, 1, v34
	s_cbranch_vccnz .LBB27_523
; %bb.522:
	v_cmp_eq_u32_e32 vcc_lo, 1, v0
	ds_load_b32 v31, v125
	v_cndmask_b32_e32 v30, v2, v3, vcc_lo
	v_cmp_eq_u32_e32 vcc_lo, 2, v0
	s_delay_alu instid0(VALU_DEP_2) | instskip(SKIP_1) | instid1(VALU_DEP_2)
	v_cndmask_b32_e32 v30, v30, v4, vcc_lo
	v_cmp_eq_u32_e32 vcc_lo, 3, v0
	v_cndmask_b32_e32 v30, v30, v5, vcc_lo
	v_cmp_eq_u32_e32 vcc_lo, 4, v0
	s_delay_alu instid0(VALU_DEP_2) | instskip(SKIP_1) | instid1(VALU_DEP_2)
	v_cndmask_b32_e32 v30, v30, v6, vcc_lo
	v_cmp_eq_u32_e32 vcc_lo, 5, v0
	;; [unrolled: 5-line block ×13, first 2 shown]
	v_cndmask_b32_e32 v30, v30, v29, vcc_lo
	s_wait_dscnt 0x0
	s_delay_alu instid0(VALU_DEP_1)
	v_mul_f32_e32 v32, v30, v31
	s_cbranch_execz .LBB27_524
	s_branch .LBB27_525
.LBB27_523:
                                        ; implicit-def: $vgpr32
.LBB27_524:
	ds_load_b32 v32, v125
.LBB27_525:
	s_mov_b32 s1, exec_lo
	v_cmpx_ne_u32_e32 10, v0
	s_cbranch_execz .LBB27_529
; %bb.526:
	v_mov_b64_e32 v[30:31], v[0:1]
	v_lshl_add_u32 v33, v0, 2, 0x74
	s_mov_b32 s2, 0
.LBB27_527:                             ; =>This Inner Loop Header: Depth=1
	s_delay_alu instid0(VALU_DEP_2)
	v_add_nc_u64_e32 v[30:31], 1, v[30:31]
	ds_load_b32 v36, v33
	v_add_nc_u32_e32 v33, 4, v33
	v_cmp_eq_u32_e32 vcc_lo, 1, v30
	v_cndmask_b32_e32 v35, v2, v3, vcc_lo
	v_cmp_eq_u32_e32 vcc_lo, 2, v30
	s_delay_alu instid0(VALU_DEP_2) | instskip(SKIP_1) | instid1(VALU_DEP_2)
	v_cndmask_b32_e32 v35, v35, v4, vcc_lo
	v_cmp_eq_u32_e32 vcc_lo, 3, v30
	v_cndmask_b32_e32 v35, v35, v5, vcc_lo
	v_cmp_eq_u32_e32 vcc_lo, 4, v30
	s_delay_alu instid0(VALU_DEP_2) | instskip(SKIP_1) | instid1(VALU_DEP_2)
	v_cndmask_b32_e32 v35, v35, v6, vcc_lo
	;; [unrolled: 5-line block ×13, first 2 shown]
	v_cmp_eq_u32_e32 vcc_lo, 27, v30
	v_cndmask_b32_e32 v35, v35, v29, vcc_lo
	v_cmp_lt_u32_e32 vcc_lo, 9, v30
	s_wait_dscnt 0x0
	s_delay_alu instid0(VALU_DEP_2) | instskip(SKIP_1) | instid1(SALU_CYCLE_1)
	v_fmac_f32_e32 v32, v35, v36
	s_or_b32 s2, vcc_lo, s2
	s_and_not1_b32 exec_lo, exec_lo, s2
	s_cbranch_execnz .LBB27_527
; %bb.528:
	s_or_b32 exec_lo, exec_lo, s2
.LBB27_529:
	s_delay_alu instid0(SALU_CYCLE_1)
	s_or_b32 exec_lo, exec_lo, s1
	v_mov_b32_e32 v13, 0
	ds_load_b32 v13, v13 offset:44
	s_wait_dscnt 0x0
	v_mul_f32_e32 v13, v32, v13
.LBB27_530:
	s_or_b32 exec_lo, exec_lo, s0
	s_delay_alu instid0(SALU_CYCLE_1)
	s_mov_b32 s0, exec_lo
	ds_store_b32 v125, v14
	s_wait_dscnt 0x0
	s_barrier_signal -1
	s_barrier_wait -1
	v_cmpx_gt_u32_e32 12, v0
	s_cbranch_execz .LBB27_540
; %bb.531:
	v_cmp_ne_u32_e32 vcc_lo, 1, v34
	s_cbranch_vccnz .LBB27_533
; %bb.532:
	v_cmp_eq_u32_e32 vcc_lo, 1, v0
	ds_load_b32 v31, v125
	v_cndmask_b32_e32 v30, v2, v3, vcc_lo
	v_cmp_eq_u32_e32 vcc_lo, 2, v0
	s_delay_alu instid0(VALU_DEP_2) | instskip(SKIP_1) | instid1(VALU_DEP_2)
	v_cndmask_b32_e32 v30, v30, v4, vcc_lo
	v_cmp_eq_u32_e32 vcc_lo, 3, v0
	v_cndmask_b32_e32 v30, v30, v5, vcc_lo
	v_cmp_eq_u32_e32 vcc_lo, 4, v0
	s_delay_alu instid0(VALU_DEP_2) | instskip(SKIP_1) | instid1(VALU_DEP_2)
	v_cndmask_b32_e32 v30, v30, v6, vcc_lo
	v_cmp_eq_u32_e32 vcc_lo, 5, v0
	;; [unrolled: 5-line block ×13, first 2 shown]
	v_cndmask_b32_e32 v30, v30, v29, vcc_lo
	s_wait_dscnt 0x0
	s_delay_alu instid0(VALU_DEP_1)
	v_mul_f32_e32 v32, v30, v31
	s_cbranch_execz .LBB27_534
	s_branch .LBB27_535
.LBB27_533:
                                        ; implicit-def: $vgpr32
.LBB27_534:
	ds_load_b32 v32, v125
.LBB27_535:
	s_mov_b32 s1, exec_lo
	v_cmpx_ne_u32_e32 11, v0
	s_cbranch_execz .LBB27_539
; %bb.536:
	v_mov_b64_e32 v[30:31], v[0:1]
	v_lshl_add_u32 v33, v0, 2, 0x74
	s_mov_b32 s2, 0
.LBB27_537:                             ; =>This Inner Loop Header: Depth=1
	s_delay_alu instid0(VALU_DEP_2)
	v_add_nc_u64_e32 v[30:31], 1, v[30:31]
	ds_load_b32 v36, v33
	v_add_nc_u32_e32 v33, 4, v33
	v_cmp_eq_u32_e32 vcc_lo, 1, v30
	v_cndmask_b32_e32 v35, v2, v3, vcc_lo
	v_cmp_eq_u32_e32 vcc_lo, 2, v30
	s_delay_alu instid0(VALU_DEP_2) | instskip(SKIP_1) | instid1(VALU_DEP_2)
	v_cndmask_b32_e32 v35, v35, v4, vcc_lo
	v_cmp_eq_u32_e32 vcc_lo, 3, v30
	v_cndmask_b32_e32 v35, v35, v5, vcc_lo
	v_cmp_eq_u32_e32 vcc_lo, 4, v30
	s_delay_alu instid0(VALU_DEP_2) | instskip(SKIP_1) | instid1(VALU_DEP_2)
	v_cndmask_b32_e32 v35, v35, v6, vcc_lo
	;; [unrolled: 5-line block ×13, first 2 shown]
	v_cmp_eq_u32_e32 vcc_lo, 27, v30
	v_cndmask_b32_e32 v35, v35, v29, vcc_lo
	v_cmp_lt_u32_e32 vcc_lo, 10, v30
	s_wait_dscnt 0x0
	s_delay_alu instid0(VALU_DEP_2) | instskip(SKIP_1) | instid1(SALU_CYCLE_1)
	v_fmac_f32_e32 v32, v35, v36
	s_or_b32 s2, vcc_lo, s2
	s_and_not1_b32 exec_lo, exec_lo, s2
	s_cbranch_execnz .LBB27_537
; %bb.538:
	s_or_b32 exec_lo, exec_lo, s2
.LBB27_539:
	s_delay_alu instid0(SALU_CYCLE_1)
	s_or_b32 exec_lo, exec_lo, s1
	v_mov_b32_e32 v14, 0
	ds_load_b32 v14, v14 offset:48
	s_wait_dscnt 0x0
	v_mul_f32_e32 v14, v32, v14
.LBB27_540:
	s_or_b32 exec_lo, exec_lo, s0
	s_delay_alu instid0(SALU_CYCLE_1)
	s_mov_b32 s0, exec_lo
	ds_store_b32 v125, v15
	s_wait_dscnt 0x0
	s_barrier_signal -1
	s_barrier_wait -1
	v_cmpx_gt_u32_e32 13, v0
	s_cbranch_execz .LBB27_550
; %bb.541:
	v_cmp_ne_u32_e32 vcc_lo, 1, v34
	s_cbranch_vccnz .LBB27_543
; %bb.542:
	v_cmp_eq_u32_e32 vcc_lo, 1, v0
	ds_load_b32 v31, v125
	v_cndmask_b32_e32 v30, v2, v3, vcc_lo
	v_cmp_eq_u32_e32 vcc_lo, 2, v0
	s_delay_alu instid0(VALU_DEP_2) | instskip(SKIP_1) | instid1(VALU_DEP_2)
	v_cndmask_b32_e32 v30, v30, v4, vcc_lo
	v_cmp_eq_u32_e32 vcc_lo, 3, v0
	v_cndmask_b32_e32 v30, v30, v5, vcc_lo
	v_cmp_eq_u32_e32 vcc_lo, 4, v0
	s_delay_alu instid0(VALU_DEP_2) | instskip(SKIP_1) | instid1(VALU_DEP_2)
	v_cndmask_b32_e32 v30, v30, v6, vcc_lo
	v_cmp_eq_u32_e32 vcc_lo, 5, v0
	;; [unrolled: 5-line block ×13, first 2 shown]
	v_cndmask_b32_e32 v30, v30, v29, vcc_lo
	s_wait_dscnt 0x0
	s_delay_alu instid0(VALU_DEP_1)
	v_mul_f32_e32 v32, v30, v31
	s_cbranch_execz .LBB27_544
	s_branch .LBB27_545
.LBB27_543:
                                        ; implicit-def: $vgpr32
.LBB27_544:
	ds_load_b32 v32, v125
.LBB27_545:
	s_mov_b32 s1, exec_lo
	v_cmpx_ne_u32_e32 12, v0
	s_cbranch_execz .LBB27_549
; %bb.546:
	v_mov_b64_e32 v[30:31], v[0:1]
	v_lshl_add_u32 v33, v0, 2, 0x74
	s_mov_b32 s2, 0
.LBB27_547:                             ; =>This Inner Loop Header: Depth=1
	s_delay_alu instid0(VALU_DEP_2)
	v_add_nc_u64_e32 v[30:31], 1, v[30:31]
	ds_load_b32 v36, v33
	v_add_nc_u32_e32 v33, 4, v33
	v_cmp_eq_u32_e32 vcc_lo, 1, v30
	v_cndmask_b32_e32 v35, v2, v3, vcc_lo
	v_cmp_eq_u32_e32 vcc_lo, 2, v30
	s_delay_alu instid0(VALU_DEP_2) | instskip(SKIP_1) | instid1(VALU_DEP_2)
	v_cndmask_b32_e32 v35, v35, v4, vcc_lo
	v_cmp_eq_u32_e32 vcc_lo, 3, v30
	v_cndmask_b32_e32 v35, v35, v5, vcc_lo
	v_cmp_eq_u32_e32 vcc_lo, 4, v30
	s_delay_alu instid0(VALU_DEP_2) | instskip(SKIP_1) | instid1(VALU_DEP_2)
	v_cndmask_b32_e32 v35, v35, v6, vcc_lo
	;; [unrolled: 5-line block ×13, first 2 shown]
	v_cmp_eq_u32_e32 vcc_lo, 27, v30
	v_cndmask_b32_e32 v35, v35, v29, vcc_lo
	v_cmp_lt_u32_e32 vcc_lo, 11, v30
	s_wait_dscnt 0x0
	s_delay_alu instid0(VALU_DEP_2) | instskip(SKIP_1) | instid1(SALU_CYCLE_1)
	v_fmac_f32_e32 v32, v35, v36
	s_or_b32 s2, vcc_lo, s2
	s_and_not1_b32 exec_lo, exec_lo, s2
	s_cbranch_execnz .LBB27_547
; %bb.548:
	s_or_b32 exec_lo, exec_lo, s2
.LBB27_549:
	s_delay_alu instid0(SALU_CYCLE_1)
	s_or_b32 exec_lo, exec_lo, s1
	v_mov_b32_e32 v15, 0
	ds_load_b32 v15, v15 offset:52
	s_wait_dscnt 0x0
	v_mul_f32_e32 v15, v32, v15
.LBB27_550:
	s_or_b32 exec_lo, exec_lo, s0
	s_delay_alu instid0(SALU_CYCLE_1)
	s_mov_b32 s0, exec_lo
	ds_store_b32 v125, v16
	s_wait_dscnt 0x0
	s_barrier_signal -1
	s_barrier_wait -1
	v_cmpx_gt_u32_e32 14, v0
	s_cbranch_execz .LBB27_560
; %bb.551:
	v_cmp_ne_u32_e32 vcc_lo, 1, v34
	s_cbranch_vccnz .LBB27_553
; %bb.552:
	v_cmp_eq_u32_e32 vcc_lo, 1, v0
	ds_load_b32 v31, v125
	v_cndmask_b32_e32 v30, v2, v3, vcc_lo
	v_cmp_eq_u32_e32 vcc_lo, 2, v0
	s_delay_alu instid0(VALU_DEP_2) | instskip(SKIP_1) | instid1(VALU_DEP_2)
	v_cndmask_b32_e32 v30, v30, v4, vcc_lo
	v_cmp_eq_u32_e32 vcc_lo, 3, v0
	v_cndmask_b32_e32 v30, v30, v5, vcc_lo
	v_cmp_eq_u32_e32 vcc_lo, 4, v0
	s_delay_alu instid0(VALU_DEP_2) | instskip(SKIP_1) | instid1(VALU_DEP_2)
	v_cndmask_b32_e32 v30, v30, v6, vcc_lo
	v_cmp_eq_u32_e32 vcc_lo, 5, v0
	;; [unrolled: 5-line block ×13, first 2 shown]
	v_cndmask_b32_e32 v30, v30, v29, vcc_lo
	s_wait_dscnt 0x0
	s_delay_alu instid0(VALU_DEP_1)
	v_mul_f32_e32 v32, v30, v31
	s_cbranch_execz .LBB27_554
	s_branch .LBB27_555
.LBB27_553:
                                        ; implicit-def: $vgpr32
.LBB27_554:
	ds_load_b32 v32, v125
.LBB27_555:
	s_mov_b32 s1, exec_lo
	v_cmpx_ne_u32_e32 13, v0
	s_cbranch_execz .LBB27_559
; %bb.556:
	v_mov_b64_e32 v[30:31], v[0:1]
	v_lshl_add_u32 v33, v0, 2, 0x74
	s_mov_b32 s2, 0
.LBB27_557:                             ; =>This Inner Loop Header: Depth=1
	s_delay_alu instid0(VALU_DEP_2)
	v_add_nc_u64_e32 v[30:31], 1, v[30:31]
	ds_load_b32 v36, v33
	v_add_nc_u32_e32 v33, 4, v33
	v_cmp_eq_u32_e32 vcc_lo, 1, v30
	v_cndmask_b32_e32 v35, v2, v3, vcc_lo
	v_cmp_eq_u32_e32 vcc_lo, 2, v30
	s_delay_alu instid0(VALU_DEP_2) | instskip(SKIP_1) | instid1(VALU_DEP_2)
	v_cndmask_b32_e32 v35, v35, v4, vcc_lo
	v_cmp_eq_u32_e32 vcc_lo, 3, v30
	v_cndmask_b32_e32 v35, v35, v5, vcc_lo
	v_cmp_eq_u32_e32 vcc_lo, 4, v30
	s_delay_alu instid0(VALU_DEP_2) | instskip(SKIP_1) | instid1(VALU_DEP_2)
	v_cndmask_b32_e32 v35, v35, v6, vcc_lo
	;; [unrolled: 5-line block ×13, first 2 shown]
	v_cmp_eq_u32_e32 vcc_lo, 27, v30
	v_cndmask_b32_e32 v35, v35, v29, vcc_lo
	v_cmp_lt_u32_e32 vcc_lo, 12, v30
	s_wait_dscnt 0x0
	s_delay_alu instid0(VALU_DEP_2) | instskip(SKIP_1) | instid1(SALU_CYCLE_1)
	v_fmac_f32_e32 v32, v35, v36
	s_or_b32 s2, vcc_lo, s2
	s_and_not1_b32 exec_lo, exec_lo, s2
	s_cbranch_execnz .LBB27_557
; %bb.558:
	s_or_b32 exec_lo, exec_lo, s2
.LBB27_559:
	s_delay_alu instid0(SALU_CYCLE_1)
	s_or_b32 exec_lo, exec_lo, s1
	v_mov_b32_e32 v16, 0
	ds_load_b32 v16, v16 offset:56
	s_wait_dscnt 0x0
	v_mul_f32_e32 v16, v32, v16
.LBB27_560:
	s_or_b32 exec_lo, exec_lo, s0
	s_delay_alu instid0(SALU_CYCLE_1)
	s_mov_b32 s0, exec_lo
	ds_store_b32 v125, v17
	s_wait_dscnt 0x0
	s_barrier_signal -1
	s_barrier_wait -1
	v_cmpx_gt_u32_e32 15, v0
	s_cbranch_execz .LBB27_570
; %bb.561:
	v_cmp_ne_u32_e32 vcc_lo, 1, v34
	s_cbranch_vccnz .LBB27_563
; %bb.562:
	v_cmp_eq_u32_e32 vcc_lo, 1, v0
	ds_load_b32 v31, v125
	v_cndmask_b32_e32 v30, v2, v3, vcc_lo
	v_cmp_eq_u32_e32 vcc_lo, 2, v0
	s_delay_alu instid0(VALU_DEP_2) | instskip(SKIP_1) | instid1(VALU_DEP_2)
	v_cndmask_b32_e32 v30, v30, v4, vcc_lo
	v_cmp_eq_u32_e32 vcc_lo, 3, v0
	v_cndmask_b32_e32 v30, v30, v5, vcc_lo
	v_cmp_eq_u32_e32 vcc_lo, 4, v0
	s_delay_alu instid0(VALU_DEP_2) | instskip(SKIP_1) | instid1(VALU_DEP_2)
	v_cndmask_b32_e32 v30, v30, v6, vcc_lo
	v_cmp_eq_u32_e32 vcc_lo, 5, v0
	;; [unrolled: 5-line block ×13, first 2 shown]
	v_cndmask_b32_e32 v30, v30, v29, vcc_lo
	s_wait_dscnt 0x0
	s_delay_alu instid0(VALU_DEP_1)
	v_mul_f32_e32 v32, v30, v31
	s_cbranch_execz .LBB27_564
	s_branch .LBB27_565
.LBB27_563:
                                        ; implicit-def: $vgpr32
.LBB27_564:
	ds_load_b32 v32, v125
.LBB27_565:
	s_mov_b32 s1, exec_lo
	v_cmpx_ne_u32_e32 14, v0
	s_cbranch_execz .LBB27_569
; %bb.566:
	v_mov_b64_e32 v[30:31], v[0:1]
	v_lshl_add_u32 v33, v0, 2, 0x74
	s_mov_b32 s2, 0
.LBB27_567:                             ; =>This Inner Loop Header: Depth=1
	s_delay_alu instid0(VALU_DEP_2)
	v_add_nc_u64_e32 v[30:31], 1, v[30:31]
	ds_load_b32 v36, v33
	v_add_nc_u32_e32 v33, 4, v33
	v_cmp_eq_u32_e32 vcc_lo, 1, v30
	v_cndmask_b32_e32 v35, v2, v3, vcc_lo
	v_cmp_eq_u32_e32 vcc_lo, 2, v30
	s_delay_alu instid0(VALU_DEP_2) | instskip(SKIP_1) | instid1(VALU_DEP_2)
	v_cndmask_b32_e32 v35, v35, v4, vcc_lo
	v_cmp_eq_u32_e32 vcc_lo, 3, v30
	v_cndmask_b32_e32 v35, v35, v5, vcc_lo
	v_cmp_eq_u32_e32 vcc_lo, 4, v30
	s_delay_alu instid0(VALU_DEP_2) | instskip(SKIP_1) | instid1(VALU_DEP_2)
	v_cndmask_b32_e32 v35, v35, v6, vcc_lo
	;; [unrolled: 5-line block ×13, first 2 shown]
	v_cmp_eq_u32_e32 vcc_lo, 27, v30
	v_cndmask_b32_e32 v35, v35, v29, vcc_lo
	v_cmp_lt_u32_e32 vcc_lo, 13, v30
	s_wait_dscnt 0x0
	s_delay_alu instid0(VALU_DEP_2) | instskip(SKIP_1) | instid1(SALU_CYCLE_1)
	v_fmac_f32_e32 v32, v35, v36
	s_or_b32 s2, vcc_lo, s2
	s_and_not1_b32 exec_lo, exec_lo, s2
	s_cbranch_execnz .LBB27_567
; %bb.568:
	s_or_b32 exec_lo, exec_lo, s2
.LBB27_569:
	s_delay_alu instid0(SALU_CYCLE_1)
	s_or_b32 exec_lo, exec_lo, s1
	v_mov_b32_e32 v17, 0
	ds_load_b32 v17, v17 offset:60
	s_wait_dscnt 0x0
	v_mul_f32_e32 v17, v32, v17
.LBB27_570:
	s_or_b32 exec_lo, exec_lo, s0
	s_delay_alu instid0(SALU_CYCLE_1)
	s_mov_b32 s0, exec_lo
	ds_store_b32 v125, v18
	s_wait_dscnt 0x0
	s_barrier_signal -1
	s_barrier_wait -1
	v_cmpx_gt_u32_e32 16, v0
	s_cbranch_execz .LBB27_580
; %bb.571:
	v_cmp_ne_u32_e32 vcc_lo, 1, v34
	s_cbranch_vccnz .LBB27_573
; %bb.572:
	v_cmp_eq_u32_e32 vcc_lo, 1, v0
	ds_load_b32 v31, v125
	v_cndmask_b32_e32 v30, v2, v3, vcc_lo
	v_cmp_eq_u32_e32 vcc_lo, 2, v0
	s_delay_alu instid0(VALU_DEP_2) | instskip(SKIP_1) | instid1(VALU_DEP_2)
	v_cndmask_b32_e32 v30, v30, v4, vcc_lo
	v_cmp_eq_u32_e32 vcc_lo, 3, v0
	v_cndmask_b32_e32 v30, v30, v5, vcc_lo
	v_cmp_eq_u32_e32 vcc_lo, 4, v0
	s_delay_alu instid0(VALU_DEP_2) | instskip(SKIP_1) | instid1(VALU_DEP_2)
	v_cndmask_b32_e32 v30, v30, v6, vcc_lo
	v_cmp_eq_u32_e32 vcc_lo, 5, v0
	;; [unrolled: 5-line block ×13, first 2 shown]
	v_cndmask_b32_e32 v30, v30, v29, vcc_lo
	s_wait_dscnt 0x0
	s_delay_alu instid0(VALU_DEP_1)
	v_mul_f32_e32 v32, v30, v31
	s_cbranch_execz .LBB27_574
	s_branch .LBB27_575
.LBB27_573:
                                        ; implicit-def: $vgpr32
.LBB27_574:
	ds_load_b32 v32, v125
.LBB27_575:
	s_mov_b32 s1, exec_lo
	v_cmpx_ne_u32_e32 15, v0
	s_cbranch_execz .LBB27_579
; %bb.576:
	v_mov_b64_e32 v[30:31], v[0:1]
	v_lshl_add_u32 v33, v0, 2, 0x74
	s_mov_b32 s2, 0
.LBB27_577:                             ; =>This Inner Loop Header: Depth=1
	s_delay_alu instid0(VALU_DEP_2)
	v_add_nc_u64_e32 v[30:31], 1, v[30:31]
	ds_load_b32 v36, v33
	v_add_nc_u32_e32 v33, 4, v33
	v_cmp_eq_u32_e32 vcc_lo, 1, v30
	v_cndmask_b32_e32 v35, v2, v3, vcc_lo
	v_cmp_eq_u32_e32 vcc_lo, 2, v30
	s_delay_alu instid0(VALU_DEP_2) | instskip(SKIP_1) | instid1(VALU_DEP_2)
	v_cndmask_b32_e32 v35, v35, v4, vcc_lo
	v_cmp_eq_u32_e32 vcc_lo, 3, v30
	v_cndmask_b32_e32 v35, v35, v5, vcc_lo
	v_cmp_eq_u32_e32 vcc_lo, 4, v30
	s_delay_alu instid0(VALU_DEP_2) | instskip(SKIP_1) | instid1(VALU_DEP_2)
	v_cndmask_b32_e32 v35, v35, v6, vcc_lo
	;; [unrolled: 5-line block ×13, first 2 shown]
	v_cmp_eq_u32_e32 vcc_lo, 27, v30
	v_cndmask_b32_e32 v35, v35, v29, vcc_lo
	v_cmp_lt_u32_e32 vcc_lo, 14, v30
	s_wait_dscnt 0x0
	s_delay_alu instid0(VALU_DEP_2) | instskip(SKIP_1) | instid1(SALU_CYCLE_1)
	v_fmac_f32_e32 v32, v35, v36
	s_or_b32 s2, vcc_lo, s2
	s_and_not1_b32 exec_lo, exec_lo, s2
	s_cbranch_execnz .LBB27_577
; %bb.578:
	s_or_b32 exec_lo, exec_lo, s2
.LBB27_579:
	s_delay_alu instid0(SALU_CYCLE_1)
	s_or_b32 exec_lo, exec_lo, s1
	v_mov_b32_e32 v18, 0
	ds_load_b32 v18, v18 offset:64
	s_wait_dscnt 0x0
	v_mul_f32_e32 v18, v32, v18
.LBB27_580:
	s_or_b32 exec_lo, exec_lo, s0
	s_delay_alu instid0(SALU_CYCLE_1)
	s_mov_b32 s0, exec_lo
	ds_store_b32 v125, v19
	s_wait_dscnt 0x0
	s_barrier_signal -1
	s_barrier_wait -1
	v_cmpx_gt_u32_e32 17, v0
	s_cbranch_execz .LBB27_590
; %bb.581:
	v_cmp_ne_u32_e32 vcc_lo, 1, v34
	s_cbranch_vccnz .LBB27_583
; %bb.582:
	v_cmp_eq_u32_e32 vcc_lo, 1, v0
	ds_load_b32 v31, v125
	v_cndmask_b32_e32 v30, v2, v3, vcc_lo
	v_cmp_eq_u32_e32 vcc_lo, 2, v0
	s_delay_alu instid0(VALU_DEP_2) | instskip(SKIP_1) | instid1(VALU_DEP_2)
	v_cndmask_b32_e32 v30, v30, v4, vcc_lo
	v_cmp_eq_u32_e32 vcc_lo, 3, v0
	v_cndmask_b32_e32 v30, v30, v5, vcc_lo
	v_cmp_eq_u32_e32 vcc_lo, 4, v0
	s_delay_alu instid0(VALU_DEP_2) | instskip(SKIP_1) | instid1(VALU_DEP_2)
	v_cndmask_b32_e32 v30, v30, v6, vcc_lo
	v_cmp_eq_u32_e32 vcc_lo, 5, v0
	;; [unrolled: 5-line block ×13, first 2 shown]
	v_cndmask_b32_e32 v30, v30, v29, vcc_lo
	s_wait_dscnt 0x0
	s_delay_alu instid0(VALU_DEP_1)
	v_mul_f32_e32 v32, v30, v31
	s_cbranch_execz .LBB27_584
	s_branch .LBB27_585
.LBB27_583:
                                        ; implicit-def: $vgpr32
.LBB27_584:
	ds_load_b32 v32, v125
.LBB27_585:
	s_mov_b32 s1, exec_lo
	v_cmpx_ne_u32_e32 16, v0
	s_cbranch_execz .LBB27_589
; %bb.586:
	v_mov_b64_e32 v[30:31], v[0:1]
	v_lshl_add_u32 v33, v0, 2, 0x74
	s_mov_b32 s2, 0
.LBB27_587:                             ; =>This Inner Loop Header: Depth=1
	s_delay_alu instid0(VALU_DEP_2)
	v_add_nc_u64_e32 v[30:31], 1, v[30:31]
	ds_load_b32 v36, v33
	v_add_nc_u32_e32 v33, 4, v33
	v_cmp_eq_u32_e32 vcc_lo, 1, v30
	v_cndmask_b32_e32 v35, v2, v3, vcc_lo
	v_cmp_eq_u32_e32 vcc_lo, 2, v30
	s_delay_alu instid0(VALU_DEP_2) | instskip(SKIP_1) | instid1(VALU_DEP_2)
	v_cndmask_b32_e32 v35, v35, v4, vcc_lo
	v_cmp_eq_u32_e32 vcc_lo, 3, v30
	v_cndmask_b32_e32 v35, v35, v5, vcc_lo
	v_cmp_eq_u32_e32 vcc_lo, 4, v30
	s_delay_alu instid0(VALU_DEP_2) | instskip(SKIP_1) | instid1(VALU_DEP_2)
	v_cndmask_b32_e32 v35, v35, v6, vcc_lo
	;; [unrolled: 5-line block ×13, first 2 shown]
	v_cmp_eq_u32_e32 vcc_lo, 27, v30
	v_cndmask_b32_e32 v35, v35, v29, vcc_lo
	v_cmp_lt_u32_e32 vcc_lo, 15, v30
	s_wait_dscnt 0x0
	s_delay_alu instid0(VALU_DEP_2) | instskip(SKIP_1) | instid1(SALU_CYCLE_1)
	v_fmac_f32_e32 v32, v35, v36
	s_or_b32 s2, vcc_lo, s2
	s_and_not1_b32 exec_lo, exec_lo, s2
	s_cbranch_execnz .LBB27_587
; %bb.588:
	s_or_b32 exec_lo, exec_lo, s2
.LBB27_589:
	s_delay_alu instid0(SALU_CYCLE_1)
	s_or_b32 exec_lo, exec_lo, s1
	v_mov_b32_e32 v19, 0
	ds_load_b32 v19, v19 offset:68
	s_wait_dscnt 0x0
	v_mul_f32_e32 v19, v32, v19
.LBB27_590:
	s_or_b32 exec_lo, exec_lo, s0
	s_delay_alu instid0(SALU_CYCLE_1)
	s_mov_b32 s0, exec_lo
	ds_store_b32 v125, v20
	s_wait_dscnt 0x0
	s_barrier_signal -1
	s_barrier_wait -1
	v_cmpx_gt_u32_e32 18, v0
	s_cbranch_execz .LBB27_600
; %bb.591:
	v_cmp_ne_u32_e32 vcc_lo, 1, v34
	s_cbranch_vccnz .LBB27_593
; %bb.592:
	v_cmp_eq_u32_e32 vcc_lo, 1, v0
	ds_load_b32 v31, v125
	v_cndmask_b32_e32 v30, v2, v3, vcc_lo
	v_cmp_eq_u32_e32 vcc_lo, 2, v0
	s_delay_alu instid0(VALU_DEP_2) | instskip(SKIP_1) | instid1(VALU_DEP_2)
	v_cndmask_b32_e32 v30, v30, v4, vcc_lo
	v_cmp_eq_u32_e32 vcc_lo, 3, v0
	v_cndmask_b32_e32 v30, v30, v5, vcc_lo
	v_cmp_eq_u32_e32 vcc_lo, 4, v0
	s_delay_alu instid0(VALU_DEP_2) | instskip(SKIP_1) | instid1(VALU_DEP_2)
	v_cndmask_b32_e32 v30, v30, v6, vcc_lo
	v_cmp_eq_u32_e32 vcc_lo, 5, v0
	;; [unrolled: 5-line block ×13, first 2 shown]
	v_cndmask_b32_e32 v30, v30, v29, vcc_lo
	s_wait_dscnt 0x0
	s_delay_alu instid0(VALU_DEP_1)
	v_mul_f32_e32 v32, v30, v31
	s_cbranch_execz .LBB27_594
	s_branch .LBB27_595
.LBB27_593:
                                        ; implicit-def: $vgpr32
.LBB27_594:
	ds_load_b32 v32, v125
.LBB27_595:
	s_mov_b32 s1, exec_lo
	v_cmpx_ne_u32_e32 17, v0
	s_cbranch_execz .LBB27_599
; %bb.596:
	v_mov_b64_e32 v[30:31], v[0:1]
	v_lshl_add_u32 v33, v0, 2, 0x74
	s_mov_b32 s2, 0
.LBB27_597:                             ; =>This Inner Loop Header: Depth=1
	s_delay_alu instid0(VALU_DEP_2)
	v_add_nc_u64_e32 v[30:31], 1, v[30:31]
	ds_load_b32 v36, v33
	v_add_nc_u32_e32 v33, 4, v33
	v_cmp_eq_u32_e32 vcc_lo, 1, v30
	v_cndmask_b32_e32 v35, v2, v3, vcc_lo
	v_cmp_eq_u32_e32 vcc_lo, 2, v30
	s_delay_alu instid0(VALU_DEP_2) | instskip(SKIP_1) | instid1(VALU_DEP_2)
	v_cndmask_b32_e32 v35, v35, v4, vcc_lo
	v_cmp_eq_u32_e32 vcc_lo, 3, v30
	v_cndmask_b32_e32 v35, v35, v5, vcc_lo
	v_cmp_eq_u32_e32 vcc_lo, 4, v30
	s_delay_alu instid0(VALU_DEP_2) | instskip(SKIP_1) | instid1(VALU_DEP_2)
	v_cndmask_b32_e32 v35, v35, v6, vcc_lo
	;; [unrolled: 5-line block ×13, first 2 shown]
	v_cmp_eq_u32_e32 vcc_lo, 27, v30
	v_cndmask_b32_e32 v35, v35, v29, vcc_lo
	v_cmp_lt_u32_e32 vcc_lo, 16, v30
	s_wait_dscnt 0x0
	s_delay_alu instid0(VALU_DEP_2) | instskip(SKIP_1) | instid1(SALU_CYCLE_1)
	v_fmac_f32_e32 v32, v35, v36
	s_or_b32 s2, vcc_lo, s2
	s_and_not1_b32 exec_lo, exec_lo, s2
	s_cbranch_execnz .LBB27_597
; %bb.598:
	s_or_b32 exec_lo, exec_lo, s2
.LBB27_599:
	s_delay_alu instid0(SALU_CYCLE_1)
	s_or_b32 exec_lo, exec_lo, s1
	v_mov_b32_e32 v20, 0
	ds_load_b32 v20, v20 offset:72
	s_wait_dscnt 0x0
	v_mul_f32_e32 v20, v32, v20
.LBB27_600:
	s_or_b32 exec_lo, exec_lo, s0
	s_delay_alu instid0(SALU_CYCLE_1)
	s_mov_b32 s0, exec_lo
	ds_store_b32 v125, v21
	s_wait_dscnt 0x0
	s_barrier_signal -1
	s_barrier_wait -1
	v_cmpx_gt_u32_e32 19, v0
	s_cbranch_execz .LBB27_610
; %bb.601:
	v_cmp_ne_u32_e32 vcc_lo, 1, v34
	s_cbranch_vccnz .LBB27_603
; %bb.602:
	v_cmp_eq_u32_e32 vcc_lo, 1, v0
	ds_load_b32 v31, v125
	v_cndmask_b32_e32 v30, v2, v3, vcc_lo
	v_cmp_eq_u32_e32 vcc_lo, 2, v0
	s_delay_alu instid0(VALU_DEP_2) | instskip(SKIP_1) | instid1(VALU_DEP_2)
	v_cndmask_b32_e32 v30, v30, v4, vcc_lo
	v_cmp_eq_u32_e32 vcc_lo, 3, v0
	v_cndmask_b32_e32 v30, v30, v5, vcc_lo
	v_cmp_eq_u32_e32 vcc_lo, 4, v0
	s_delay_alu instid0(VALU_DEP_2) | instskip(SKIP_1) | instid1(VALU_DEP_2)
	v_cndmask_b32_e32 v30, v30, v6, vcc_lo
	v_cmp_eq_u32_e32 vcc_lo, 5, v0
	;; [unrolled: 5-line block ×13, first 2 shown]
	v_cndmask_b32_e32 v30, v30, v29, vcc_lo
	s_wait_dscnt 0x0
	s_delay_alu instid0(VALU_DEP_1)
	v_mul_f32_e32 v32, v30, v31
	s_cbranch_execz .LBB27_604
	s_branch .LBB27_605
.LBB27_603:
                                        ; implicit-def: $vgpr32
.LBB27_604:
	ds_load_b32 v32, v125
.LBB27_605:
	s_mov_b32 s1, exec_lo
	v_cmpx_ne_u32_e32 18, v0
	s_cbranch_execz .LBB27_609
; %bb.606:
	v_mov_b64_e32 v[30:31], v[0:1]
	v_lshl_add_u32 v33, v0, 2, 0x74
	s_mov_b32 s2, 0
.LBB27_607:                             ; =>This Inner Loop Header: Depth=1
	s_delay_alu instid0(VALU_DEP_2)
	v_add_nc_u64_e32 v[30:31], 1, v[30:31]
	ds_load_b32 v36, v33
	v_add_nc_u32_e32 v33, 4, v33
	v_cmp_eq_u32_e32 vcc_lo, 1, v30
	v_cndmask_b32_e32 v35, v2, v3, vcc_lo
	v_cmp_eq_u32_e32 vcc_lo, 2, v30
	s_delay_alu instid0(VALU_DEP_2) | instskip(SKIP_1) | instid1(VALU_DEP_2)
	v_cndmask_b32_e32 v35, v35, v4, vcc_lo
	v_cmp_eq_u32_e32 vcc_lo, 3, v30
	v_cndmask_b32_e32 v35, v35, v5, vcc_lo
	v_cmp_eq_u32_e32 vcc_lo, 4, v30
	s_delay_alu instid0(VALU_DEP_2) | instskip(SKIP_1) | instid1(VALU_DEP_2)
	v_cndmask_b32_e32 v35, v35, v6, vcc_lo
	;; [unrolled: 5-line block ×13, first 2 shown]
	v_cmp_eq_u32_e32 vcc_lo, 27, v30
	v_cndmask_b32_e32 v35, v35, v29, vcc_lo
	v_cmp_lt_u32_e32 vcc_lo, 17, v30
	s_wait_dscnt 0x0
	s_delay_alu instid0(VALU_DEP_2) | instskip(SKIP_1) | instid1(SALU_CYCLE_1)
	v_fmac_f32_e32 v32, v35, v36
	s_or_b32 s2, vcc_lo, s2
	s_and_not1_b32 exec_lo, exec_lo, s2
	s_cbranch_execnz .LBB27_607
; %bb.608:
	s_or_b32 exec_lo, exec_lo, s2
.LBB27_609:
	s_delay_alu instid0(SALU_CYCLE_1)
	s_or_b32 exec_lo, exec_lo, s1
	v_mov_b32_e32 v21, 0
	ds_load_b32 v21, v21 offset:76
	s_wait_dscnt 0x0
	v_mul_f32_e32 v21, v32, v21
.LBB27_610:
	s_or_b32 exec_lo, exec_lo, s0
	s_delay_alu instid0(SALU_CYCLE_1)
	s_mov_b32 s0, exec_lo
	ds_store_b32 v125, v22
	s_wait_dscnt 0x0
	s_barrier_signal -1
	s_barrier_wait -1
	v_cmpx_gt_u32_e32 20, v0
	s_cbranch_execz .LBB27_620
; %bb.611:
	v_cmp_ne_u32_e32 vcc_lo, 1, v34
	s_cbranch_vccnz .LBB27_613
; %bb.612:
	v_cmp_eq_u32_e32 vcc_lo, 1, v0
	ds_load_b32 v31, v125
	v_cndmask_b32_e32 v30, v2, v3, vcc_lo
	v_cmp_eq_u32_e32 vcc_lo, 2, v0
	s_delay_alu instid0(VALU_DEP_2) | instskip(SKIP_1) | instid1(VALU_DEP_2)
	v_cndmask_b32_e32 v30, v30, v4, vcc_lo
	v_cmp_eq_u32_e32 vcc_lo, 3, v0
	v_cndmask_b32_e32 v30, v30, v5, vcc_lo
	v_cmp_eq_u32_e32 vcc_lo, 4, v0
	s_delay_alu instid0(VALU_DEP_2) | instskip(SKIP_1) | instid1(VALU_DEP_2)
	v_cndmask_b32_e32 v30, v30, v6, vcc_lo
	v_cmp_eq_u32_e32 vcc_lo, 5, v0
	;; [unrolled: 5-line block ×13, first 2 shown]
	v_cndmask_b32_e32 v30, v30, v29, vcc_lo
	s_wait_dscnt 0x0
	s_delay_alu instid0(VALU_DEP_1)
	v_mul_f32_e32 v32, v30, v31
	s_cbranch_execz .LBB27_614
	s_branch .LBB27_615
.LBB27_613:
                                        ; implicit-def: $vgpr32
.LBB27_614:
	ds_load_b32 v32, v125
.LBB27_615:
	s_mov_b32 s1, exec_lo
	v_cmpx_ne_u32_e32 19, v0
	s_cbranch_execz .LBB27_619
; %bb.616:
	v_mov_b64_e32 v[30:31], v[0:1]
	v_lshl_add_u32 v33, v0, 2, 0x74
	s_mov_b32 s2, 0
.LBB27_617:                             ; =>This Inner Loop Header: Depth=1
	s_delay_alu instid0(VALU_DEP_2)
	v_add_nc_u64_e32 v[30:31], 1, v[30:31]
	ds_load_b32 v36, v33
	v_add_nc_u32_e32 v33, 4, v33
	v_cmp_eq_u32_e32 vcc_lo, 1, v30
	v_cndmask_b32_e32 v35, v2, v3, vcc_lo
	v_cmp_eq_u32_e32 vcc_lo, 2, v30
	s_delay_alu instid0(VALU_DEP_2) | instskip(SKIP_1) | instid1(VALU_DEP_2)
	v_cndmask_b32_e32 v35, v35, v4, vcc_lo
	v_cmp_eq_u32_e32 vcc_lo, 3, v30
	v_cndmask_b32_e32 v35, v35, v5, vcc_lo
	v_cmp_eq_u32_e32 vcc_lo, 4, v30
	s_delay_alu instid0(VALU_DEP_2) | instskip(SKIP_1) | instid1(VALU_DEP_2)
	v_cndmask_b32_e32 v35, v35, v6, vcc_lo
	;; [unrolled: 5-line block ×13, first 2 shown]
	v_cmp_eq_u32_e32 vcc_lo, 27, v30
	v_cndmask_b32_e32 v35, v35, v29, vcc_lo
	v_cmp_lt_u32_e32 vcc_lo, 18, v30
	s_wait_dscnt 0x0
	s_delay_alu instid0(VALU_DEP_2) | instskip(SKIP_1) | instid1(SALU_CYCLE_1)
	v_fmac_f32_e32 v32, v35, v36
	s_or_b32 s2, vcc_lo, s2
	s_and_not1_b32 exec_lo, exec_lo, s2
	s_cbranch_execnz .LBB27_617
; %bb.618:
	s_or_b32 exec_lo, exec_lo, s2
.LBB27_619:
	s_delay_alu instid0(SALU_CYCLE_1)
	s_or_b32 exec_lo, exec_lo, s1
	v_mov_b32_e32 v22, 0
	ds_load_b32 v22, v22 offset:80
	s_wait_dscnt 0x0
	v_mul_f32_e32 v22, v32, v22
.LBB27_620:
	s_or_b32 exec_lo, exec_lo, s0
	s_delay_alu instid0(SALU_CYCLE_1)
	s_mov_b32 s0, exec_lo
	ds_store_b32 v125, v23
	s_wait_dscnt 0x0
	s_barrier_signal -1
	s_barrier_wait -1
	v_cmpx_gt_u32_e32 21, v0
	s_cbranch_execz .LBB27_630
; %bb.621:
	v_cmp_ne_u32_e32 vcc_lo, 1, v34
	s_cbranch_vccnz .LBB27_623
; %bb.622:
	v_cmp_eq_u32_e32 vcc_lo, 1, v0
	ds_load_b32 v31, v125
	v_cndmask_b32_e32 v30, v2, v3, vcc_lo
	v_cmp_eq_u32_e32 vcc_lo, 2, v0
	s_delay_alu instid0(VALU_DEP_2) | instskip(SKIP_1) | instid1(VALU_DEP_2)
	v_cndmask_b32_e32 v30, v30, v4, vcc_lo
	v_cmp_eq_u32_e32 vcc_lo, 3, v0
	v_cndmask_b32_e32 v30, v30, v5, vcc_lo
	v_cmp_eq_u32_e32 vcc_lo, 4, v0
	s_delay_alu instid0(VALU_DEP_2) | instskip(SKIP_1) | instid1(VALU_DEP_2)
	v_cndmask_b32_e32 v30, v30, v6, vcc_lo
	v_cmp_eq_u32_e32 vcc_lo, 5, v0
	v_cndmask_b32_e32 v30, v30, v7, vcc_lo
	v_cmp_eq_u32_e32 vcc_lo, 6, v0
	s_delay_alu instid0(VALU_DEP_2) | instskip(SKIP_1) | instid1(VALU_DEP_2)
	v_cndmask_b32_e32 v30, v30, v8, vcc_lo
	v_cmp_eq_u32_e32 vcc_lo, 7, v0
	v_cndmask_b32_e32 v30, v30, v9, vcc_lo
	v_cmp_eq_u32_e32 vcc_lo, 8, v0
	s_delay_alu instid0(VALU_DEP_2) | instskip(SKIP_1) | instid1(VALU_DEP_2)
	v_cndmask_b32_e32 v30, v30, v10, vcc_lo
	v_cmp_eq_u32_e32 vcc_lo, 9, v0
	v_cndmask_b32_e32 v30, v30, v11, vcc_lo
	v_cmp_eq_u32_e32 vcc_lo, 10, v0
	s_delay_alu instid0(VALU_DEP_2) | instskip(SKIP_1) | instid1(VALU_DEP_2)
	v_cndmask_b32_e32 v30, v30, v12, vcc_lo
	v_cmp_eq_u32_e32 vcc_lo, 11, v0
	v_cndmask_b32_e32 v30, v30, v13, vcc_lo
	v_cmp_eq_u32_e32 vcc_lo, 12, v0
	s_delay_alu instid0(VALU_DEP_2) | instskip(SKIP_1) | instid1(VALU_DEP_2)
	v_cndmask_b32_e32 v30, v30, v14, vcc_lo
	v_cmp_eq_u32_e32 vcc_lo, 13, v0
	v_cndmask_b32_e32 v30, v30, v15, vcc_lo
	v_cmp_eq_u32_e32 vcc_lo, 14, v0
	s_delay_alu instid0(VALU_DEP_2) | instskip(SKIP_1) | instid1(VALU_DEP_2)
	v_cndmask_b32_e32 v30, v30, v16, vcc_lo
	v_cmp_eq_u32_e32 vcc_lo, 15, v0
	v_cndmask_b32_e32 v30, v30, v17, vcc_lo
	v_cmp_eq_u32_e32 vcc_lo, 16, v0
	s_delay_alu instid0(VALU_DEP_2) | instskip(SKIP_1) | instid1(VALU_DEP_2)
	v_cndmask_b32_e32 v30, v30, v18, vcc_lo
	v_cmp_eq_u32_e32 vcc_lo, 17, v0
	v_cndmask_b32_e32 v30, v30, v19, vcc_lo
	v_cmp_eq_u32_e32 vcc_lo, 18, v0
	s_delay_alu instid0(VALU_DEP_2) | instskip(SKIP_1) | instid1(VALU_DEP_2)
	v_cndmask_b32_e32 v30, v30, v20, vcc_lo
	v_cmp_eq_u32_e32 vcc_lo, 19, v0
	v_cndmask_b32_e32 v30, v30, v21, vcc_lo
	v_cmp_eq_u32_e32 vcc_lo, 20, v0
	s_delay_alu instid0(VALU_DEP_2) | instskip(SKIP_1) | instid1(VALU_DEP_2)
	v_cndmask_b32_e32 v30, v30, v22, vcc_lo
	v_cmp_eq_u32_e32 vcc_lo, 21, v0
	v_cndmask_b32_e32 v30, v30, v23, vcc_lo
	v_cmp_eq_u32_e32 vcc_lo, 22, v0
	s_delay_alu instid0(VALU_DEP_2) | instskip(SKIP_1) | instid1(VALU_DEP_2)
	v_cndmask_b32_e32 v30, v30, v24, vcc_lo
	v_cmp_eq_u32_e32 vcc_lo, 23, v0
	v_cndmask_b32_e32 v30, v30, v25, vcc_lo
	v_cmp_eq_u32_e32 vcc_lo, 24, v0
	s_delay_alu instid0(VALU_DEP_2) | instskip(SKIP_1) | instid1(VALU_DEP_2)
	v_cndmask_b32_e32 v30, v30, v26, vcc_lo
	v_cmp_eq_u32_e32 vcc_lo, 25, v0
	v_cndmask_b32_e32 v30, v30, v27, vcc_lo
	v_cmp_eq_u32_e32 vcc_lo, 26, v0
	s_delay_alu instid0(VALU_DEP_2) | instskip(SKIP_1) | instid1(VALU_DEP_2)
	v_cndmask_b32_e32 v30, v30, v28, vcc_lo
	v_cmp_eq_u32_e32 vcc_lo, 27, v0
	v_cndmask_b32_e32 v30, v30, v29, vcc_lo
	s_wait_dscnt 0x0
	s_delay_alu instid0(VALU_DEP_1)
	v_mul_f32_e32 v32, v30, v31
	s_cbranch_execz .LBB27_624
	s_branch .LBB27_625
.LBB27_623:
                                        ; implicit-def: $vgpr32
.LBB27_624:
	ds_load_b32 v32, v125
.LBB27_625:
	s_mov_b32 s1, exec_lo
	v_cmpx_ne_u32_e32 20, v0
	s_cbranch_execz .LBB27_629
; %bb.626:
	v_mov_b64_e32 v[30:31], v[0:1]
	v_lshl_add_u32 v33, v0, 2, 0x74
	s_mov_b32 s2, 0
.LBB27_627:                             ; =>This Inner Loop Header: Depth=1
	s_delay_alu instid0(VALU_DEP_2)
	v_add_nc_u64_e32 v[30:31], 1, v[30:31]
	ds_load_b32 v36, v33
	v_add_nc_u32_e32 v33, 4, v33
	v_cmp_eq_u32_e32 vcc_lo, 1, v30
	v_cndmask_b32_e32 v35, v2, v3, vcc_lo
	v_cmp_eq_u32_e32 vcc_lo, 2, v30
	s_delay_alu instid0(VALU_DEP_2) | instskip(SKIP_1) | instid1(VALU_DEP_2)
	v_cndmask_b32_e32 v35, v35, v4, vcc_lo
	v_cmp_eq_u32_e32 vcc_lo, 3, v30
	v_cndmask_b32_e32 v35, v35, v5, vcc_lo
	v_cmp_eq_u32_e32 vcc_lo, 4, v30
	s_delay_alu instid0(VALU_DEP_2) | instskip(SKIP_1) | instid1(VALU_DEP_2)
	v_cndmask_b32_e32 v35, v35, v6, vcc_lo
	;; [unrolled: 5-line block ×13, first 2 shown]
	v_cmp_eq_u32_e32 vcc_lo, 27, v30
	v_cndmask_b32_e32 v35, v35, v29, vcc_lo
	v_cmp_lt_u32_e32 vcc_lo, 19, v30
	s_wait_dscnt 0x0
	s_delay_alu instid0(VALU_DEP_2) | instskip(SKIP_1) | instid1(SALU_CYCLE_1)
	v_fmac_f32_e32 v32, v35, v36
	s_or_b32 s2, vcc_lo, s2
	s_and_not1_b32 exec_lo, exec_lo, s2
	s_cbranch_execnz .LBB27_627
; %bb.628:
	s_or_b32 exec_lo, exec_lo, s2
.LBB27_629:
	s_delay_alu instid0(SALU_CYCLE_1)
	s_or_b32 exec_lo, exec_lo, s1
	v_mov_b32_e32 v23, 0
	ds_load_b32 v23, v23 offset:84
	s_wait_dscnt 0x0
	v_mul_f32_e32 v23, v32, v23
.LBB27_630:
	s_or_b32 exec_lo, exec_lo, s0
	s_delay_alu instid0(SALU_CYCLE_1)
	s_mov_b32 s0, exec_lo
	ds_store_b32 v125, v24
	s_wait_dscnt 0x0
	s_barrier_signal -1
	s_barrier_wait -1
	v_cmpx_gt_u32_e32 22, v0
	s_cbranch_execz .LBB27_640
; %bb.631:
	v_cmp_ne_u32_e32 vcc_lo, 1, v34
	s_cbranch_vccnz .LBB27_633
; %bb.632:
	v_cmp_eq_u32_e32 vcc_lo, 1, v0
	ds_load_b32 v31, v125
	v_cndmask_b32_e32 v30, v2, v3, vcc_lo
	v_cmp_eq_u32_e32 vcc_lo, 2, v0
	s_delay_alu instid0(VALU_DEP_2) | instskip(SKIP_1) | instid1(VALU_DEP_2)
	v_cndmask_b32_e32 v30, v30, v4, vcc_lo
	v_cmp_eq_u32_e32 vcc_lo, 3, v0
	v_cndmask_b32_e32 v30, v30, v5, vcc_lo
	v_cmp_eq_u32_e32 vcc_lo, 4, v0
	s_delay_alu instid0(VALU_DEP_2) | instskip(SKIP_1) | instid1(VALU_DEP_2)
	v_cndmask_b32_e32 v30, v30, v6, vcc_lo
	v_cmp_eq_u32_e32 vcc_lo, 5, v0
	v_cndmask_b32_e32 v30, v30, v7, vcc_lo
	v_cmp_eq_u32_e32 vcc_lo, 6, v0
	s_delay_alu instid0(VALU_DEP_2) | instskip(SKIP_1) | instid1(VALU_DEP_2)
	v_cndmask_b32_e32 v30, v30, v8, vcc_lo
	v_cmp_eq_u32_e32 vcc_lo, 7, v0
	v_cndmask_b32_e32 v30, v30, v9, vcc_lo
	v_cmp_eq_u32_e32 vcc_lo, 8, v0
	s_delay_alu instid0(VALU_DEP_2) | instskip(SKIP_1) | instid1(VALU_DEP_2)
	v_cndmask_b32_e32 v30, v30, v10, vcc_lo
	v_cmp_eq_u32_e32 vcc_lo, 9, v0
	v_cndmask_b32_e32 v30, v30, v11, vcc_lo
	v_cmp_eq_u32_e32 vcc_lo, 10, v0
	s_delay_alu instid0(VALU_DEP_2) | instskip(SKIP_1) | instid1(VALU_DEP_2)
	v_cndmask_b32_e32 v30, v30, v12, vcc_lo
	v_cmp_eq_u32_e32 vcc_lo, 11, v0
	v_cndmask_b32_e32 v30, v30, v13, vcc_lo
	v_cmp_eq_u32_e32 vcc_lo, 12, v0
	s_delay_alu instid0(VALU_DEP_2) | instskip(SKIP_1) | instid1(VALU_DEP_2)
	v_cndmask_b32_e32 v30, v30, v14, vcc_lo
	v_cmp_eq_u32_e32 vcc_lo, 13, v0
	v_cndmask_b32_e32 v30, v30, v15, vcc_lo
	v_cmp_eq_u32_e32 vcc_lo, 14, v0
	s_delay_alu instid0(VALU_DEP_2) | instskip(SKIP_1) | instid1(VALU_DEP_2)
	v_cndmask_b32_e32 v30, v30, v16, vcc_lo
	v_cmp_eq_u32_e32 vcc_lo, 15, v0
	v_cndmask_b32_e32 v30, v30, v17, vcc_lo
	v_cmp_eq_u32_e32 vcc_lo, 16, v0
	s_delay_alu instid0(VALU_DEP_2) | instskip(SKIP_1) | instid1(VALU_DEP_2)
	v_cndmask_b32_e32 v30, v30, v18, vcc_lo
	v_cmp_eq_u32_e32 vcc_lo, 17, v0
	v_cndmask_b32_e32 v30, v30, v19, vcc_lo
	v_cmp_eq_u32_e32 vcc_lo, 18, v0
	s_delay_alu instid0(VALU_DEP_2) | instskip(SKIP_1) | instid1(VALU_DEP_2)
	v_cndmask_b32_e32 v30, v30, v20, vcc_lo
	v_cmp_eq_u32_e32 vcc_lo, 19, v0
	v_cndmask_b32_e32 v30, v30, v21, vcc_lo
	v_cmp_eq_u32_e32 vcc_lo, 20, v0
	s_delay_alu instid0(VALU_DEP_2) | instskip(SKIP_1) | instid1(VALU_DEP_2)
	v_cndmask_b32_e32 v30, v30, v22, vcc_lo
	v_cmp_eq_u32_e32 vcc_lo, 21, v0
	v_cndmask_b32_e32 v30, v30, v23, vcc_lo
	v_cmp_eq_u32_e32 vcc_lo, 22, v0
	s_delay_alu instid0(VALU_DEP_2) | instskip(SKIP_1) | instid1(VALU_DEP_2)
	v_cndmask_b32_e32 v30, v30, v24, vcc_lo
	v_cmp_eq_u32_e32 vcc_lo, 23, v0
	v_cndmask_b32_e32 v30, v30, v25, vcc_lo
	v_cmp_eq_u32_e32 vcc_lo, 24, v0
	s_delay_alu instid0(VALU_DEP_2) | instskip(SKIP_1) | instid1(VALU_DEP_2)
	v_cndmask_b32_e32 v30, v30, v26, vcc_lo
	v_cmp_eq_u32_e32 vcc_lo, 25, v0
	v_cndmask_b32_e32 v30, v30, v27, vcc_lo
	v_cmp_eq_u32_e32 vcc_lo, 26, v0
	s_delay_alu instid0(VALU_DEP_2) | instskip(SKIP_1) | instid1(VALU_DEP_2)
	v_cndmask_b32_e32 v30, v30, v28, vcc_lo
	v_cmp_eq_u32_e32 vcc_lo, 27, v0
	v_cndmask_b32_e32 v30, v30, v29, vcc_lo
	s_wait_dscnt 0x0
	s_delay_alu instid0(VALU_DEP_1)
	v_mul_f32_e32 v32, v30, v31
	s_cbranch_execz .LBB27_634
	s_branch .LBB27_635
.LBB27_633:
                                        ; implicit-def: $vgpr32
.LBB27_634:
	ds_load_b32 v32, v125
.LBB27_635:
	s_mov_b32 s1, exec_lo
	v_cmpx_ne_u32_e32 21, v0
	s_cbranch_execz .LBB27_639
; %bb.636:
	v_mov_b64_e32 v[30:31], v[0:1]
	v_lshl_add_u32 v33, v0, 2, 0x74
	s_mov_b32 s2, 0
.LBB27_637:                             ; =>This Inner Loop Header: Depth=1
	s_delay_alu instid0(VALU_DEP_2)
	v_add_nc_u64_e32 v[30:31], 1, v[30:31]
	ds_load_b32 v36, v33
	v_add_nc_u32_e32 v33, 4, v33
	v_cmp_eq_u32_e32 vcc_lo, 1, v30
	v_cndmask_b32_e32 v35, v2, v3, vcc_lo
	v_cmp_eq_u32_e32 vcc_lo, 2, v30
	s_delay_alu instid0(VALU_DEP_2) | instskip(SKIP_1) | instid1(VALU_DEP_2)
	v_cndmask_b32_e32 v35, v35, v4, vcc_lo
	v_cmp_eq_u32_e32 vcc_lo, 3, v30
	v_cndmask_b32_e32 v35, v35, v5, vcc_lo
	v_cmp_eq_u32_e32 vcc_lo, 4, v30
	s_delay_alu instid0(VALU_DEP_2) | instskip(SKIP_1) | instid1(VALU_DEP_2)
	v_cndmask_b32_e32 v35, v35, v6, vcc_lo
	;; [unrolled: 5-line block ×13, first 2 shown]
	v_cmp_eq_u32_e32 vcc_lo, 27, v30
	v_cndmask_b32_e32 v35, v35, v29, vcc_lo
	v_cmp_lt_u32_e32 vcc_lo, 20, v30
	s_wait_dscnt 0x0
	s_delay_alu instid0(VALU_DEP_2) | instskip(SKIP_1) | instid1(SALU_CYCLE_1)
	v_fmac_f32_e32 v32, v35, v36
	s_or_b32 s2, vcc_lo, s2
	s_and_not1_b32 exec_lo, exec_lo, s2
	s_cbranch_execnz .LBB27_637
; %bb.638:
	s_or_b32 exec_lo, exec_lo, s2
.LBB27_639:
	s_delay_alu instid0(SALU_CYCLE_1)
	s_or_b32 exec_lo, exec_lo, s1
	v_mov_b32_e32 v24, 0
	ds_load_b32 v24, v24 offset:88
	s_wait_dscnt 0x0
	v_mul_f32_e32 v24, v32, v24
.LBB27_640:
	s_or_b32 exec_lo, exec_lo, s0
	s_delay_alu instid0(SALU_CYCLE_1)
	s_mov_b32 s0, exec_lo
	ds_store_b32 v125, v25
	s_wait_dscnt 0x0
	s_barrier_signal -1
	s_barrier_wait -1
	v_cmpx_gt_u32_e32 23, v0
	s_cbranch_execz .LBB27_650
; %bb.641:
	v_cmp_ne_u32_e32 vcc_lo, 1, v34
	s_cbranch_vccnz .LBB27_643
; %bb.642:
	v_cmp_eq_u32_e32 vcc_lo, 1, v0
	ds_load_b32 v31, v125
	v_cndmask_b32_e32 v30, v2, v3, vcc_lo
	v_cmp_eq_u32_e32 vcc_lo, 2, v0
	s_delay_alu instid0(VALU_DEP_2) | instskip(SKIP_1) | instid1(VALU_DEP_2)
	v_cndmask_b32_e32 v30, v30, v4, vcc_lo
	v_cmp_eq_u32_e32 vcc_lo, 3, v0
	v_cndmask_b32_e32 v30, v30, v5, vcc_lo
	v_cmp_eq_u32_e32 vcc_lo, 4, v0
	s_delay_alu instid0(VALU_DEP_2) | instskip(SKIP_1) | instid1(VALU_DEP_2)
	v_cndmask_b32_e32 v30, v30, v6, vcc_lo
	v_cmp_eq_u32_e32 vcc_lo, 5, v0
	;; [unrolled: 5-line block ×13, first 2 shown]
	v_cndmask_b32_e32 v30, v30, v29, vcc_lo
	s_wait_dscnt 0x0
	s_delay_alu instid0(VALU_DEP_1)
	v_mul_f32_e32 v32, v30, v31
	s_cbranch_execz .LBB27_644
	s_branch .LBB27_645
.LBB27_643:
                                        ; implicit-def: $vgpr32
.LBB27_644:
	ds_load_b32 v32, v125
.LBB27_645:
	s_mov_b32 s1, exec_lo
	v_cmpx_ne_u32_e32 22, v0
	s_cbranch_execz .LBB27_649
; %bb.646:
	v_mov_b64_e32 v[30:31], v[0:1]
	v_lshl_add_u32 v33, v0, 2, 0x74
	s_mov_b32 s2, 0
.LBB27_647:                             ; =>This Inner Loop Header: Depth=1
	s_delay_alu instid0(VALU_DEP_2)
	v_add_nc_u64_e32 v[30:31], 1, v[30:31]
	ds_load_b32 v36, v33
	v_add_nc_u32_e32 v33, 4, v33
	v_cmp_eq_u32_e32 vcc_lo, 1, v30
	v_cndmask_b32_e32 v35, v2, v3, vcc_lo
	v_cmp_eq_u32_e32 vcc_lo, 2, v30
	s_delay_alu instid0(VALU_DEP_2) | instskip(SKIP_1) | instid1(VALU_DEP_2)
	v_cndmask_b32_e32 v35, v35, v4, vcc_lo
	v_cmp_eq_u32_e32 vcc_lo, 3, v30
	v_cndmask_b32_e32 v35, v35, v5, vcc_lo
	v_cmp_eq_u32_e32 vcc_lo, 4, v30
	s_delay_alu instid0(VALU_DEP_2) | instskip(SKIP_1) | instid1(VALU_DEP_2)
	v_cndmask_b32_e32 v35, v35, v6, vcc_lo
	;; [unrolled: 5-line block ×13, first 2 shown]
	v_cmp_eq_u32_e32 vcc_lo, 27, v30
	v_cndmask_b32_e32 v35, v35, v29, vcc_lo
	v_cmp_lt_u32_e32 vcc_lo, 21, v30
	s_wait_dscnt 0x0
	s_delay_alu instid0(VALU_DEP_2) | instskip(SKIP_1) | instid1(SALU_CYCLE_1)
	v_fmac_f32_e32 v32, v35, v36
	s_or_b32 s2, vcc_lo, s2
	s_and_not1_b32 exec_lo, exec_lo, s2
	s_cbranch_execnz .LBB27_647
; %bb.648:
	s_or_b32 exec_lo, exec_lo, s2
.LBB27_649:
	s_delay_alu instid0(SALU_CYCLE_1)
	s_or_b32 exec_lo, exec_lo, s1
	v_mov_b32_e32 v25, 0
	ds_load_b32 v25, v25 offset:92
	s_wait_dscnt 0x0
	v_mul_f32_e32 v25, v32, v25
.LBB27_650:
	s_or_b32 exec_lo, exec_lo, s0
	s_delay_alu instid0(SALU_CYCLE_1)
	s_mov_b32 s0, exec_lo
	ds_store_b32 v125, v26
	s_wait_dscnt 0x0
	s_barrier_signal -1
	s_barrier_wait -1
	v_cmpx_gt_u32_e32 24, v0
	s_cbranch_execz .LBB27_660
; %bb.651:
	v_cmp_ne_u32_e32 vcc_lo, 1, v34
	s_cbranch_vccnz .LBB27_653
; %bb.652:
	v_cmp_eq_u32_e32 vcc_lo, 1, v0
	ds_load_b32 v31, v125
	v_cndmask_b32_e32 v30, v2, v3, vcc_lo
	v_cmp_eq_u32_e32 vcc_lo, 2, v0
	s_delay_alu instid0(VALU_DEP_2) | instskip(SKIP_1) | instid1(VALU_DEP_2)
	v_cndmask_b32_e32 v30, v30, v4, vcc_lo
	v_cmp_eq_u32_e32 vcc_lo, 3, v0
	v_cndmask_b32_e32 v30, v30, v5, vcc_lo
	v_cmp_eq_u32_e32 vcc_lo, 4, v0
	s_delay_alu instid0(VALU_DEP_2) | instskip(SKIP_1) | instid1(VALU_DEP_2)
	v_cndmask_b32_e32 v30, v30, v6, vcc_lo
	v_cmp_eq_u32_e32 vcc_lo, 5, v0
	;; [unrolled: 5-line block ×13, first 2 shown]
	v_cndmask_b32_e32 v30, v30, v29, vcc_lo
	s_wait_dscnt 0x0
	s_delay_alu instid0(VALU_DEP_1)
	v_mul_f32_e32 v32, v30, v31
	s_cbranch_execz .LBB27_654
	s_branch .LBB27_655
.LBB27_653:
                                        ; implicit-def: $vgpr32
.LBB27_654:
	ds_load_b32 v32, v125
.LBB27_655:
	s_mov_b32 s1, exec_lo
	v_cmpx_ne_u32_e32 23, v0
	s_cbranch_execz .LBB27_659
; %bb.656:
	v_mov_b64_e32 v[30:31], v[0:1]
	v_lshl_add_u32 v33, v0, 2, 0x74
	s_mov_b32 s2, 0
.LBB27_657:                             ; =>This Inner Loop Header: Depth=1
	s_delay_alu instid0(VALU_DEP_2)
	v_add_nc_u64_e32 v[30:31], 1, v[30:31]
	ds_load_b32 v36, v33
	v_add_nc_u32_e32 v33, 4, v33
	v_cmp_eq_u32_e32 vcc_lo, 1, v30
	v_cndmask_b32_e32 v35, v2, v3, vcc_lo
	v_cmp_eq_u32_e32 vcc_lo, 2, v30
	s_delay_alu instid0(VALU_DEP_2) | instskip(SKIP_1) | instid1(VALU_DEP_2)
	v_cndmask_b32_e32 v35, v35, v4, vcc_lo
	v_cmp_eq_u32_e32 vcc_lo, 3, v30
	v_cndmask_b32_e32 v35, v35, v5, vcc_lo
	v_cmp_eq_u32_e32 vcc_lo, 4, v30
	s_delay_alu instid0(VALU_DEP_2) | instskip(SKIP_1) | instid1(VALU_DEP_2)
	v_cndmask_b32_e32 v35, v35, v6, vcc_lo
	;; [unrolled: 5-line block ×13, first 2 shown]
	v_cmp_eq_u32_e32 vcc_lo, 27, v30
	v_cndmask_b32_e32 v35, v35, v29, vcc_lo
	v_cmp_lt_u32_e32 vcc_lo, 22, v30
	s_wait_dscnt 0x0
	s_delay_alu instid0(VALU_DEP_2) | instskip(SKIP_1) | instid1(SALU_CYCLE_1)
	v_fmac_f32_e32 v32, v35, v36
	s_or_b32 s2, vcc_lo, s2
	s_and_not1_b32 exec_lo, exec_lo, s2
	s_cbranch_execnz .LBB27_657
; %bb.658:
	s_or_b32 exec_lo, exec_lo, s2
.LBB27_659:
	s_delay_alu instid0(SALU_CYCLE_1)
	s_or_b32 exec_lo, exec_lo, s1
	v_mov_b32_e32 v26, 0
	ds_load_b32 v26, v26 offset:96
	s_wait_dscnt 0x0
	v_mul_f32_e32 v26, v32, v26
.LBB27_660:
	s_or_b32 exec_lo, exec_lo, s0
	s_delay_alu instid0(SALU_CYCLE_1)
	s_mov_b32 s0, exec_lo
	ds_store_b32 v125, v27
	s_wait_dscnt 0x0
	s_barrier_signal -1
	s_barrier_wait -1
	v_cmpx_gt_u32_e32 25, v0
	s_cbranch_execz .LBB27_670
; %bb.661:
	v_cmp_ne_u32_e32 vcc_lo, 1, v34
	s_cbranch_vccnz .LBB27_663
; %bb.662:
	v_cmp_eq_u32_e32 vcc_lo, 1, v0
	ds_load_b32 v31, v125
	v_cndmask_b32_e32 v30, v2, v3, vcc_lo
	v_cmp_eq_u32_e32 vcc_lo, 2, v0
	s_delay_alu instid0(VALU_DEP_2) | instskip(SKIP_1) | instid1(VALU_DEP_2)
	v_cndmask_b32_e32 v30, v30, v4, vcc_lo
	v_cmp_eq_u32_e32 vcc_lo, 3, v0
	v_cndmask_b32_e32 v30, v30, v5, vcc_lo
	v_cmp_eq_u32_e32 vcc_lo, 4, v0
	s_delay_alu instid0(VALU_DEP_2) | instskip(SKIP_1) | instid1(VALU_DEP_2)
	v_cndmask_b32_e32 v30, v30, v6, vcc_lo
	v_cmp_eq_u32_e32 vcc_lo, 5, v0
	v_cndmask_b32_e32 v30, v30, v7, vcc_lo
	v_cmp_eq_u32_e32 vcc_lo, 6, v0
	s_delay_alu instid0(VALU_DEP_2) | instskip(SKIP_1) | instid1(VALU_DEP_2)
	v_cndmask_b32_e32 v30, v30, v8, vcc_lo
	v_cmp_eq_u32_e32 vcc_lo, 7, v0
	v_cndmask_b32_e32 v30, v30, v9, vcc_lo
	v_cmp_eq_u32_e32 vcc_lo, 8, v0
	s_delay_alu instid0(VALU_DEP_2) | instskip(SKIP_1) | instid1(VALU_DEP_2)
	v_cndmask_b32_e32 v30, v30, v10, vcc_lo
	v_cmp_eq_u32_e32 vcc_lo, 9, v0
	v_cndmask_b32_e32 v30, v30, v11, vcc_lo
	v_cmp_eq_u32_e32 vcc_lo, 10, v0
	s_delay_alu instid0(VALU_DEP_2) | instskip(SKIP_1) | instid1(VALU_DEP_2)
	v_cndmask_b32_e32 v30, v30, v12, vcc_lo
	v_cmp_eq_u32_e32 vcc_lo, 11, v0
	v_cndmask_b32_e32 v30, v30, v13, vcc_lo
	v_cmp_eq_u32_e32 vcc_lo, 12, v0
	s_delay_alu instid0(VALU_DEP_2) | instskip(SKIP_1) | instid1(VALU_DEP_2)
	v_cndmask_b32_e32 v30, v30, v14, vcc_lo
	v_cmp_eq_u32_e32 vcc_lo, 13, v0
	v_cndmask_b32_e32 v30, v30, v15, vcc_lo
	v_cmp_eq_u32_e32 vcc_lo, 14, v0
	s_delay_alu instid0(VALU_DEP_2) | instskip(SKIP_1) | instid1(VALU_DEP_2)
	v_cndmask_b32_e32 v30, v30, v16, vcc_lo
	v_cmp_eq_u32_e32 vcc_lo, 15, v0
	v_cndmask_b32_e32 v30, v30, v17, vcc_lo
	v_cmp_eq_u32_e32 vcc_lo, 16, v0
	s_delay_alu instid0(VALU_DEP_2) | instskip(SKIP_1) | instid1(VALU_DEP_2)
	v_cndmask_b32_e32 v30, v30, v18, vcc_lo
	v_cmp_eq_u32_e32 vcc_lo, 17, v0
	v_cndmask_b32_e32 v30, v30, v19, vcc_lo
	v_cmp_eq_u32_e32 vcc_lo, 18, v0
	s_delay_alu instid0(VALU_DEP_2) | instskip(SKIP_1) | instid1(VALU_DEP_2)
	v_cndmask_b32_e32 v30, v30, v20, vcc_lo
	v_cmp_eq_u32_e32 vcc_lo, 19, v0
	v_cndmask_b32_e32 v30, v30, v21, vcc_lo
	v_cmp_eq_u32_e32 vcc_lo, 20, v0
	s_delay_alu instid0(VALU_DEP_2) | instskip(SKIP_1) | instid1(VALU_DEP_2)
	v_cndmask_b32_e32 v30, v30, v22, vcc_lo
	v_cmp_eq_u32_e32 vcc_lo, 21, v0
	v_cndmask_b32_e32 v30, v30, v23, vcc_lo
	v_cmp_eq_u32_e32 vcc_lo, 22, v0
	s_delay_alu instid0(VALU_DEP_2) | instskip(SKIP_1) | instid1(VALU_DEP_2)
	v_cndmask_b32_e32 v30, v30, v24, vcc_lo
	v_cmp_eq_u32_e32 vcc_lo, 23, v0
	v_cndmask_b32_e32 v30, v30, v25, vcc_lo
	v_cmp_eq_u32_e32 vcc_lo, 24, v0
	s_delay_alu instid0(VALU_DEP_2) | instskip(SKIP_1) | instid1(VALU_DEP_2)
	v_cndmask_b32_e32 v30, v30, v26, vcc_lo
	v_cmp_eq_u32_e32 vcc_lo, 25, v0
	v_cndmask_b32_e32 v30, v30, v27, vcc_lo
	v_cmp_eq_u32_e32 vcc_lo, 26, v0
	s_delay_alu instid0(VALU_DEP_2) | instskip(SKIP_1) | instid1(VALU_DEP_2)
	v_cndmask_b32_e32 v30, v30, v28, vcc_lo
	v_cmp_eq_u32_e32 vcc_lo, 27, v0
	v_cndmask_b32_e32 v30, v30, v29, vcc_lo
	s_wait_dscnt 0x0
	s_delay_alu instid0(VALU_DEP_1)
	v_mul_f32_e32 v32, v30, v31
	s_cbranch_execz .LBB27_664
	s_branch .LBB27_665
.LBB27_663:
                                        ; implicit-def: $vgpr32
.LBB27_664:
	ds_load_b32 v32, v125
.LBB27_665:
	s_mov_b32 s1, exec_lo
	v_cmpx_ne_u32_e32 24, v0
	s_cbranch_execz .LBB27_669
; %bb.666:
	v_mov_b64_e32 v[30:31], v[0:1]
	v_lshl_add_u32 v33, v0, 2, 0x74
	s_mov_b32 s2, 0
.LBB27_667:                             ; =>This Inner Loop Header: Depth=1
	s_delay_alu instid0(VALU_DEP_2)
	v_add_nc_u64_e32 v[30:31], 1, v[30:31]
	ds_load_b32 v36, v33
	v_add_nc_u32_e32 v33, 4, v33
	v_cmp_eq_u32_e32 vcc_lo, 1, v30
	v_cndmask_b32_e32 v35, v2, v3, vcc_lo
	v_cmp_eq_u32_e32 vcc_lo, 2, v30
	s_delay_alu instid0(VALU_DEP_2) | instskip(SKIP_1) | instid1(VALU_DEP_2)
	v_cndmask_b32_e32 v35, v35, v4, vcc_lo
	v_cmp_eq_u32_e32 vcc_lo, 3, v30
	v_cndmask_b32_e32 v35, v35, v5, vcc_lo
	v_cmp_eq_u32_e32 vcc_lo, 4, v30
	s_delay_alu instid0(VALU_DEP_2) | instskip(SKIP_1) | instid1(VALU_DEP_2)
	v_cndmask_b32_e32 v35, v35, v6, vcc_lo
	;; [unrolled: 5-line block ×13, first 2 shown]
	v_cmp_eq_u32_e32 vcc_lo, 27, v30
	v_cndmask_b32_e32 v35, v35, v29, vcc_lo
	v_cmp_lt_u32_e32 vcc_lo, 23, v30
	s_wait_dscnt 0x0
	s_delay_alu instid0(VALU_DEP_2) | instskip(SKIP_1) | instid1(SALU_CYCLE_1)
	v_fmac_f32_e32 v32, v35, v36
	s_or_b32 s2, vcc_lo, s2
	s_and_not1_b32 exec_lo, exec_lo, s2
	s_cbranch_execnz .LBB27_667
; %bb.668:
	s_or_b32 exec_lo, exec_lo, s2
.LBB27_669:
	s_delay_alu instid0(SALU_CYCLE_1)
	s_or_b32 exec_lo, exec_lo, s1
	v_mov_b32_e32 v27, 0
	ds_load_b32 v27, v27 offset:100
	s_wait_dscnt 0x0
	v_mul_f32_e32 v27, v32, v27
.LBB27_670:
	s_or_b32 exec_lo, exec_lo, s0
	v_cmp_gt_u32_e64 s0, 26, v0
	ds_store_b32 v125, v28
	s_wait_dscnt 0x0
	s_barrier_signal -1
	s_barrier_wait -1
	s_and_saveexec_b32 s1, s0
	s_cbranch_execz .LBB27_680
; %bb.671:
	v_cmp_ne_u32_e32 vcc_lo, 1, v34
	s_cbranch_vccnz .LBB27_673
; %bb.672:
	v_cmp_eq_u32_e32 vcc_lo, 1, v0
	ds_load_b32 v31, v125
	v_cndmask_b32_e32 v30, v2, v3, vcc_lo
	v_cmp_eq_u32_e32 vcc_lo, 2, v0
	s_delay_alu instid0(VALU_DEP_2) | instskip(SKIP_1) | instid1(VALU_DEP_2)
	v_cndmask_b32_e32 v30, v30, v4, vcc_lo
	v_cmp_eq_u32_e32 vcc_lo, 3, v0
	v_cndmask_b32_e32 v30, v30, v5, vcc_lo
	v_cmp_eq_u32_e32 vcc_lo, 4, v0
	s_delay_alu instid0(VALU_DEP_2) | instskip(SKIP_1) | instid1(VALU_DEP_2)
	v_cndmask_b32_e32 v30, v30, v6, vcc_lo
	v_cmp_eq_u32_e32 vcc_lo, 5, v0
	;; [unrolled: 5-line block ×13, first 2 shown]
	v_cndmask_b32_e32 v30, v30, v29, vcc_lo
	s_wait_dscnt 0x0
	s_delay_alu instid0(VALU_DEP_1)
	v_mul_f32_e32 v32, v30, v31
	s_cbranch_execz .LBB27_674
	s_branch .LBB27_675
.LBB27_673:
                                        ; implicit-def: $vgpr32
.LBB27_674:
	ds_load_b32 v32, v125
.LBB27_675:
	s_mov_b32 s2, exec_lo
	v_cmpx_ne_u32_e32 25, v0
	s_cbranch_execz .LBB27_679
; %bb.676:
	v_mov_b64_e32 v[30:31], v[0:1]
	v_lshl_add_u32 v33, v0, 2, 0x74
	s_mov_b32 s3, 0
.LBB27_677:                             ; =>This Inner Loop Header: Depth=1
	s_delay_alu instid0(VALU_DEP_2)
	v_add_nc_u64_e32 v[30:31], 1, v[30:31]
	ds_load_b32 v36, v33
	v_add_nc_u32_e32 v33, 4, v33
	v_cmp_eq_u32_e32 vcc_lo, 1, v30
	v_cndmask_b32_e32 v35, v2, v3, vcc_lo
	v_cmp_eq_u32_e32 vcc_lo, 2, v30
	s_delay_alu instid0(VALU_DEP_2) | instskip(SKIP_1) | instid1(VALU_DEP_2)
	v_cndmask_b32_e32 v35, v35, v4, vcc_lo
	v_cmp_eq_u32_e32 vcc_lo, 3, v30
	v_cndmask_b32_e32 v35, v35, v5, vcc_lo
	v_cmp_eq_u32_e32 vcc_lo, 4, v30
	s_delay_alu instid0(VALU_DEP_2) | instskip(SKIP_1) | instid1(VALU_DEP_2)
	v_cndmask_b32_e32 v35, v35, v6, vcc_lo
	;; [unrolled: 5-line block ×13, first 2 shown]
	v_cmp_eq_u32_e32 vcc_lo, 27, v30
	v_cndmask_b32_e32 v35, v35, v29, vcc_lo
	v_cmp_lt_u32_e32 vcc_lo, 24, v30
	s_wait_dscnt 0x0
	s_delay_alu instid0(VALU_DEP_2) | instskip(SKIP_1) | instid1(SALU_CYCLE_1)
	v_fmac_f32_e32 v32, v35, v36
	s_or_b32 s3, vcc_lo, s3
	s_and_not1_b32 exec_lo, exec_lo, s3
	s_cbranch_execnz .LBB27_677
; %bb.678:
	s_or_b32 exec_lo, exec_lo, s3
.LBB27_679:
	s_delay_alu instid0(SALU_CYCLE_1)
	s_or_b32 exec_lo, exec_lo, s2
	v_mov_b32_e32 v28, 0
	ds_load_b32 v28, v28 offset:104
	s_wait_dscnt 0x0
	v_mul_f32_e32 v28, v32, v28
.LBB27_680:
	s_or_b32 exec_lo, exec_lo, s1
	s_delay_alu instid0(SALU_CYCLE_1)
	s_mov_b32 s1, exec_lo
	ds_store_b32 v125, v29
	s_wait_dscnt 0x0
	s_barrier_signal -1
	s_barrier_wait -1
	v_cmpx_ne_u32_e32 27, v0
	s_cbranch_execz .LBB27_690
; %bb.681:
	v_cmp_ne_u32_e32 vcc_lo, 1, v34
	s_cbranch_vccnz .LBB27_683
; %bb.682:
	v_cmp_eq_u32_e32 vcc_lo, 1, v0
	ds_load_b32 v31, v125
	v_cndmask_b32_e32 v30, v2, v3, vcc_lo
	v_cmp_eq_u32_e32 vcc_lo, 2, v0
	s_delay_alu instid0(VALU_DEP_2) | instskip(SKIP_1) | instid1(VALU_DEP_2)
	v_cndmask_b32_e32 v30, v30, v4, vcc_lo
	v_cmp_eq_u32_e32 vcc_lo, 3, v0
	v_cndmask_b32_e32 v30, v30, v5, vcc_lo
	v_cmp_eq_u32_e32 vcc_lo, 4, v0
	s_delay_alu instid0(VALU_DEP_2) | instskip(SKIP_1) | instid1(VALU_DEP_2)
	v_cndmask_b32_e32 v30, v30, v6, vcc_lo
	v_cmp_eq_u32_e32 vcc_lo, 5, v0
	;; [unrolled: 5-line block ×13, first 2 shown]
	v_cndmask_b32_e32 v30, v30, v29, vcc_lo
	s_wait_dscnt 0x0
	s_delay_alu instid0(VALU_DEP_1)
	v_mul_f32_e32 v30, v30, v31
	s_cbranch_execz .LBB27_684
	s_branch .LBB27_685
.LBB27_683:
                                        ; implicit-def: $vgpr30
.LBB27_684:
	ds_load_b32 v30, v125
.LBB27_685:
	s_and_saveexec_b32 s2, s0
	s_cbranch_execz .LBB27_689
; %bb.686:
	v_lshl_add_u32 v31, v0, 2, 0x74
	s_mov_b32 s0, 0
.LBB27_687:                             ; =>This Inner Loop Header: Depth=1
	v_add_nc_u64_e32 v[0:1], 1, v[0:1]
	ds_load_b32 v33, v31
	v_add_nc_u32_e32 v31, 4, v31
	v_cmp_eq_u32_e32 vcc_lo, 1, v0
	v_cndmask_b32_e32 v32, v2, v3, vcc_lo
	v_cmp_eq_u32_e32 vcc_lo, 2, v0
	s_delay_alu instid0(VALU_DEP_2) | instskip(SKIP_1) | instid1(VALU_DEP_2)
	v_cndmask_b32_e32 v32, v32, v4, vcc_lo
	v_cmp_eq_u32_e32 vcc_lo, 3, v0
	v_cndmask_b32_e32 v32, v32, v5, vcc_lo
	v_cmp_eq_u32_e32 vcc_lo, 4, v0
	s_delay_alu instid0(VALU_DEP_2) | instskip(SKIP_1) | instid1(VALU_DEP_2)
	v_cndmask_b32_e32 v32, v32, v6, vcc_lo
	;; [unrolled: 5-line block ×13, first 2 shown]
	v_cmp_eq_u32_e32 vcc_lo, 27, v0
	v_cndmask_b32_e32 v32, v32, v29, vcc_lo
	v_cmp_lt_u32_e32 vcc_lo, 25, v0
	s_wait_dscnt 0x0
	s_delay_alu instid0(VALU_DEP_2) | instskip(SKIP_1) | instid1(SALU_CYCLE_1)
	v_fmac_f32_e32 v30, v32, v33
	s_or_b32 s0, vcc_lo, s0
	s_and_not1_b32 exec_lo, exec_lo, s0
	s_cbranch_execnz .LBB27_687
; %bb.688:
	s_or_b32 exec_lo, exec_lo, s0
.LBB27_689:
	s_delay_alu instid0(SALU_CYCLE_1)
	s_or_b32 exec_lo, exec_lo, s2
	v_mov_b32_e32 v0, 0
	ds_load_b32 v0, v0 offset:108
	s_wait_dscnt 0x0
	v_mul_f32_e32 v29, v30, v0
.LBB27_690:
	s_or_b32 exec_lo, exec_lo, s1
	v_mov_b64_e32 v[64:65], v[32:33]
	s_delay_alu instid0(VALU_DEP_2)
	v_mov_b64_e32 v[60:61], v[28:29]
	v_mov_b64_e32 v[58:59], v[26:27]
	;; [unrolled: 1-line block ×15, first 2 shown]
.LBB27_691:
	s_wait_xcnt 0x3
	v_lshl_add_u64 v[0:1], v[66:67], 2, s[28:29]
	s_wait_loadcnt 0x3
	v_lshl_add_u64 v[2:3], v[68:69], 2, s[28:29]
	v_lshl_add_u64 v[4:5], v[70:71], 2, s[28:29]
	;; [unrolled: 1-line block ×12, first 2 shown]
	s_wait_loadcnt 0x2
	v_lshl_add_u64 v[26:27], v[92:93], 2, s[28:29]
	s_wait_loadcnt 0x0
	v_lshl_add_u64 v[28:29], v[94:95], 2, s[28:29]
	v_lshl_add_u64 v[30:31], v[96:97], 2, s[28:29]
	;; [unrolled: 1-line block ×12, first 2 shown]
	s_clause 0x1b
	global_store_b32 v[104:105], v34, off
	global_store_b32 v[108:109], v35, off
	;; [unrolled: 1-line block ×28, first 2 shown]
.LBB27_692:
	s_sendmsg sendmsg(MSG_DEALLOC_VGPRS)
	s_endpgm
	.section	.rodata,"a",@progbits
	.p2align	6, 0x0
	.amdhsa_kernel _ZN9rocsolver6v33100L18trti2_kernel_smallILi28EfPfEEv13rocblas_fill_17rocblas_diagonal_T1_iil
		.amdhsa_group_segment_fixed_size 224
		.amdhsa_private_segment_fixed_size 0
		.amdhsa_kernarg_size 32
		.amdhsa_user_sgpr_count 2
		.amdhsa_user_sgpr_dispatch_ptr 0
		.amdhsa_user_sgpr_queue_ptr 0
		.amdhsa_user_sgpr_kernarg_segment_ptr 1
		.amdhsa_user_sgpr_dispatch_id 0
		.amdhsa_user_sgpr_kernarg_preload_length 0
		.amdhsa_user_sgpr_kernarg_preload_offset 0
		.amdhsa_user_sgpr_private_segment_size 0
		.amdhsa_wavefront_size32 1
		.amdhsa_uses_dynamic_stack 0
		.amdhsa_enable_private_segment 0
		.amdhsa_system_sgpr_workgroup_id_x 1
		.amdhsa_system_sgpr_workgroup_id_y 0
		.amdhsa_system_sgpr_workgroup_id_z 0
		.amdhsa_system_sgpr_workgroup_info 0
		.amdhsa_system_vgpr_workitem_id 0
		.amdhsa_next_free_vgpr 137
		.amdhsa_next_free_sgpr 44
		.amdhsa_named_barrier_count 0
		.amdhsa_reserve_vcc 1
		.amdhsa_float_round_mode_32 0
		.amdhsa_float_round_mode_16_64 0
		.amdhsa_float_denorm_mode_32 3
		.amdhsa_float_denorm_mode_16_64 3
		.amdhsa_fp16_overflow 0
		.amdhsa_memory_ordered 1
		.amdhsa_forward_progress 1
		.amdhsa_inst_pref_size 255
		.amdhsa_round_robin_scheduling 0
		.amdhsa_exception_fp_ieee_invalid_op 0
		.amdhsa_exception_fp_denorm_src 0
		.amdhsa_exception_fp_ieee_div_zero 0
		.amdhsa_exception_fp_ieee_overflow 0
		.amdhsa_exception_fp_ieee_underflow 0
		.amdhsa_exception_fp_ieee_inexact 0
		.amdhsa_exception_int_div_zero 0
	.end_amdhsa_kernel
	.section	.text._ZN9rocsolver6v33100L18trti2_kernel_smallILi28EfPfEEv13rocblas_fill_17rocblas_diagonal_T1_iil,"axG",@progbits,_ZN9rocsolver6v33100L18trti2_kernel_smallILi28EfPfEEv13rocblas_fill_17rocblas_diagonal_T1_iil,comdat
.Lfunc_end27:
	.size	_ZN9rocsolver6v33100L18trti2_kernel_smallILi28EfPfEEv13rocblas_fill_17rocblas_diagonal_T1_iil, .Lfunc_end27-_ZN9rocsolver6v33100L18trti2_kernel_smallILi28EfPfEEv13rocblas_fill_17rocblas_diagonal_T1_iil
                                        ; -- End function
	.set _ZN9rocsolver6v33100L18trti2_kernel_smallILi28EfPfEEv13rocblas_fill_17rocblas_diagonal_T1_iil.num_vgpr, 137
	.set _ZN9rocsolver6v33100L18trti2_kernel_smallILi28EfPfEEv13rocblas_fill_17rocblas_diagonal_T1_iil.num_agpr, 0
	.set _ZN9rocsolver6v33100L18trti2_kernel_smallILi28EfPfEEv13rocblas_fill_17rocblas_diagonal_T1_iil.numbered_sgpr, 44
	.set _ZN9rocsolver6v33100L18trti2_kernel_smallILi28EfPfEEv13rocblas_fill_17rocblas_diagonal_T1_iil.num_named_barrier, 0
	.set _ZN9rocsolver6v33100L18trti2_kernel_smallILi28EfPfEEv13rocblas_fill_17rocblas_diagonal_T1_iil.private_seg_size, 0
	.set _ZN9rocsolver6v33100L18trti2_kernel_smallILi28EfPfEEv13rocblas_fill_17rocblas_diagonal_T1_iil.uses_vcc, 1
	.set _ZN9rocsolver6v33100L18trti2_kernel_smallILi28EfPfEEv13rocblas_fill_17rocblas_diagonal_T1_iil.uses_flat_scratch, 0
	.set _ZN9rocsolver6v33100L18trti2_kernel_smallILi28EfPfEEv13rocblas_fill_17rocblas_diagonal_T1_iil.has_dyn_sized_stack, 0
	.set _ZN9rocsolver6v33100L18trti2_kernel_smallILi28EfPfEEv13rocblas_fill_17rocblas_diagonal_T1_iil.has_recursion, 0
	.set _ZN9rocsolver6v33100L18trti2_kernel_smallILi28EfPfEEv13rocblas_fill_17rocblas_diagonal_T1_iil.has_indirect_call, 0
	.section	.AMDGPU.csdata,"",@progbits
; Kernel info:
; codeLenInByte = 49460
; TotalNumSgprs: 46
; NumVgprs: 137
; ScratchSize: 0
; MemoryBound: 0
; FloatMode: 240
; IeeeMode: 1
; LDSByteSize: 224 bytes/workgroup (compile time only)
; SGPRBlocks: 0
; VGPRBlocks: 8
; NumSGPRsForWavesPerEU: 46
; NumVGPRsForWavesPerEU: 137
; NamedBarCnt: 0
; Occupancy: 7
; WaveLimiterHint : 0
; COMPUTE_PGM_RSRC2:SCRATCH_EN: 0
; COMPUTE_PGM_RSRC2:USER_SGPR: 2
; COMPUTE_PGM_RSRC2:TRAP_HANDLER: 0
; COMPUTE_PGM_RSRC2:TGID_X_EN: 1
; COMPUTE_PGM_RSRC2:TGID_Y_EN: 0
; COMPUTE_PGM_RSRC2:TGID_Z_EN: 0
; COMPUTE_PGM_RSRC2:TIDIG_COMP_CNT: 0
	.section	.text._ZN9rocsolver6v33100L18trti2_kernel_smallILi29EfPfEEv13rocblas_fill_17rocblas_diagonal_T1_iil,"axG",@progbits,_ZN9rocsolver6v33100L18trti2_kernel_smallILi29EfPfEEv13rocblas_fill_17rocblas_diagonal_T1_iil,comdat
	.globl	_ZN9rocsolver6v33100L18trti2_kernel_smallILi29EfPfEEv13rocblas_fill_17rocblas_diagonal_T1_iil ; -- Begin function _ZN9rocsolver6v33100L18trti2_kernel_smallILi29EfPfEEv13rocblas_fill_17rocblas_diagonal_T1_iil
	.p2align	8
	.type	_ZN9rocsolver6v33100L18trti2_kernel_smallILi29EfPfEEv13rocblas_fill_17rocblas_diagonal_T1_iil,@function
_ZN9rocsolver6v33100L18trti2_kernel_smallILi29EfPfEEv13rocblas_fill_17rocblas_diagonal_T1_iil: ; @_ZN9rocsolver6v33100L18trti2_kernel_smallILi29EfPfEEv13rocblas_fill_17rocblas_diagonal_T1_iil
; %bb.0:
	s_mov_b32 s2, exec_lo
	v_cmpx_gt_u32_e32 29, v0
	s_cbranch_execz .LBB28_718
; %bb.1:
	s_load_b256 s[36:43], s[0:1], 0x0
	s_wait_xcnt 0x0
	s_bfe_u32 s0, ttmp6, 0x4000c
	s_and_b32 s1, ttmp6, 15
	s_add_co_i32 s0, s0, 1
	s_getreg_b32 s2, hwreg(HW_REG_IB_STS2, 6, 4)
	s_mul_i32 s0, ttmp9, s0
	v_mov_b32_e32 v1, 0
	s_add_co_i32 s0, s1, s0
	s_delay_alu instid0(VALU_DEP_1)
	v_mov_b32_e32 v35, v1
	s_wait_kmcnt 0x0
	v_add3_u32 v66, s41, s41, v0
	s_ashr_i32 s1, s40, 31
	s_cmp_eq_u32 s2, 0
	s_cselect_b32 s2, ttmp9, s0
	s_delay_alu instid0(VALU_DEP_1)
	v_add_nc_u32_e32 v68, s41, v66
	s_ashr_i32 s3, s2, 31
	s_mov_b32 s0, s40
	s_mul_u64 s[2:3], s[42:43], s[2:3]
	s_lshl_b64 s[0:1], s[0:1], 2
	v_add_nc_u32_e32 v70, s41, v68
	s_lshl_b64 s[2:3], s[2:3], 2
	s_delay_alu instid0(SALU_CYCLE_1) | instskip(NEXT) | instid1(VALU_DEP_1)
	s_add_nc_u64 s[2:3], s[38:39], s[2:3]
	v_add_nc_u32_e32 v72, s41, v70
	s_add_nc_u64 s[30:31], s[2:3], s[0:1]
	s_mov_b32 s0, s41
	s_ashr_i32 s1, s41, 31
	s_cmp_lg_u32 s37, 0x84
	v_add_nc_u32_e32 v74, s41, v72
	s_cselect_b32 s29, -1, 0
	s_cmp_eq_u32 s37, 0x84
	s_delay_alu instid0(VALU_DEP_1) | instskip(NEXT) | instid1(VALU_DEP_1)
	v_add_nc_u32_e32 v76, s41, v74
	v_add_nc_u32_e32 v78, s41, v76
	s_delay_alu instid0(VALU_DEP_1) | instskip(NEXT) | instid1(VALU_DEP_1)
	v_add_nc_u32_e32 v80, s41, v78
	v_add_nc_u32_e32 v82, s41, v80
	;; [unrolled: 3-line block ×7, first 2 shown]
	s_delay_alu instid0(VALU_DEP_1) | instskip(NEXT) | instid1(VALU_DEP_1)
	v_dual_lshlrev_b32 v34, 2, v0 :: v_dual_add_nc_u32 v106, s41, v102
	v_add_nc_u64_e32 v[104:105], s[30:31], v[34:35]
	s_delay_alu instid0(VALU_DEP_2) | instskip(NEXT) | instid1(VALU_DEP_2)
	v_dual_mov_b32 v35, -1.0 :: v_dual_add_nc_u32 v110, s41, v106
	v_lshl_add_u64 v[108:109], s[0:1], 2, v[104:105]
	s_clause 0x7
	global_load_b32 v3, v[108:109], off
	global_load_b32 v4, v66, s[30:31] scale_offset
	global_load_b32 v5, v68, s[30:31] scale_offset
	global_load_b32 v6, v70, s[30:31] scale_offset
	global_load_b32 v7, v72, s[30:31] scale_offset
	global_load_b32 v8, v74, s[30:31] scale_offset
	global_load_b32 v9, v76, s[30:31] scale_offset
	global_load_b32 v10, v78, s[30:31] scale_offset
	v_add_nc_u32_e32 v112, s41, v110
	s_clause 0x7
	global_load_b32 v11, v80, s[30:31] scale_offset
	global_load_b32 v12, v82, s[30:31] scale_offset
	;; [unrolled: 1-line block ×8, first 2 shown]
	v_cmp_eq_u32_e64 s0, 0, v0
	v_add_nc_u32_e32 v114, s41, v112
	s_delay_alu instid0(VALU_DEP_1) | instskip(NEXT) | instid1(VALU_DEP_1)
	v_add_nc_u32_e32 v116, s41, v114
	v_add_nc_u32_e32 v118, s41, v116
	s_clause 0x7
	global_load_b32 v19, v96, s[30:31] scale_offset
	global_load_b32 v20, v98, s[30:31] scale_offset
	;; [unrolled: 1-line block ×8, first 2 shown]
	v_add_nc_u32_e32 v120, s41, v118
	s_delay_alu instid0(VALU_DEP_1)
	v_add_nc_u32_e32 v122, s41, v120
	s_clause 0x4
	global_load_b32 v2, v0, s[30:31] scale_offset
	global_load_b32 v27, v116, s[30:31] scale_offset
	;; [unrolled: 1-line block ×5, first 2 shown]
	s_cbranch_scc1 .LBB28_3
; %bb.2:
	v_cmp_eq_u32_e64 s1, 1, v0
	v_cmp_eq_u32_e64 s2, 2, v0
	;; [unrolled: 1-line block ×5, first 2 shown]
	s_wait_loadcnt 0x4
	v_cndmask_b32_e64 v31, v2, v3, s1
	v_cmp_eq_u32_e64 s6, 6, v0
	v_cmp_eq_u32_e64 s7, 7, v0
	v_cmp_eq_u32_e64 s8, 8, v0
	v_cmp_eq_u32_e64 s9, 9, v0
	v_cndmask_b32_e64 v31, v31, v4, s2
	v_cmp_eq_u32_e64 s10, 10, v0
	v_cmp_eq_u32_e64 s11, 11, v0
	v_cmp_eq_u32_e64 s12, 12, v0
	v_cmp_eq_u32_e64 s13, 13, v0
	;; [unrolled: 5-line block ×5, first 2 shown]
	v_cndmask_b32_e64 v31, v31, v8, s6
	v_cmp_eq_u32_e64 s26, 26, v0
	v_cmp_eq_u32_e64 s27, 27, v0
	;; [unrolled: 1-line block ×3, first 2 shown]
	s_delay_alu instid0(VALU_DEP_4) | instskip(NEXT) | instid1(VALU_DEP_1)
	v_cndmask_b32_e64 v31, v31, v9, s7
	v_cndmask_b32_e64 v31, v31, v10, s8
	s_delay_alu instid0(VALU_DEP_1) | instskip(NEXT) | instid1(VALU_DEP_1)
	v_cndmask_b32_e64 v31, v31, v11, s9
	v_cndmask_b32_e64 v31, v31, v12, s10
	s_delay_alu instid0(VALU_DEP_1) | instskip(NEXT) | instid1(VALU_DEP_1)
	v_cndmask_b32_e64 v31, v31, v13, s11
	v_cndmask_b32_e64 v31, v31, v14, s12
	s_delay_alu instid0(VALU_DEP_1) | instskip(NEXT) | instid1(VALU_DEP_1)
	v_cndmask_b32_e64 v31, v31, v15, s13
	v_cndmask_b32_e64 v31, v31, v16, s14
	s_delay_alu instid0(VALU_DEP_1) | instskip(NEXT) | instid1(VALU_DEP_1)
	v_cndmask_b32_e64 v31, v31, v17, s15
	v_cndmask_b32_e64 v31, v31, v18, s16
	s_delay_alu instid0(VALU_DEP_1) | instskip(NEXT) | instid1(VALU_DEP_1)
	v_cndmask_b32_e64 v31, v31, v19, s17
	v_cndmask_b32_e64 v31, v31, v20, s18
	s_delay_alu instid0(VALU_DEP_1) | instskip(NEXT) | instid1(VALU_DEP_1)
	v_cndmask_b32_e64 v31, v31, v21, s19
	v_cndmask_b32_e64 v31, v31, v22, s20
	s_delay_alu instid0(VALU_DEP_1) | instskip(NEXT) | instid1(VALU_DEP_1)
	v_cndmask_b32_e64 v31, v31, v23, s21
	v_cndmask_b32_e64 v31, v31, v24, s22
	s_delay_alu instid0(VALU_DEP_1) | instskip(NEXT) | instid1(VALU_DEP_1)
	v_cndmask_b32_e64 v31, v31, v25, s23
	v_cndmask_b32_e64 v31, v31, v26, s24
	s_wait_loadcnt 0x3
	s_delay_alu instid0(VALU_DEP_1) | instskip(SKIP_1) | instid1(VALU_DEP_1)
	v_cndmask_b32_e64 v31, v31, v27, s25
	s_wait_loadcnt 0x2
	v_cndmask_b32_e64 v31, v31, v28, s26
	s_wait_loadcnt 0x1
	s_delay_alu instid0(VALU_DEP_1) | instskip(SKIP_1) | instid1(VALU_DEP_1)
	v_cndmask_b32_e64 v31, v31, v29, s27
	s_wait_loadcnt 0x0
	v_cndmask_b32_e64 v31, v31, v30, s28
	s_delay_alu instid0(VALU_DEP_1) | instskip(SKIP_1) | instid1(VALU_DEP_2)
	v_div_scale_f32 v32, null, v31, v31, 1.0
	v_div_scale_f32 v36, vcc_lo, 1.0, v31, 1.0
	v_rcp_f32_e32 v33, v32
	v_nop
	s_delay_alu instid0(TRANS32_DEP_1) | instskip(NEXT) | instid1(VALU_DEP_1)
	v_fma_f32 v35, -v32, v33, 1.0
	v_fmac_f32_e32 v33, v35, v33
	s_delay_alu instid0(VALU_DEP_1) | instskip(NEXT) | instid1(VALU_DEP_1)
	v_mul_f32_e32 v35, v36, v33
	v_fma_f32 v37, -v32, v35, v36
	s_delay_alu instid0(VALU_DEP_1) | instskip(NEXT) | instid1(VALU_DEP_1)
	v_fmac_f32_e32 v35, v37, v33
	v_fma_f32 v32, -v32, v35, v36
	s_delay_alu instid0(VALU_DEP_1) | instskip(NEXT) | instid1(VALU_DEP_1)
	v_div_fmas_f32 v32, v32, v33, v35
	v_div_fixup_f32 v31, v32, v31, 1.0
	s_delay_alu instid0(VALU_DEP_1)
	v_dual_cndmask_b32 v30, v30, v31, s28 :: v_dual_cndmask_b32 v29, v29, v31, s27
	v_dual_cndmask_b32 v28, v28, v31, s26 :: v_dual_cndmask_b32 v27, v27, v31, s25
	;; [unrolled: 1-line block ×14, first 2 shown]
	v_cndmask_b32_e64 v2, v2, v31, s0
	v_xor_b32_e32 v35, 0x80000000, v31
.LBB28_3:
	v_dual_ashrrev_i32 v67, 31, v66 :: v_dual_ashrrev_i32 v69, 31, v68
	v_dual_ashrrev_i32 v71, 31, v70 :: v_dual_ashrrev_i32 v73, 31, v72
	;; [unrolled: 1-line block ×12, first 2 shown]
	v_ashrrev_i32_e32 v115, 31, v114
	v_ashrrev_i32_e32 v119, 31, v118
	;; [unrolled: 1-line block ×3, first 2 shown]
	v_add_nc_u32_e32 v127, 0x80, v34
	s_cmp_eq_u32 s36, 0x79
	ds_store_b32 v34, v35
	s_cbranch_scc1 .LBB28_7
; %bb.4:
	s_wait_loadcnt 0x0
	v_mov_b64_e32 v[64:65], v[32:33]
	v_mov_b64_e32 v[62:63], v[30:31]
	;; [unrolled: 1-line block ×16, first 2 shown]
	v_cmp_eq_u32_e64 s1, 28, v0
	ds_store_b32 v127, v29
	s_wait_dscnt 0x0
	s_barrier_signal -1
	s_barrier_wait -1
	s_and_saveexec_b32 s0, s1
	s_cbranch_execz .LBB28_11
; %bb.5:
	s_and_b32 vcc_lo, exec_lo, s29
	s_cbranch_vccz .LBB28_8
; %bb.6:
	v_cmp_eq_u32_e32 vcc_lo, 1, v0
	ds_load_b32 v35, v127
	v_cndmask_b32_e32 v34, v2, v3, vcc_lo
	v_cmp_eq_u32_e32 vcc_lo, 2, v0
	s_delay_alu instid0(VALU_DEP_2) | instskip(SKIP_1) | instid1(VALU_DEP_2)
	v_cndmask_b32_e32 v34, v34, v4, vcc_lo
	v_cmp_eq_u32_e32 vcc_lo, 3, v0
	v_cndmask_b32_e32 v34, v34, v5, vcc_lo
	v_cmp_eq_u32_e32 vcc_lo, 4, v0
	s_delay_alu instid0(VALU_DEP_2) | instskip(SKIP_1) | instid1(VALU_DEP_2)
	v_cndmask_b32_e32 v34, v34, v6, vcc_lo
	v_cmp_eq_u32_e32 vcc_lo, 5, v0
	;; [unrolled: 5-line block ×13, first 2 shown]
	v_cndmask_b32_e32 v34, v34, v29, vcc_lo
	v_cmp_eq_u32_e32 vcc_lo, 28, v0
	s_delay_alu instid0(VALU_DEP_2) | instskip(SKIP_1) | instid1(VALU_DEP_1)
	v_cndmask_b32_e32 v34, v34, v30, vcc_lo
	s_wait_dscnt 0x0
	v_mul_f32_e32 v57, v34, v35
	s_cbranch_execz .LBB28_9
	s_branch .LBB28_10
.LBB28_7:
                                        ; implicit-def: $vgpr34_vgpr35_vgpr36_vgpr37_vgpr38_vgpr39_vgpr40_vgpr41_vgpr42_vgpr43_vgpr44_vgpr45_vgpr46_vgpr47_vgpr48_vgpr49_vgpr50_vgpr51_vgpr52_vgpr53_vgpr54_vgpr55_vgpr56_vgpr57_vgpr58_vgpr59_vgpr60_vgpr61_vgpr62_vgpr63_vgpr64_vgpr65
	s_cbranch_execnz .LBB28_434
	s_branch .LBB28_717
.LBB28_8:
                                        ; implicit-def: $vgpr57
.LBB28_9:
	ds_load_b32 v57, v127
.LBB28_10:
	v_dual_mov_b32 v38, 0 :: v_dual_mov_b32 v34, v2
	v_dual_mov_b32 v35, v3 :: v_dual_mov_b32 v36, v4
	v_mov_b32_e32 v37, v5
	ds_load_b32 v58, v38 offset:108
	v_dual_mov_b32 v38, v6 :: v_dual_mov_b32 v39, v7
	v_dual_mov_b32 v40, v8 :: v_dual_mov_b32 v41, v9
	;; [unrolled: 1-line block ×9, first 2 shown]
	s_wait_dscnt 0x0
	v_dual_mov_b32 v56, v24 :: v_dual_mul_f32 v61, v57, v58
	v_dual_mov_b32 v58, v26 :: v_dual_mov_b32 v57, v25
	v_dual_mov_b32 v59, v27 :: v_dual_mov_b32 v60, v28
	v_mov_b32_e32 v62, v30
.LBB28_11:
	s_or_b32 exec_lo, exec_lo, s0
	v_cmp_lt_u32_e64 s0, 26, v0
	ds_store_b32 v127, v60
	s_wait_dscnt 0x0
	s_barrier_signal -1
	s_barrier_wait -1
	s_and_saveexec_b32 s2, s0
	s_cbranch_execz .LBB28_17
; %bb.12:
	s_and_not1_b32 vcc_lo, exec_lo, s29
	s_cbranch_vccnz .LBB28_14
; %bb.13:
	v_cmp_eq_u32_e32 vcc_lo, 1, v0
	ds_load_b32 v64, v127
	v_cndmask_b32_e32 v63, v34, v35, vcc_lo
	v_cmp_eq_u32_e32 vcc_lo, 2, v0
	s_delay_alu instid0(VALU_DEP_2) | instskip(SKIP_1) | instid1(VALU_DEP_2)
	v_cndmask_b32_e32 v63, v63, v36, vcc_lo
	v_cmp_eq_u32_e32 vcc_lo, 3, v0
	v_cndmask_b32_e32 v63, v63, v37, vcc_lo
	v_cmp_eq_u32_e32 vcc_lo, 4, v0
	s_delay_alu instid0(VALU_DEP_2) | instskip(SKIP_1) | instid1(VALU_DEP_2)
	v_cndmask_b32_e32 v63, v63, v38, vcc_lo
	v_cmp_eq_u32_e32 vcc_lo, 5, v0
	v_cndmask_b32_e32 v63, v63, v39, vcc_lo
	v_cmp_eq_u32_e32 vcc_lo, 6, v0
	s_delay_alu instid0(VALU_DEP_2) | instskip(SKIP_1) | instid1(VALU_DEP_2)
	v_cndmask_b32_e32 v63, v63, v40, vcc_lo
	v_cmp_eq_u32_e32 vcc_lo, 7, v0
	v_cndmask_b32_e32 v63, v63, v41, vcc_lo
	v_cmp_eq_u32_e32 vcc_lo, 8, v0
	s_delay_alu instid0(VALU_DEP_2) | instskip(SKIP_1) | instid1(VALU_DEP_2)
	v_cndmask_b32_e32 v63, v63, v42, vcc_lo
	v_cmp_eq_u32_e32 vcc_lo, 9, v0
	v_cndmask_b32_e32 v63, v63, v43, vcc_lo
	v_cmp_eq_u32_e32 vcc_lo, 10, v0
	s_delay_alu instid0(VALU_DEP_2) | instskip(SKIP_1) | instid1(VALU_DEP_2)
	v_cndmask_b32_e32 v63, v63, v44, vcc_lo
	v_cmp_eq_u32_e32 vcc_lo, 11, v0
	v_cndmask_b32_e32 v63, v63, v45, vcc_lo
	v_cmp_eq_u32_e32 vcc_lo, 12, v0
	s_delay_alu instid0(VALU_DEP_2) | instskip(SKIP_1) | instid1(VALU_DEP_2)
	v_cndmask_b32_e32 v63, v63, v46, vcc_lo
	v_cmp_eq_u32_e32 vcc_lo, 13, v0
	v_cndmask_b32_e32 v63, v63, v47, vcc_lo
	v_cmp_eq_u32_e32 vcc_lo, 14, v0
	s_delay_alu instid0(VALU_DEP_2) | instskip(SKIP_1) | instid1(VALU_DEP_2)
	v_cndmask_b32_e32 v63, v63, v48, vcc_lo
	v_cmp_eq_u32_e32 vcc_lo, 15, v0
	v_cndmask_b32_e32 v63, v63, v49, vcc_lo
	v_cmp_eq_u32_e32 vcc_lo, 16, v0
	s_delay_alu instid0(VALU_DEP_2) | instskip(SKIP_1) | instid1(VALU_DEP_2)
	v_cndmask_b32_e32 v63, v63, v50, vcc_lo
	v_cmp_eq_u32_e32 vcc_lo, 17, v0
	v_cndmask_b32_e32 v63, v63, v51, vcc_lo
	v_cmp_eq_u32_e32 vcc_lo, 18, v0
	s_delay_alu instid0(VALU_DEP_2) | instskip(SKIP_1) | instid1(VALU_DEP_2)
	v_cndmask_b32_e32 v63, v63, v52, vcc_lo
	v_cmp_eq_u32_e32 vcc_lo, 19, v0
	v_cndmask_b32_e32 v63, v63, v53, vcc_lo
	v_cmp_eq_u32_e32 vcc_lo, 20, v0
	s_delay_alu instid0(VALU_DEP_2) | instskip(SKIP_1) | instid1(VALU_DEP_2)
	v_cndmask_b32_e32 v63, v63, v54, vcc_lo
	v_cmp_eq_u32_e32 vcc_lo, 21, v0
	v_cndmask_b32_e32 v63, v63, v55, vcc_lo
	v_cmp_eq_u32_e32 vcc_lo, 22, v0
	s_delay_alu instid0(VALU_DEP_2) | instskip(SKIP_1) | instid1(VALU_DEP_2)
	v_cndmask_b32_e32 v63, v63, v56, vcc_lo
	v_cmp_eq_u32_e32 vcc_lo, 23, v0
	v_cndmask_b32_e32 v63, v63, v57, vcc_lo
	v_cmp_eq_u32_e32 vcc_lo, 24, v0
	s_delay_alu instid0(VALU_DEP_2) | instskip(SKIP_1) | instid1(VALU_DEP_2)
	v_cndmask_b32_e32 v63, v63, v58, vcc_lo
	v_cmp_eq_u32_e32 vcc_lo, 25, v0
	v_cndmask_b32_e32 v63, v63, v59, vcc_lo
	v_cmp_eq_u32_e32 vcc_lo, 26, v0
	s_delay_alu instid0(VALU_DEP_2) | instskip(SKIP_1) | instid1(VALU_DEP_2)
	v_cndmask_b32_e32 v60, v63, v60, vcc_lo
	v_cmp_eq_u32_e32 vcc_lo, 27, v0
	v_cndmask_b32_e32 v60, v60, v61, vcc_lo
	v_cmp_eq_u32_e32 vcc_lo, 28, v0
	s_delay_alu instid0(VALU_DEP_2) | instskip(SKIP_1) | instid1(VALU_DEP_1)
	v_cndmask_b32_e32 v60, v60, v62, vcc_lo
	s_wait_dscnt 0x0
	v_mul_f32_e32 v60, v60, v64
	s_cbranch_execz .LBB28_15
	s_branch .LBB28_16
.LBB28_14:
                                        ; implicit-def: $vgpr60
.LBB28_15:
	ds_load_b32 v60, v127
.LBB28_16:
	v_mov_b32_e32 v63, 0
	ds_load_2addr_b32 v[64:65], v63 offset0:26 offset1:59
	s_wait_dscnt 0x0
	v_fma_f32 v63, v61, v65, v60
	s_delay_alu instid0(VALU_DEP_1) | instskip(NEXT) | instid1(VALU_DEP_1)
	v_cndmask_b32_e64 v60, v60, v63, s1
	v_mul_f32_e32 v60, v60, v64
.LBB28_17:
	s_or_b32 exec_lo, exec_lo, s2
	v_cmp_lt_u32_e64 s1, 25, v0
	ds_store_b32 v127, v59
	s_wait_dscnt 0x0
	s_barrier_signal -1
	s_barrier_wait -1
	s_and_saveexec_b32 s4, s1
	s_cbranch_execz .LBB28_33
; %bb.18:
	s_and_not1_b32 vcc_lo, exec_lo, s29
	s_cbranch_vccnz .LBB28_20
; %bb.19:
	v_cmp_eq_u32_e32 vcc_lo, 1, v0
	ds_load_b32 v125, v127
	v_cndmask_b32_e32 v124, v34, v35, vcc_lo
	v_cmp_eq_u32_e32 vcc_lo, 2, v0
	s_delay_alu instid0(VALU_DEP_2) | instskip(SKIP_1) | instid1(VALU_DEP_2)
	v_cndmask_b32_e32 v124, v124, v36, vcc_lo
	v_cmp_eq_u32_e32 vcc_lo, 3, v0
	v_cndmask_b32_e32 v124, v124, v37, vcc_lo
	v_cmp_eq_u32_e32 vcc_lo, 4, v0
	s_delay_alu instid0(VALU_DEP_2) | instskip(SKIP_1) | instid1(VALU_DEP_2)
	v_cndmask_b32_e32 v124, v124, v38, vcc_lo
	v_cmp_eq_u32_e32 vcc_lo, 5, v0
	;; [unrolled: 5-line block ×13, first 2 shown]
	v_cndmask_b32_e32 v124, v124, v61, vcc_lo
	v_cmp_eq_u32_e32 vcc_lo, 28, v0
	s_delay_alu instid0(VALU_DEP_2) | instskip(SKIP_1) | instid1(VALU_DEP_1)
	v_cndmask_b32_e32 v124, v124, v62, vcc_lo
	s_wait_dscnt 0x0
	v_mul_f32_e32 v128, v124, v125
	s_cbranch_execz .LBB28_21
	s_branch .LBB28_22
.LBB28_20:
                                        ; implicit-def: $vgpr128
.LBB28_21:
	ds_load_b32 v128, v127
.LBB28_22:
	s_and_saveexec_b32 s5, s0
	s_cbranch_execz .LBB28_32
; %bb.23:
	v_subrev_nc_u32_e32 v126, 27, v0
	v_mov_b32_e32 v124, 26
	v_subrev_nc_u32_e32 v125, 26, v0
	s_mov_b32 s0, exec_lo
	s_delay_alu instid0(VALU_DEP_3)
	v_cmpx_lt_u32_e32 6, v126
	s_cbranch_execz .LBB28_27
; %bb.24:
	s_delay_alu instid0(VALU_DEP_2) | instskip(SKIP_3) | instid1(VALU_DEP_1)
	v_and_b32_e32 v124, -8, v125
	s_mov_b32 s6, 0
	s_mov_b64 s[2:3], 33
	s_movk_i32 s7, 0xe8
	v_sub_nc_u32_e32 v126, 0, v124
.LBB28_25:                              ; =>This Inner Loop Header: Depth=1
	s_add_co_i32 m0, s2, -7
	v_movrels_b32_e32 v129, v34
	v_mov_b32_e32 v124, s7
	s_add_co_i32 m0, s2, -6
	s_add_co_i32 s7, s7, 32
	v_movrels_b32_e32 v138, v34
	s_add_co_i32 m0, s2, -5
	ds_load_2addr_b64 v[130:133], v124 offset1:1
	ds_load_2addr_b64 v[134:137], v124 offset0:2 offset1:3
	v_movrels_b32_e32 v124, v34
	s_add_co_i32 m0, s2, -4
	s_wait_dscnt 0x1
	v_fmac_f32_e32 v128, v129, v130
	v_movrels_b32_e32 v129, v34
	s_add_co_i32 m0, s2, -3
	s_delay_alu instid0(VALU_DEP_2) | instskip(NEXT) | instid1(VALU_DEP_1)
	v_fmac_f32_e32 v128, v138, v131
	v_fmac_f32_e32 v128, v124, v132
	v_movrels_b32_e32 v124, v34
	s_add_co_i32 m0, s2, -2
	s_delay_alu instid0(VALU_DEP_2) | instskip(SKIP_3) | instid1(VALU_DEP_2)
	v_fmac_f32_e32 v128, v129, v133
	v_movrels_b32_e32 v129, v34
	s_add_co_i32 m0, s2, -1
	s_wait_dscnt 0x0
	v_fmac_f32_e32 v128, v124, v134
	v_movrels_b32_e32 v124, v34
	s_mov_b32 m0, s2
	s_add_nc_u64 s[2:3], s[2:3], 8
	v_movrels_b32_e32 v130, v34
	v_dual_fmac_f32 v128, v129, v135 :: v_dual_add_nc_u32 v129, s2, v126
	s_add_co_i32 s8, s2, -7
	s_delay_alu instid0(VALU_DEP_1) | instskip(NEXT) | instid1(VALU_DEP_2)
	v_fmac_f32_e32 v128, v124, v136
	v_cmp_eq_u32_e32 vcc_lo, 33, v129
	s_delay_alu instid0(VALU_DEP_2) | instskip(SKIP_1) | instid1(SALU_CYCLE_1)
	v_dual_mov_b32 v124, s8 :: v_dual_fmac_f32 v128, v130, v137
	s_or_b32 s6, vcc_lo, s6
	s_and_not1_b32 exec_lo, exec_lo, s6
	s_cbranch_execnz .LBB28_25
; %bb.26:
	s_or_b32 exec_lo, exec_lo, s6
.LBB28_27:
	s_delay_alu instid0(SALU_CYCLE_1) | instskip(SKIP_3) | instid1(VALU_DEP_1)
	s_or_b32 exec_lo, exec_lo, s0
	v_and_b32_e32 v63, 7, v125
	s_mov_b32 s2, 0
	s_mov_b32 s0, exec_lo
	v_cmpx_ne_u32_e32 0, v63
	s_cbranch_execz .LBB28_31
; %bb.28:
	v_lshl_add_u32 v64, v124, 2, 0x80
	v_mov_b32_e32 v125, 0
.LBB28_29:                              ; =>This Inner Loop Header: Depth=1
	v_cmp_eq_u32_e32 vcc_lo, 1, v124
	ds_load_b32 v126, v64
	v_dual_add_nc_u32 v64, 4, v64 :: v_dual_add_nc_u32 v63, -1, v63
	v_cndmask_b32_e32 v65, v34, v35, vcc_lo
	v_cmp_eq_u32_e32 vcc_lo, 2, v124
	s_delay_alu instid0(VALU_DEP_2) | instskip(SKIP_1) | instid1(VALU_DEP_2)
	v_cndmask_b32_e32 v65, v65, v36, vcc_lo
	v_cmp_eq_u32_e32 vcc_lo, 3, v124
	v_cndmask_b32_e32 v65, v65, v37, vcc_lo
	v_cmp_eq_u32_e32 vcc_lo, 4, v124
	s_delay_alu instid0(VALU_DEP_2) | instskip(SKIP_1) | instid1(VALU_DEP_2)
	v_cndmask_b32_e32 v65, v65, v38, vcc_lo
	v_cmp_eq_u32_e32 vcc_lo, 5, v124
	;; [unrolled: 5-line block ×13, first 2 shown]
	v_cndmask_b32_e32 v65, v65, v61, vcc_lo
	v_cmp_eq_u32_e32 vcc_lo, 28, v124
	v_add_nc_u64_e32 v[124:125], 1, v[124:125]
	s_delay_alu instid0(VALU_DEP_3) | instskip(SKIP_2) | instid1(VALU_DEP_2)
	v_cndmask_b32_e32 v65, v65, v62, vcc_lo
	v_cmp_eq_u32_e32 vcc_lo, 0, v63
	s_wait_dscnt 0x0
	v_fmac_f32_e32 v128, v65, v126
	s_or_b32 s2, vcc_lo, s2
	s_delay_alu instid0(SALU_CYCLE_1)
	s_and_not1_b32 exec_lo, exec_lo, s2
	s_cbranch_execnz .LBB28_29
; %bb.30:
	s_or_b32 exec_lo, exec_lo, s2
.LBB28_31:
	s_delay_alu instid0(SALU_CYCLE_1)
	s_or_b32 exec_lo, exec_lo, s0
.LBB28_32:
	s_delay_alu instid0(SALU_CYCLE_1)
	s_or_b32 exec_lo, exec_lo, s5
	v_mov_b32_e32 v59, 0
	ds_load_b32 v59, v59 offset:100
	s_wait_dscnt 0x0
	v_mul_f32_e32 v59, v128, v59
.LBB28_33:
	s_or_b32 exec_lo, exec_lo, s4
	v_cmp_lt_u32_e64 s0, 24, v0
	ds_store_b32 v127, v58
	s_wait_dscnt 0x0
	s_barrier_signal -1
	s_barrier_wait -1
	s_and_saveexec_b32 s4, s0
	s_cbranch_execz .LBB28_49
; %bb.34:
	s_and_not1_b32 vcc_lo, exec_lo, s29
	s_cbranch_vccnz .LBB28_36
; %bb.35:
	v_cmp_eq_u32_e32 vcc_lo, 1, v0
	ds_load_b32 v125, v127
	v_cndmask_b32_e32 v124, v34, v35, vcc_lo
	v_cmp_eq_u32_e32 vcc_lo, 2, v0
	s_delay_alu instid0(VALU_DEP_2) | instskip(SKIP_1) | instid1(VALU_DEP_2)
	v_cndmask_b32_e32 v124, v124, v36, vcc_lo
	v_cmp_eq_u32_e32 vcc_lo, 3, v0
	v_cndmask_b32_e32 v124, v124, v37, vcc_lo
	v_cmp_eq_u32_e32 vcc_lo, 4, v0
	s_delay_alu instid0(VALU_DEP_2) | instskip(SKIP_1) | instid1(VALU_DEP_2)
	v_cndmask_b32_e32 v124, v124, v38, vcc_lo
	v_cmp_eq_u32_e32 vcc_lo, 5, v0
	;; [unrolled: 5-line block ×13, first 2 shown]
	v_cndmask_b32_e32 v124, v124, v61, vcc_lo
	v_cmp_eq_u32_e32 vcc_lo, 28, v0
	s_delay_alu instid0(VALU_DEP_2) | instskip(SKIP_1) | instid1(VALU_DEP_1)
	v_cndmask_b32_e32 v124, v124, v62, vcc_lo
	s_wait_dscnt 0x0
	v_mul_f32_e32 v128, v124, v125
	s_cbranch_execz .LBB28_37
	s_branch .LBB28_38
.LBB28_36:
                                        ; implicit-def: $vgpr128
.LBB28_37:
	ds_load_b32 v128, v127
.LBB28_38:
	s_and_saveexec_b32 s5, s1
	s_cbranch_execz .LBB28_48
; %bb.39:
	v_subrev_nc_u32_e32 v126, 26, v0
	v_mov_b32_e32 v124, 25
	v_subrev_nc_u32_e32 v125, 25, v0
	s_mov_b32 s1, exec_lo
	s_delay_alu instid0(VALU_DEP_3)
	v_cmpx_lt_u32_e32 6, v126
	s_cbranch_execz .LBB28_43
; %bb.40:
	s_delay_alu instid0(VALU_DEP_2) | instskip(SKIP_3) | instid1(VALU_DEP_1)
	v_and_b32_e32 v124, -8, v125
	s_mov_b32 s6, 0
	s_mov_b64 s[2:3], 32
	s_movk_i32 s7, 0xe4
	v_sub_nc_u32_e32 v126, 0, v124
.LBB28_41:                              ; =>This Inner Loop Header: Depth=1
	s_add_co_i32 m0, s2, -7
	v_movrels_b32_e32 v129, v34
	v_mov_b32_e32 v124, s7
	s_add_co_i32 m0, s2, -6
	s_add_co_i32 s7, s7, 32
	v_movrels_b32_e32 v138, v34
	ds_load_2addr_b32 v[130:131], v124 offset1:1
	ds_load_2addr_b32 v[132:133], v124 offset0:2 offset1:3
	s_add_co_i32 m0, s2, -5
	s_wait_dscnt 0x1
	v_fmac_f32_e32 v128, v129, v130
	ds_load_2addr_b32 v[134:135], v124 offset0:4 offset1:5
	ds_load_2addr_b32 v[136:137], v124 offset0:6 offset1:7
	v_movrels_b32_e32 v124, v34
	s_add_co_i32 m0, s2, -4
	v_fmac_f32_e32 v128, v138, v131
	v_movrels_b32_e32 v129, v34
	s_add_co_i32 m0, s2, -3
	s_wait_dscnt 0x2
	s_delay_alu instid0(VALU_DEP_2) | instskip(SKIP_2) | instid1(VALU_DEP_2)
	v_fmac_f32_e32 v128, v124, v132
	v_movrels_b32_e32 v124, v34
	s_add_co_i32 m0, s2, -2
	v_fmac_f32_e32 v128, v129, v133
	v_movrels_b32_e32 v129, v34
	s_add_co_i32 m0, s2, -1
	s_wait_dscnt 0x1
	s_delay_alu instid0(VALU_DEP_2)
	v_fmac_f32_e32 v128, v124, v134
	v_movrels_b32_e32 v124, v34
	s_mov_b32 m0, s2
	s_add_nc_u64 s[2:3], s[2:3], 8
	v_movrels_b32_e32 v130, v34
	v_dual_fmac_f32 v128, v129, v135 :: v_dual_add_nc_u32 v129, s2, v126
	s_add_co_i32 s8, s2, -7
	s_wait_dscnt 0x0
	s_delay_alu instid0(VALU_DEP_1) | instskip(NEXT) | instid1(VALU_DEP_2)
	v_fmac_f32_e32 v128, v124, v136
	v_cmp_eq_u32_e32 vcc_lo, 32, v129
	s_delay_alu instid0(VALU_DEP_2) | instskip(SKIP_1) | instid1(SALU_CYCLE_1)
	v_dual_mov_b32 v124, s8 :: v_dual_fmac_f32 v128, v130, v137
	s_or_b32 s6, vcc_lo, s6
	s_and_not1_b32 exec_lo, exec_lo, s6
	s_cbranch_execnz .LBB28_41
; %bb.42:
	s_or_b32 exec_lo, exec_lo, s6
.LBB28_43:
	s_delay_alu instid0(SALU_CYCLE_1) | instskip(SKIP_3) | instid1(VALU_DEP_1)
	s_or_b32 exec_lo, exec_lo, s1
	v_and_b32_e32 v63, 7, v125
	s_mov_b32 s2, 0
	s_mov_b32 s1, exec_lo
	v_cmpx_ne_u32_e32 0, v63
	s_cbranch_execz .LBB28_47
; %bb.44:
	v_lshl_add_u32 v64, v124, 2, 0x80
	v_mov_b32_e32 v125, 0
.LBB28_45:                              ; =>This Inner Loop Header: Depth=1
	v_cmp_eq_u32_e32 vcc_lo, 1, v124
	ds_load_b32 v126, v64
	v_dual_add_nc_u32 v64, 4, v64 :: v_dual_add_nc_u32 v63, -1, v63
	v_cndmask_b32_e32 v65, v34, v35, vcc_lo
	v_cmp_eq_u32_e32 vcc_lo, 2, v124
	s_delay_alu instid0(VALU_DEP_2) | instskip(SKIP_1) | instid1(VALU_DEP_2)
	v_cndmask_b32_e32 v65, v65, v36, vcc_lo
	v_cmp_eq_u32_e32 vcc_lo, 3, v124
	v_cndmask_b32_e32 v65, v65, v37, vcc_lo
	v_cmp_eq_u32_e32 vcc_lo, 4, v124
	s_delay_alu instid0(VALU_DEP_2) | instskip(SKIP_1) | instid1(VALU_DEP_2)
	v_cndmask_b32_e32 v65, v65, v38, vcc_lo
	v_cmp_eq_u32_e32 vcc_lo, 5, v124
	;; [unrolled: 5-line block ×13, first 2 shown]
	v_cndmask_b32_e32 v65, v65, v61, vcc_lo
	v_cmp_eq_u32_e32 vcc_lo, 28, v124
	v_add_nc_u64_e32 v[124:125], 1, v[124:125]
	s_delay_alu instid0(VALU_DEP_3) | instskip(SKIP_2) | instid1(VALU_DEP_2)
	v_cndmask_b32_e32 v65, v65, v62, vcc_lo
	v_cmp_eq_u32_e32 vcc_lo, 0, v63
	s_wait_dscnt 0x0
	v_fmac_f32_e32 v128, v65, v126
	s_or_b32 s2, vcc_lo, s2
	s_delay_alu instid0(SALU_CYCLE_1)
	s_and_not1_b32 exec_lo, exec_lo, s2
	s_cbranch_execnz .LBB28_45
; %bb.46:
	s_or_b32 exec_lo, exec_lo, s2
.LBB28_47:
	s_delay_alu instid0(SALU_CYCLE_1)
	s_or_b32 exec_lo, exec_lo, s1
.LBB28_48:
	s_delay_alu instid0(SALU_CYCLE_1)
	s_or_b32 exec_lo, exec_lo, s5
	v_mov_b32_e32 v58, 0
	ds_load_b32 v58, v58 offset:96
	s_wait_dscnt 0x0
	v_mul_f32_e32 v58, v128, v58
.LBB28_49:
	s_or_b32 exec_lo, exec_lo, s4
	v_cmp_lt_u32_e64 s1, 23, v0
	ds_store_b32 v127, v57
	s_wait_dscnt 0x0
	s_barrier_signal -1
	s_barrier_wait -1
	s_and_saveexec_b32 s4, s1
	s_cbranch_execz .LBB28_65
; %bb.50:
	s_and_not1_b32 vcc_lo, exec_lo, s29
	s_cbranch_vccnz .LBB28_52
; %bb.51:
	v_cmp_eq_u32_e32 vcc_lo, 1, v0
	ds_load_b32 v125, v127
	v_cndmask_b32_e32 v124, v34, v35, vcc_lo
	v_cmp_eq_u32_e32 vcc_lo, 2, v0
	s_delay_alu instid0(VALU_DEP_2) | instskip(SKIP_1) | instid1(VALU_DEP_2)
	v_cndmask_b32_e32 v124, v124, v36, vcc_lo
	v_cmp_eq_u32_e32 vcc_lo, 3, v0
	v_cndmask_b32_e32 v124, v124, v37, vcc_lo
	v_cmp_eq_u32_e32 vcc_lo, 4, v0
	s_delay_alu instid0(VALU_DEP_2) | instskip(SKIP_1) | instid1(VALU_DEP_2)
	v_cndmask_b32_e32 v124, v124, v38, vcc_lo
	v_cmp_eq_u32_e32 vcc_lo, 5, v0
	;; [unrolled: 5-line block ×13, first 2 shown]
	v_cndmask_b32_e32 v124, v124, v61, vcc_lo
	v_cmp_eq_u32_e32 vcc_lo, 28, v0
	s_delay_alu instid0(VALU_DEP_2) | instskip(SKIP_1) | instid1(VALU_DEP_1)
	v_cndmask_b32_e32 v124, v124, v62, vcc_lo
	s_wait_dscnt 0x0
	v_mul_f32_e32 v128, v124, v125
	s_cbranch_execz .LBB28_53
	s_branch .LBB28_54
.LBB28_52:
                                        ; implicit-def: $vgpr128
.LBB28_53:
	ds_load_b32 v128, v127
.LBB28_54:
	s_and_saveexec_b32 s5, s0
	s_cbranch_execz .LBB28_64
; %bb.55:
	v_subrev_nc_u32_e32 v124, 25, v0
	s_delay_alu instid0(VALU_DEP_1)
	v_cmp_lt_u32_e32 vcc_lo, 6, v124
	v_mov_b32_e32 v124, 24
	s_and_saveexec_b32 s0, vcc_lo
	s_cbranch_execz .LBB28_59
; %bb.56:
	v_and_b32_e32 v124, 24, v0
	s_mov_b32 s6, 0
	s_mov_b64 s[2:3], 31
	s_movk_i32 s7, 0xe0
	s_delay_alu instid0(VALU_DEP_1)
	v_sub_nc_u32_e32 v126, 0, v124
.LBB28_57:                              ; =>This Inner Loop Header: Depth=1
	s_add_co_i32 m0, s2, -7
	v_movrels_b32_e32 v125, v34
	v_mov_b32_e32 v124, s7
	s_add_co_i32 m0, s2, -6
	s_add_co_i32 s7, s7, 32
	v_movrels_b32_e32 v129, v34
	s_add_co_i32 m0, s2, -5
	ds_load_b128 v[130:133], v124
	ds_load_b128 v[134:137], v124 offset:16
	v_movrels_b32_e32 v124, v34
	s_add_co_i32 m0, s2, -4
	s_wait_dscnt 0x1
	v_fmac_f32_e32 v128, v125, v130
	v_movrels_b32_e32 v125, v34
	s_add_co_i32 m0, s2, -3
	s_delay_alu instid0(VALU_DEP_2) | instskip(NEXT) | instid1(VALU_DEP_1)
	v_fmac_f32_e32 v128, v129, v131
	v_fmac_f32_e32 v128, v124, v132
	v_movrels_b32_e32 v124, v34
	s_add_co_i32 m0, s2, -2
	s_delay_alu instid0(VALU_DEP_2) | instskip(SKIP_3) | instid1(VALU_DEP_2)
	v_fmac_f32_e32 v128, v125, v133
	v_movrels_b32_e32 v125, v34
	s_add_co_i32 m0, s2, -1
	s_wait_dscnt 0x0
	v_fmac_f32_e32 v128, v124, v134
	v_movrels_b32_e32 v124, v34
	s_mov_b32 m0, s2
	s_add_nc_u64 s[2:3], s[2:3], 8
	v_movrels_b32_e32 v129, v34
	v_dual_fmac_f32 v128, v125, v135 :: v_dual_add_nc_u32 v125, s2, v126
	s_add_co_i32 s8, s2, -7
	s_delay_alu instid0(VALU_DEP_1) | instskip(NEXT) | instid1(VALU_DEP_2)
	v_fmac_f32_e32 v128, v124, v136
	v_cmp_eq_u32_e32 vcc_lo, 7, v125
	s_delay_alu instid0(VALU_DEP_2) | instskip(SKIP_1) | instid1(SALU_CYCLE_1)
	v_dual_mov_b32 v124, s8 :: v_dual_fmac_f32 v128, v129, v137
	s_or_b32 s6, vcc_lo, s6
	s_and_not1_b32 exec_lo, exec_lo, s6
	s_cbranch_execnz .LBB28_57
; %bb.58:
	s_or_b32 exec_lo, exec_lo, s6
.LBB28_59:
	s_delay_alu instid0(SALU_CYCLE_1) | instskip(SKIP_3) | instid1(VALU_DEP_1)
	s_or_b32 exec_lo, exec_lo, s0
	v_and_b32_e32 v63, 7, v0
	s_mov_b32 s2, 0
	s_mov_b32 s0, exec_lo
	v_cmpx_ne_u32_e32 0, v63
	s_cbranch_execz .LBB28_63
; %bb.60:
	v_lshl_add_u32 v64, v124, 2, 0x80
	v_mov_b32_e32 v125, 0
.LBB28_61:                              ; =>This Inner Loop Header: Depth=1
	v_cmp_eq_u32_e32 vcc_lo, 1, v124
	ds_load_b32 v126, v64
	v_dual_add_nc_u32 v64, 4, v64 :: v_dual_add_nc_u32 v63, -1, v63
	v_cndmask_b32_e32 v65, v34, v35, vcc_lo
	v_cmp_eq_u32_e32 vcc_lo, 2, v124
	s_delay_alu instid0(VALU_DEP_2) | instskip(SKIP_1) | instid1(VALU_DEP_2)
	v_cndmask_b32_e32 v65, v65, v36, vcc_lo
	v_cmp_eq_u32_e32 vcc_lo, 3, v124
	v_cndmask_b32_e32 v65, v65, v37, vcc_lo
	v_cmp_eq_u32_e32 vcc_lo, 4, v124
	s_delay_alu instid0(VALU_DEP_2) | instskip(SKIP_1) | instid1(VALU_DEP_2)
	v_cndmask_b32_e32 v65, v65, v38, vcc_lo
	v_cmp_eq_u32_e32 vcc_lo, 5, v124
	v_cndmask_b32_e32 v65, v65, v39, vcc_lo
	v_cmp_eq_u32_e32 vcc_lo, 6, v124
	s_delay_alu instid0(VALU_DEP_2) | instskip(SKIP_1) | instid1(VALU_DEP_2)
	v_cndmask_b32_e32 v65, v65, v40, vcc_lo
	v_cmp_eq_u32_e32 vcc_lo, 7, v124
	v_cndmask_b32_e32 v65, v65, v41, vcc_lo
	v_cmp_eq_u32_e32 vcc_lo, 8, v124
	s_delay_alu instid0(VALU_DEP_2) | instskip(SKIP_1) | instid1(VALU_DEP_2)
	v_cndmask_b32_e32 v65, v65, v42, vcc_lo
	v_cmp_eq_u32_e32 vcc_lo, 9, v124
	v_cndmask_b32_e32 v65, v65, v43, vcc_lo
	v_cmp_eq_u32_e32 vcc_lo, 10, v124
	s_delay_alu instid0(VALU_DEP_2) | instskip(SKIP_1) | instid1(VALU_DEP_2)
	v_cndmask_b32_e32 v65, v65, v44, vcc_lo
	v_cmp_eq_u32_e32 vcc_lo, 11, v124
	v_cndmask_b32_e32 v65, v65, v45, vcc_lo
	v_cmp_eq_u32_e32 vcc_lo, 12, v124
	s_delay_alu instid0(VALU_DEP_2) | instskip(SKIP_1) | instid1(VALU_DEP_2)
	v_cndmask_b32_e32 v65, v65, v46, vcc_lo
	v_cmp_eq_u32_e32 vcc_lo, 13, v124
	v_cndmask_b32_e32 v65, v65, v47, vcc_lo
	v_cmp_eq_u32_e32 vcc_lo, 14, v124
	s_delay_alu instid0(VALU_DEP_2) | instskip(SKIP_1) | instid1(VALU_DEP_2)
	v_cndmask_b32_e32 v65, v65, v48, vcc_lo
	v_cmp_eq_u32_e32 vcc_lo, 15, v124
	v_cndmask_b32_e32 v65, v65, v49, vcc_lo
	v_cmp_eq_u32_e32 vcc_lo, 16, v124
	s_delay_alu instid0(VALU_DEP_2) | instskip(SKIP_1) | instid1(VALU_DEP_2)
	v_cndmask_b32_e32 v65, v65, v50, vcc_lo
	v_cmp_eq_u32_e32 vcc_lo, 17, v124
	v_cndmask_b32_e32 v65, v65, v51, vcc_lo
	v_cmp_eq_u32_e32 vcc_lo, 18, v124
	s_delay_alu instid0(VALU_DEP_2) | instskip(SKIP_1) | instid1(VALU_DEP_2)
	v_cndmask_b32_e32 v65, v65, v52, vcc_lo
	v_cmp_eq_u32_e32 vcc_lo, 19, v124
	v_cndmask_b32_e32 v65, v65, v53, vcc_lo
	v_cmp_eq_u32_e32 vcc_lo, 20, v124
	s_delay_alu instid0(VALU_DEP_2) | instskip(SKIP_1) | instid1(VALU_DEP_2)
	v_cndmask_b32_e32 v65, v65, v54, vcc_lo
	v_cmp_eq_u32_e32 vcc_lo, 21, v124
	v_cndmask_b32_e32 v65, v65, v55, vcc_lo
	v_cmp_eq_u32_e32 vcc_lo, 22, v124
	s_delay_alu instid0(VALU_DEP_2) | instskip(SKIP_1) | instid1(VALU_DEP_2)
	v_cndmask_b32_e32 v65, v65, v56, vcc_lo
	v_cmp_eq_u32_e32 vcc_lo, 23, v124
	v_cndmask_b32_e32 v65, v65, v57, vcc_lo
	v_cmp_eq_u32_e32 vcc_lo, 24, v124
	s_delay_alu instid0(VALU_DEP_2) | instskip(SKIP_1) | instid1(VALU_DEP_2)
	v_cndmask_b32_e32 v65, v65, v58, vcc_lo
	v_cmp_eq_u32_e32 vcc_lo, 25, v124
	v_cndmask_b32_e32 v65, v65, v59, vcc_lo
	v_cmp_eq_u32_e32 vcc_lo, 26, v124
	s_delay_alu instid0(VALU_DEP_2) | instskip(SKIP_1) | instid1(VALU_DEP_2)
	v_cndmask_b32_e32 v65, v65, v60, vcc_lo
	v_cmp_eq_u32_e32 vcc_lo, 27, v124
	v_cndmask_b32_e32 v65, v65, v61, vcc_lo
	v_cmp_eq_u32_e32 vcc_lo, 28, v124
	v_add_nc_u64_e32 v[124:125], 1, v[124:125]
	s_delay_alu instid0(VALU_DEP_3) | instskip(SKIP_2) | instid1(VALU_DEP_2)
	v_cndmask_b32_e32 v65, v65, v62, vcc_lo
	v_cmp_eq_u32_e32 vcc_lo, 0, v63
	s_wait_dscnt 0x0
	v_fmac_f32_e32 v128, v65, v126
	s_or_b32 s2, vcc_lo, s2
	s_delay_alu instid0(SALU_CYCLE_1)
	s_and_not1_b32 exec_lo, exec_lo, s2
	s_cbranch_execnz .LBB28_61
; %bb.62:
	s_or_b32 exec_lo, exec_lo, s2
.LBB28_63:
	s_delay_alu instid0(SALU_CYCLE_1)
	s_or_b32 exec_lo, exec_lo, s0
.LBB28_64:
	s_delay_alu instid0(SALU_CYCLE_1)
	s_or_b32 exec_lo, exec_lo, s5
	v_mov_b32_e32 v57, 0
	ds_load_b32 v57, v57 offset:92
	s_wait_dscnt 0x0
	v_mul_f32_e32 v57, v128, v57
.LBB28_65:
	s_or_b32 exec_lo, exec_lo, s4
	v_cmp_lt_u32_e64 s0, 22, v0
	ds_store_b32 v127, v56
	s_wait_dscnt 0x0
	s_barrier_signal -1
	s_barrier_wait -1
	s_and_saveexec_b32 s4, s0
	s_cbranch_execz .LBB28_81
; %bb.66:
	s_and_not1_b32 vcc_lo, exec_lo, s29
	s_cbranch_vccnz .LBB28_68
; %bb.67:
	v_cmp_eq_u32_e32 vcc_lo, 1, v0
	ds_load_b32 v125, v127
	v_cndmask_b32_e32 v124, v34, v35, vcc_lo
	v_cmp_eq_u32_e32 vcc_lo, 2, v0
	s_delay_alu instid0(VALU_DEP_2) | instskip(SKIP_1) | instid1(VALU_DEP_2)
	v_cndmask_b32_e32 v124, v124, v36, vcc_lo
	v_cmp_eq_u32_e32 vcc_lo, 3, v0
	v_cndmask_b32_e32 v124, v124, v37, vcc_lo
	v_cmp_eq_u32_e32 vcc_lo, 4, v0
	s_delay_alu instid0(VALU_DEP_2) | instskip(SKIP_1) | instid1(VALU_DEP_2)
	v_cndmask_b32_e32 v124, v124, v38, vcc_lo
	v_cmp_eq_u32_e32 vcc_lo, 5, v0
	;; [unrolled: 5-line block ×13, first 2 shown]
	v_cndmask_b32_e32 v124, v124, v61, vcc_lo
	v_cmp_eq_u32_e32 vcc_lo, 28, v0
	s_delay_alu instid0(VALU_DEP_2) | instskip(SKIP_1) | instid1(VALU_DEP_1)
	v_cndmask_b32_e32 v124, v124, v62, vcc_lo
	s_wait_dscnt 0x0
	v_mul_f32_e32 v128, v124, v125
	s_cbranch_execz .LBB28_69
	s_branch .LBB28_70
.LBB28_68:
                                        ; implicit-def: $vgpr128
.LBB28_69:
	ds_load_b32 v128, v127
.LBB28_70:
	s_and_saveexec_b32 s5, s1
	s_cbranch_execz .LBB28_80
; %bb.71:
	v_subrev_nc_u32_e32 v126, 24, v0
	v_mov_b32_e32 v124, 23
	v_subrev_nc_u32_e32 v125, 23, v0
	s_mov_b32 s1, exec_lo
	s_delay_alu instid0(VALU_DEP_3)
	v_cmpx_lt_u32_e32 6, v126
	s_cbranch_execz .LBB28_75
; %bb.72:
	s_delay_alu instid0(VALU_DEP_2) | instskip(SKIP_3) | instid1(VALU_DEP_1)
	v_and_b32_e32 v124, -8, v125
	s_mov_b32 s6, 0
	s_mov_b64 s[2:3], 30
	s_movk_i32 s7, 0xdc
	v_sub_nc_u32_e32 v126, 0, v124
.LBB28_73:                              ; =>This Inner Loop Header: Depth=1
	s_add_co_i32 m0, s2, -7
	v_movrels_b32_e32 v129, v34
	v_mov_b32_e32 v124, s7
	s_add_co_i32 m0, s2, -6
	s_add_co_i32 s7, s7, 32
	v_movrels_b32_e32 v138, v34
	ds_load_2addr_b32 v[130:131], v124 offset1:1
	ds_load_2addr_b32 v[132:133], v124 offset0:2 offset1:3
	s_add_co_i32 m0, s2, -5
	s_wait_dscnt 0x1
	v_fmac_f32_e32 v128, v129, v130
	ds_load_2addr_b32 v[134:135], v124 offset0:4 offset1:5
	ds_load_2addr_b32 v[136:137], v124 offset0:6 offset1:7
	v_movrels_b32_e32 v124, v34
	s_add_co_i32 m0, s2, -4
	v_fmac_f32_e32 v128, v138, v131
	v_movrels_b32_e32 v129, v34
	s_add_co_i32 m0, s2, -3
	s_wait_dscnt 0x2
	s_delay_alu instid0(VALU_DEP_2) | instskip(SKIP_2) | instid1(VALU_DEP_2)
	v_fmac_f32_e32 v128, v124, v132
	v_movrels_b32_e32 v124, v34
	s_add_co_i32 m0, s2, -2
	v_fmac_f32_e32 v128, v129, v133
	v_movrels_b32_e32 v129, v34
	s_add_co_i32 m0, s2, -1
	s_wait_dscnt 0x1
	s_delay_alu instid0(VALU_DEP_2)
	v_fmac_f32_e32 v128, v124, v134
	v_movrels_b32_e32 v124, v34
	s_mov_b32 m0, s2
	s_add_nc_u64 s[2:3], s[2:3], 8
	v_movrels_b32_e32 v130, v34
	v_dual_fmac_f32 v128, v129, v135 :: v_dual_add_nc_u32 v129, s2, v126
	s_add_co_i32 s8, s2, -7
	s_wait_dscnt 0x0
	s_delay_alu instid0(VALU_DEP_1) | instskip(NEXT) | instid1(VALU_DEP_2)
	v_fmac_f32_e32 v128, v124, v136
	v_cmp_eq_u32_e32 vcc_lo, 30, v129
	s_delay_alu instid0(VALU_DEP_2) | instskip(SKIP_1) | instid1(SALU_CYCLE_1)
	v_dual_mov_b32 v124, s8 :: v_dual_fmac_f32 v128, v130, v137
	s_or_b32 s6, vcc_lo, s6
	s_and_not1_b32 exec_lo, exec_lo, s6
	s_cbranch_execnz .LBB28_73
; %bb.74:
	s_or_b32 exec_lo, exec_lo, s6
.LBB28_75:
	s_delay_alu instid0(SALU_CYCLE_1) | instskip(SKIP_3) | instid1(VALU_DEP_1)
	s_or_b32 exec_lo, exec_lo, s1
	v_and_b32_e32 v63, 7, v125
	s_mov_b32 s2, 0
	s_mov_b32 s1, exec_lo
	v_cmpx_ne_u32_e32 0, v63
	s_cbranch_execz .LBB28_79
; %bb.76:
	v_lshl_add_u32 v64, v124, 2, 0x80
	v_mov_b32_e32 v125, 0
.LBB28_77:                              ; =>This Inner Loop Header: Depth=1
	v_cmp_eq_u32_e32 vcc_lo, 1, v124
	ds_load_b32 v126, v64
	v_dual_add_nc_u32 v64, 4, v64 :: v_dual_add_nc_u32 v63, -1, v63
	v_cndmask_b32_e32 v65, v34, v35, vcc_lo
	v_cmp_eq_u32_e32 vcc_lo, 2, v124
	s_delay_alu instid0(VALU_DEP_2) | instskip(SKIP_1) | instid1(VALU_DEP_2)
	v_cndmask_b32_e32 v65, v65, v36, vcc_lo
	v_cmp_eq_u32_e32 vcc_lo, 3, v124
	v_cndmask_b32_e32 v65, v65, v37, vcc_lo
	v_cmp_eq_u32_e32 vcc_lo, 4, v124
	s_delay_alu instid0(VALU_DEP_2) | instskip(SKIP_1) | instid1(VALU_DEP_2)
	v_cndmask_b32_e32 v65, v65, v38, vcc_lo
	v_cmp_eq_u32_e32 vcc_lo, 5, v124
	v_cndmask_b32_e32 v65, v65, v39, vcc_lo
	v_cmp_eq_u32_e32 vcc_lo, 6, v124
	s_delay_alu instid0(VALU_DEP_2) | instskip(SKIP_1) | instid1(VALU_DEP_2)
	v_cndmask_b32_e32 v65, v65, v40, vcc_lo
	v_cmp_eq_u32_e32 vcc_lo, 7, v124
	v_cndmask_b32_e32 v65, v65, v41, vcc_lo
	v_cmp_eq_u32_e32 vcc_lo, 8, v124
	s_delay_alu instid0(VALU_DEP_2) | instskip(SKIP_1) | instid1(VALU_DEP_2)
	v_cndmask_b32_e32 v65, v65, v42, vcc_lo
	v_cmp_eq_u32_e32 vcc_lo, 9, v124
	v_cndmask_b32_e32 v65, v65, v43, vcc_lo
	v_cmp_eq_u32_e32 vcc_lo, 10, v124
	s_delay_alu instid0(VALU_DEP_2) | instskip(SKIP_1) | instid1(VALU_DEP_2)
	v_cndmask_b32_e32 v65, v65, v44, vcc_lo
	v_cmp_eq_u32_e32 vcc_lo, 11, v124
	v_cndmask_b32_e32 v65, v65, v45, vcc_lo
	v_cmp_eq_u32_e32 vcc_lo, 12, v124
	s_delay_alu instid0(VALU_DEP_2) | instskip(SKIP_1) | instid1(VALU_DEP_2)
	v_cndmask_b32_e32 v65, v65, v46, vcc_lo
	v_cmp_eq_u32_e32 vcc_lo, 13, v124
	v_cndmask_b32_e32 v65, v65, v47, vcc_lo
	v_cmp_eq_u32_e32 vcc_lo, 14, v124
	s_delay_alu instid0(VALU_DEP_2) | instskip(SKIP_1) | instid1(VALU_DEP_2)
	v_cndmask_b32_e32 v65, v65, v48, vcc_lo
	v_cmp_eq_u32_e32 vcc_lo, 15, v124
	v_cndmask_b32_e32 v65, v65, v49, vcc_lo
	v_cmp_eq_u32_e32 vcc_lo, 16, v124
	s_delay_alu instid0(VALU_DEP_2) | instskip(SKIP_1) | instid1(VALU_DEP_2)
	v_cndmask_b32_e32 v65, v65, v50, vcc_lo
	v_cmp_eq_u32_e32 vcc_lo, 17, v124
	v_cndmask_b32_e32 v65, v65, v51, vcc_lo
	v_cmp_eq_u32_e32 vcc_lo, 18, v124
	s_delay_alu instid0(VALU_DEP_2) | instskip(SKIP_1) | instid1(VALU_DEP_2)
	v_cndmask_b32_e32 v65, v65, v52, vcc_lo
	v_cmp_eq_u32_e32 vcc_lo, 19, v124
	v_cndmask_b32_e32 v65, v65, v53, vcc_lo
	v_cmp_eq_u32_e32 vcc_lo, 20, v124
	s_delay_alu instid0(VALU_DEP_2) | instskip(SKIP_1) | instid1(VALU_DEP_2)
	v_cndmask_b32_e32 v65, v65, v54, vcc_lo
	v_cmp_eq_u32_e32 vcc_lo, 21, v124
	v_cndmask_b32_e32 v65, v65, v55, vcc_lo
	v_cmp_eq_u32_e32 vcc_lo, 22, v124
	s_delay_alu instid0(VALU_DEP_2) | instskip(SKIP_1) | instid1(VALU_DEP_2)
	v_cndmask_b32_e32 v65, v65, v56, vcc_lo
	v_cmp_eq_u32_e32 vcc_lo, 23, v124
	v_cndmask_b32_e32 v65, v65, v57, vcc_lo
	v_cmp_eq_u32_e32 vcc_lo, 24, v124
	s_delay_alu instid0(VALU_DEP_2) | instskip(SKIP_1) | instid1(VALU_DEP_2)
	v_cndmask_b32_e32 v65, v65, v58, vcc_lo
	v_cmp_eq_u32_e32 vcc_lo, 25, v124
	v_cndmask_b32_e32 v65, v65, v59, vcc_lo
	v_cmp_eq_u32_e32 vcc_lo, 26, v124
	s_delay_alu instid0(VALU_DEP_2) | instskip(SKIP_1) | instid1(VALU_DEP_2)
	v_cndmask_b32_e32 v65, v65, v60, vcc_lo
	v_cmp_eq_u32_e32 vcc_lo, 27, v124
	v_cndmask_b32_e32 v65, v65, v61, vcc_lo
	v_cmp_eq_u32_e32 vcc_lo, 28, v124
	v_add_nc_u64_e32 v[124:125], 1, v[124:125]
	s_delay_alu instid0(VALU_DEP_3) | instskip(SKIP_2) | instid1(VALU_DEP_2)
	v_cndmask_b32_e32 v65, v65, v62, vcc_lo
	v_cmp_eq_u32_e32 vcc_lo, 0, v63
	s_wait_dscnt 0x0
	v_fmac_f32_e32 v128, v65, v126
	s_or_b32 s2, vcc_lo, s2
	s_delay_alu instid0(SALU_CYCLE_1)
	s_and_not1_b32 exec_lo, exec_lo, s2
	s_cbranch_execnz .LBB28_77
; %bb.78:
	s_or_b32 exec_lo, exec_lo, s2
.LBB28_79:
	s_delay_alu instid0(SALU_CYCLE_1)
	s_or_b32 exec_lo, exec_lo, s1
.LBB28_80:
	s_delay_alu instid0(SALU_CYCLE_1)
	s_or_b32 exec_lo, exec_lo, s5
	v_mov_b32_e32 v56, 0
	ds_load_b32 v56, v56 offset:88
	s_wait_dscnt 0x0
	v_mul_f32_e32 v56, v128, v56
.LBB28_81:
	s_or_b32 exec_lo, exec_lo, s4
	v_cmp_lt_u32_e64 s1, 21, v0
	ds_store_b32 v127, v55
	s_wait_dscnt 0x0
	s_barrier_signal -1
	s_barrier_wait -1
	s_and_saveexec_b32 s4, s1
	s_cbranch_execz .LBB28_97
; %bb.82:
	s_and_not1_b32 vcc_lo, exec_lo, s29
	s_cbranch_vccnz .LBB28_84
; %bb.83:
	v_cmp_eq_u32_e32 vcc_lo, 1, v0
	ds_load_b32 v125, v127
	v_cndmask_b32_e32 v124, v34, v35, vcc_lo
	v_cmp_eq_u32_e32 vcc_lo, 2, v0
	s_delay_alu instid0(VALU_DEP_2) | instskip(SKIP_1) | instid1(VALU_DEP_2)
	v_cndmask_b32_e32 v124, v124, v36, vcc_lo
	v_cmp_eq_u32_e32 vcc_lo, 3, v0
	v_cndmask_b32_e32 v124, v124, v37, vcc_lo
	v_cmp_eq_u32_e32 vcc_lo, 4, v0
	s_delay_alu instid0(VALU_DEP_2) | instskip(SKIP_1) | instid1(VALU_DEP_2)
	v_cndmask_b32_e32 v124, v124, v38, vcc_lo
	v_cmp_eq_u32_e32 vcc_lo, 5, v0
	;; [unrolled: 5-line block ×13, first 2 shown]
	v_cndmask_b32_e32 v124, v124, v61, vcc_lo
	v_cmp_eq_u32_e32 vcc_lo, 28, v0
	s_delay_alu instid0(VALU_DEP_2) | instskip(SKIP_1) | instid1(VALU_DEP_1)
	v_cndmask_b32_e32 v124, v124, v62, vcc_lo
	s_wait_dscnt 0x0
	v_mul_f32_e32 v128, v124, v125
	s_cbranch_execz .LBB28_85
	s_branch .LBB28_86
.LBB28_84:
                                        ; implicit-def: $vgpr128
.LBB28_85:
	ds_load_b32 v128, v127
.LBB28_86:
	s_and_saveexec_b32 s5, s0
	s_cbranch_execz .LBB28_96
; %bb.87:
	v_subrev_nc_u32_e32 v126, 23, v0
	v_mov_b32_e32 v124, 22
	v_subrev_nc_u32_e32 v125, 22, v0
	s_mov_b32 s0, exec_lo
	s_delay_alu instid0(VALU_DEP_3)
	v_cmpx_lt_u32_e32 6, v126
	s_cbranch_execz .LBB28_91
; %bb.88:
	s_delay_alu instid0(VALU_DEP_2) | instskip(SKIP_3) | instid1(VALU_DEP_1)
	v_and_b32_e32 v124, -8, v125
	s_mov_b32 s6, 0
	s_mov_b64 s[2:3], 29
	s_movk_i32 s7, 0xd8
	v_sub_nc_u32_e32 v126, 0, v124
.LBB28_89:                              ; =>This Inner Loop Header: Depth=1
	s_add_co_i32 m0, s2, -7
	v_movrels_b32_e32 v129, v34
	v_mov_b32_e32 v124, s7
	s_add_co_i32 m0, s2, -6
	s_add_co_i32 s7, s7, 32
	v_movrels_b32_e32 v138, v34
	s_add_co_i32 m0, s2, -5
	ds_load_2addr_b64 v[130:133], v124 offset1:1
	ds_load_2addr_b64 v[134:137], v124 offset0:2 offset1:3
	v_movrels_b32_e32 v124, v34
	s_add_co_i32 m0, s2, -4
	s_wait_dscnt 0x1
	v_fmac_f32_e32 v128, v129, v130
	v_movrels_b32_e32 v129, v34
	s_add_co_i32 m0, s2, -3
	s_delay_alu instid0(VALU_DEP_2) | instskip(NEXT) | instid1(VALU_DEP_1)
	v_fmac_f32_e32 v128, v138, v131
	v_fmac_f32_e32 v128, v124, v132
	v_movrels_b32_e32 v124, v34
	s_add_co_i32 m0, s2, -2
	s_delay_alu instid0(VALU_DEP_2) | instskip(SKIP_3) | instid1(VALU_DEP_2)
	v_fmac_f32_e32 v128, v129, v133
	v_movrels_b32_e32 v129, v34
	s_add_co_i32 m0, s2, -1
	s_wait_dscnt 0x0
	v_fmac_f32_e32 v128, v124, v134
	v_movrels_b32_e32 v124, v34
	s_mov_b32 m0, s2
	s_add_nc_u64 s[2:3], s[2:3], 8
	v_movrels_b32_e32 v130, v34
	v_dual_fmac_f32 v128, v129, v135 :: v_dual_add_nc_u32 v129, s2, v126
	s_add_co_i32 s8, s2, -7
	s_delay_alu instid0(VALU_DEP_1) | instskip(NEXT) | instid1(VALU_DEP_2)
	v_fmac_f32_e32 v128, v124, v136
	v_cmp_eq_u32_e32 vcc_lo, 29, v129
	s_delay_alu instid0(VALU_DEP_2) | instskip(SKIP_1) | instid1(SALU_CYCLE_1)
	v_dual_mov_b32 v124, s8 :: v_dual_fmac_f32 v128, v130, v137
	s_or_b32 s6, vcc_lo, s6
	s_and_not1_b32 exec_lo, exec_lo, s6
	s_cbranch_execnz .LBB28_89
; %bb.90:
	s_or_b32 exec_lo, exec_lo, s6
.LBB28_91:
	s_delay_alu instid0(SALU_CYCLE_1) | instskip(SKIP_3) | instid1(VALU_DEP_1)
	s_or_b32 exec_lo, exec_lo, s0
	v_and_b32_e32 v63, 7, v125
	s_mov_b32 s2, 0
	s_mov_b32 s0, exec_lo
	v_cmpx_ne_u32_e32 0, v63
	s_cbranch_execz .LBB28_95
; %bb.92:
	v_lshl_add_u32 v64, v124, 2, 0x80
	v_mov_b32_e32 v125, 0
.LBB28_93:                              ; =>This Inner Loop Header: Depth=1
	v_cmp_eq_u32_e32 vcc_lo, 1, v124
	ds_load_b32 v126, v64
	v_dual_add_nc_u32 v64, 4, v64 :: v_dual_add_nc_u32 v63, -1, v63
	v_cndmask_b32_e32 v65, v34, v35, vcc_lo
	v_cmp_eq_u32_e32 vcc_lo, 2, v124
	s_delay_alu instid0(VALU_DEP_2) | instskip(SKIP_1) | instid1(VALU_DEP_2)
	v_cndmask_b32_e32 v65, v65, v36, vcc_lo
	v_cmp_eq_u32_e32 vcc_lo, 3, v124
	v_cndmask_b32_e32 v65, v65, v37, vcc_lo
	v_cmp_eq_u32_e32 vcc_lo, 4, v124
	s_delay_alu instid0(VALU_DEP_2) | instskip(SKIP_1) | instid1(VALU_DEP_2)
	v_cndmask_b32_e32 v65, v65, v38, vcc_lo
	v_cmp_eq_u32_e32 vcc_lo, 5, v124
	;; [unrolled: 5-line block ×13, first 2 shown]
	v_cndmask_b32_e32 v65, v65, v61, vcc_lo
	v_cmp_eq_u32_e32 vcc_lo, 28, v124
	v_add_nc_u64_e32 v[124:125], 1, v[124:125]
	s_delay_alu instid0(VALU_DEP_3) | instskip(SKIP_2) | instid1(VALU_DEP_2)
	v_cndmask_b32_e32 v65, v65, v62, vcc_lo
	v_cmp_eq_u32_e32 vcc_lo, 0, v63
	s_wait_dscnt 0x0
	v_fmac_f32_e32 v128, v65, v126
	s_or_b32 s2, vcc_lo, s2
	s_delay_alu instid0(SALU_CYCLE_1)
	s_and_not1_b32 exec_lo, exec_lo, s2
	s_cbranch_execnz .LBB28_93
; %bb.94:
	s_or_b32 exec_lo, exec_lo, s2
.LBB28_95:
	s_delay_alu instid0(SALU_CYCLE_1)
	s_or_b32 exec_lo, exec_lo, s0
.LBB28_96:
	s_delay_alu instid0(SALU_CYCLE_1)
	s_or_b32 exec_lo, exec_lo, s5
	v_mov_b32_e32 v55, 0
	ds_load_b32 v55, v55 offset:84
	s_wait_dscnt 0x0
	v_mul_f32_e32 v55, v128, v55
.LBB28_97:
	s_or_b32 exec_lo, exec_lo, s4
	v_cmp_lt_u32_e64 s0, 20, v0
	ds_store_b32 v127, v54
	s_wait_dscnt 0x0
	s_barrier_signal -1
	s_barrier_wait -1
	s_and_saveexec_b32 s4, s0
	s_cbranch_execz .LBB28_113
; %bb.98:
	s_and_not1_b32 vcc_lo, exec_lo, s29
	s_cbranch_vccnz .LBB28_100
; %bb.99:
	v_cmp_eq_u32_e32 vcc_lo, 1, v0
	ds_load_b32 v125, v127
	v_cndmask_b32_e32 v124, v34, v35, vcc_lo
	v_cmp_eq_u32_e32 vcc_lo, 2, v0
	s_delay_alu instid0(VALU_DEP_2) | instskip(SKIP_1) | instid1(VALU_DEP_2)
	v_cndmask_b32_e32 v124, v124, v36, vcc_lo
	v_cmp_eq_u32_e32 vcc_lo, 3, v0
	v_cndmask_b32_e32 v124, v124, v37, vcc_lo
	v_cmp_eq_u32_e32 vcc_lo, 4, v0
	s_delay_alu instid0(VALU_DEP_2) | instskip(SKIP_1) | instid1(VALU_DEP_2)
	v_cndmask_b32_e32 v124, v124, v38, vcc_lo
	v_cmp_eq_u32_e32 vcc_lo, 5, v0
	;; [unrolled: 5-line block ×13, first 2 shown]
	v_cndmask_b32_e32 v124, v124, v61, vcc_lo
	v_cmp_eq_u32_e32 vcc_lo, 28, v0
	s_delay_alu instid0(VALU_DEP_2) | instskip(SKIP_1) | instid1(VALU_DEP_1)
	v_cndmask_b32_e32 v124, v124, v62, vcc_lo
	s_wait_dscnt 0x0
	v_mul_f32_e32 v128, v124, v125
	s_cbranch_execz .LBB28_101
	s_branch .LBB28_102
.LBB28_100:
                                        ; implicit-def: $vgpr128
.LBB28_101:
	ds_load_b32 v128, v127
.LBB28_102:
	s_and_saveexec_b32 s5, s1
	s_cbranch_execz .LBB28_112
; %bb.103:
	v_subrev_nc_u32_e32 v126, 22, v0
	v_mov_b32_e32 v124, 21
	v_subrev_nc_u32_e32 v125, 21, v0
	s_mov_b32 s1, exec_lo
	s_delay_alu instid0(VALU_DEP_3)
	v_cmpx_lt_u32_e32 6, v126
	s_cbranch_execz .LBB28_107
; %bb.104:
	s_delay_alu instid0(VALU_DEP_2) | instskip(SKIP_3) | instid1(VALU_DEP_1)
	v_and_b32_e32 v124, -8, v125
	s_mov_b32 s6, 0
	s_mov_b64 s[2:3], 28
	s_movk_i32 s7, 0xd4
	v_sub_nc_u32_e32 v126, 0, v124
.LBB28_105:                             ; =>This Inner Loop Header: Depth=1
	s_add_co_i32 m0, s2, -7
	v_movrels_b32_e32 v129, v34
	v_mov_b32_e32 v124, s7
	s_add_co_i32 m0, s2, -6
	s_add_co_i32 s7, s7, 32
	v_movrels_b32_e32 v138, v34
	ds_load_2addr_b32 v[130:131], v124 offset1:1
	ds_load_2addr_b32 v[132:133], v124 offset0:2 offset1:3
	s_add_co_i32 m0, s2, -5
	s_wait_dscnt 0x1
	v_fmac_f32_e32 v128, v129, v130
	ds_load_2addr_b32 v[134:135], v124 offset0:4 offset1:5
	ds_load_2addr_b32 v[136:137], v124 offset0:6 offset1:7
	v_movrels_b32_e32 v124, v34
	s_add_co_i32 m0, s2, -4
	v_fmac_f32_e32 v128, v138, v131
	v_movrels_b32_e32 v129, v34
	s_add_co_i32 m0, s2, -3
	s_wait_dscnt 0x2
	s_delay_alu instid0(VALU_DEP_2) | instskip(SKIP_2) | instid1(VALU_DEP_2)
	v_fmac_f32_e32 v128, v124, v132
	v_movrels_b32_e32 v124, v34
	s_add_co_i32 m0, s2, -2
	v_fmac_f32_e32 v128, v129, v133
	v_movrels_b32_e32 v129, v34
	s_add_co_i32 m0, s2, -1
	s_wait_dscnt 0x1
	s_delay_alu instid0(VALU_DEP_2)
	v_fmac_f32_e32 v128, v124, v134
	v_movrels_b32_e32 v124, v34
	s_mov_b32 m0, s2
	s_add_nc_u64 s[2:3], s[2:3], 8
	v_movrels_b32_e32 v130, v34
	v_dual_fmac_f32 v128, v129, v135 :: v_dual_add_nc_u32 v129, s2, v126
	s_add_co_i32 s8, s2, -7
	s_wait_dscnt 0x0
	s_delay_alu instid0(VALU_DEP_1) | instskip(NEXT) | instid1(VALU_DEP_2)
	v_fmac_f32_e32 v128, v124, v136
	v_cmp_eq_u32_e32 vcc_lo, 28, v129
	s_delay_alu instid0(VALU_DEP_2) | instskip(SKIP_1) | instid1(SALU_CYCLE_1)
	v_dual_mov_b32 v124, s8 :: v_dual_fmac_f32 v128, v130, v137
	s_or_b32 s6, vcc_lo, s6
	s_and_not1_b32 exec_lo, exec_lo, s6
	s_cbranch_execnz .LBB28_105
; %bb.106:
	s_or_b32 exec_lo, exec_lo, s6
.LBB28_107:
	s_delay_alu instid0(SALU_CYCLE_1) | instskip(SKIP_3) | instid1(VALU_DEP_1)
	s_or_b32 exec_lo, exec_lo, s1
	v_and_b32_e32 v63, 7, v125
	s_mov_b32 s2, 0
	s_mov_b32 s1, exec_lo
	v_cmpx_ne_u32_e32 0, v63
	s_cbranch_execz .LBB28_111
; %bb.108:
	v_lshl_add_u32 v64, v124, 2, 0x80
	v_mov_b32_e32 v125, 0
.LBB28_109:                             ; =>This Inner Loop Header: Depth=1
	v_cmp_eq_u32_e32 vcc_lo, 1, v124
	ds_load_b32 v126, v64
	v_dual_add_nc_u32 v64, 4, v64 :: v_dual_add_nc_u32 v63, -1, v63
	v_cndmask_b32_e32 v65, v34, v35, vcc_lo
	v_cmp_eq_u32_e32 vcc_lo, 2, v124
	s_delay_alu instid0(VALU_DEP_2) | instskip(SKIP_1) | instid1(VALU_DEP_2)
	v_cndmask_b32_e32 v65, v65, v36, vcc_lo
	v_cmp_eq_u32_e32 vcc_lo, 3, v124
	v_cndmask_b32_e32 v65, v65, v37, vcc_lo
	v_cmp_eq_u32_e32 vcc_lo, 4, v124
	s_delay_alu instid0(VALU_DEP_2) | instskip(SKIP_1) | instid1(VALU_DEP_2)
	v_cndmask_b32_e32 v65, v65, v38, vcc_lo
	v_cmp_eq_u32_e32 vcc_lo, 5, v124
	;; [unrolled: 5-line block ×13, first 2 shown]
	v_cndmask_b32_e32 v65, v65, v61, vcc_lo
	v_cmp_eq_u32_e32 vcc_lo, 28, v124
	v_add_nc_u64_e32 v[124:125], 1, v[124:125]
	s_delay_alu instid0(VALU_DEP_3) | instskip(SKIP_2) | instid1(VALU_DEP_2)
	v_cndmask_b32_e32 v65, v65, v62, vcc_lo
	v_cmp_eq_u32_e32 vcc_lo, 0, v63
	s_wait_dscnt 0x0
	v_fmac_f32_e32 v128, v65, v126
	s_or_b32 s2, vcc_lo, s2
	s_delay_alu instid0(SALU_CYCLE_1)
	s_and_not1_b32 exec_lo, exec_lo, s2
	s_cbranch_execnz .LBB28_109
; %bb.110:
	s_or_b32 exec_lo, exec_lo, s2
.LBB28_111:
	s_delay_alu instid0(SALU_CYCLE_1)
	s_or_b32 exec_lo, exec_lo, s1
.LBB28_112:
	s_delay_alu instid0(SALU_CYCLE_1)
	s_or_b32 exec_lo, exec_lo, s5
	v_mov_b32_e32 v54, 0
	ds_load_b32 v54, v54 offset:80
	s_wait_dscnt 0x0
	v_mul_f32_e32 v54, v128, v54
.LBB28_113:
	s_or_b32 exec_lo, exec_lo, s4
	v_cmp_lt_u32_e64 s1, 19, v0
	ds_store_b32 v127, v53
	s_wait_dscnt 0x0
	s_barrier_signal -1
	s_barrier_wait -1
	s_and_saveexec_b32 s4, s1
	s_cbranch_execz .LBB28_129
; %bb.114:
	s_and_not1_b32 vcc_lo, exec_lo, s29
	s_cbranch_vccnz .LBB28_116
; %bb.115:
	v_cmp_eq_u32_e32 vcc_lo, 1, v0
	ds_load_b32 v125, v127
	v_cndmask_b32_e32 v124, v34, v35, vcc_lo
	v_cmp_eq_u32_e32 vcc_lo, 2, v0
	s_delay_alu instid0(VALU_DEP_2) | instskip(SKIP_1) | instid1(VALU_DEP_2)
	v_cndmask_b32_e32 v124, v124, v36, vcc_lo
	v_cmp_eq_u32_e32 vcc_lo, 3, v0
	v_cndmask_b32_e32 v124, v124, v37, vcc_lo
	v_cmp_eq_u32_e32 vcc_lo, 4, v0
	s_delay_alu instid0(VALU_DEP_2) | instskip(SKIP_1) | instid1(VALU_DEP_2)
	v_cndmask_b32_e32 v124, v124, v38, vcc_lo
	v_cmp_eq_u32_e32 vcc_lo, 5, v0
	;; [unrolled: 5-line block ×13, first 2 shown]
	v_cndmask_b32_e32 v124, v124, v61, vcc_lo
	v_cmp_eq_u32_e32 vcc_lo, 28, v0
	s_delay_alu instid0(VALU_DEP_2) | instskip(SKIP_1) | instid1(VALU_DEP_1)
	v_cndmask_b32_e32 v124, v124, v62, vcc_lo
	s_wait_dscnt 0x0
	v_mul_f32_e32 v128, v124, v125
	s_cbranch_execz .LBB28_117
	s_branch .LBB28_118
.LBB28_116:
                                        ; implicit-def: $vgpr128
.LBB28_117:
	ds_load_b32 v128, v127
.LBB28_118:
	s_and_saveexec_b32 s5, s0
	s_cbranch_execz .LBB28_128
; %bb.119:
	v_subrev_nc_u32_e32 v126, 21, v0
	v_mov_b32_e32 v124, 20
	v_subrev_nc_u32_e32 v125, 20, v0
	s_mov_b32 s0, exec_lo
	s_delay_alu instid0(VALU_DEP_3)
	v_cmpx_lt_u32_e32 6, v126
	s_cbranch_execz .LBB28_123
; %bb.120:
	s_delay_alu instid0(VALU_DEP_2) | instskip(SKIP_3) | instid1(VALU_DEP_1)
	v_and_b32_e32 v124, -8, v125
	s_mov_b32 s6, 0
	s_mov_b64 s[2:3], 27
	s_movk_i32 s7, 0xd0
	v_sub_nc_u32_e32 v126, 0, v124
.LBB28_121:                             ; =>This Inner Loop Header: Depth=1
	s_add_co_i32 m0, s2, -7
	v_movrels_b32_e32 v129, v34
	v_mov_b32_e32 v124, s7
	s_add_co_i32 m0, s2, -6
	s_add_co_i32 s7, s7, 32
	v_movrels_b32_e32 v138, v34
	s_add_co_i32 m0, s2, -5
	ds_load_b128 v[130:133], v124
	ds_load_b128 v[134:137], v124 offset:16
	v_movrels_b32_e32 v124, v34
	s_add_co_i32 m0, s2, -4
	s_wait_dscnt 0x1
	v_fmac_f32_e32 v128, v129, v130
	v_movrels_b32_e32 v129, v34
	s_add_co_i32 m0, s2, -3
	s_delay_alu instid0(VALU_DEP_2) | instskip(NEXT) | instid1(VALU_DEP_1)
	v_fmac_f32_e32 v128, v138, v131
	v_fmac_f32_e32 v128, v124, v132
	v_movrels_b32_e32 v124, v34
	s_add_co_i32 m0, s2, -2
	s_delay_alu instid0(VALU_DEP_2) | instskip(SKIP_3) | instid1(VALU_DEP_2)
	v_fmac_f32_e32 v128, v129, v133
	v_movrels_b32_e32 v129, v34
	s_add_co_i32 m0, s2, -1
	s_wait_dscnt 0x0
	v_fmac_f32_e32 v128, v124, v134
	v_movrels_b32_e32 v124, v34
	s_mov_b32 m0, s2
	s_add_nc_u64 s[2:3], s[2:3], 8
	v_movrels_b32_e32 v130, v34
	v_dual_fmac_f32 v128, v129, v135 :: v_dual_add_nc_u32 v129, s2, v126
	s_add_co_i32 s8, s2, -7
	s_delay_alu instid0(VALU_DEP_1) | instskip(NEXT) | instid1(VALU_DEP_2)
	v_fmac_f32_e32 v128, v124, v136
	v_cmp_eq_u32_e32 vcc_lo, 27, v129
	s_delay_alu instid0(VALU_DEP_2) | instskip(SKIP_1) | instid1(SALU_CYCLE_1)
	v_dual_mov_b32 v124, s8 :: v_dual_fmac_f32 v128, v130, v137
	s_or_b32 s6, vcc_lo, s6
	s_and_not1_b32 exec_lo, exec_lo, s6
	s_cbranch_execnz .LBB28_121
; %bb.122:
	s_or_b32 exec_lo, exec_lo, s6
.LBB28_123:
	s_delay_alu instid0(SALU_CYCLE_1) | instskip(SKIP_3) | instid1(VALU_DEP_1)
	s_or_b32 exec_lo, exec_lo, s0
	v_and_b32_e32 v63, 7, v125
	s_mov_b32 s2, 0
	s_mov_b32 s0, exec_lo
	v_cmpx_ne_u32_e32 0, v63
	s_cbranch_execz .LBB28_127
; %bb.124:
	v_lshl_add_u32 v64, v124, 2, 0x80
	v_mov_b32_e32 v125, 0
.LBB28_125:                             ; =>This Inner Loop Header: Depth=1
	v_cmp_eq_u32_e32 vcc_lo, 1, v124
	ds_load_b32 v126, v64
	v_dual_add_nc_u32 v64, 4, v64 :: v_dual_add_nc_u32 v63, -1, v63
	v_cndmask_b32_e32 v65, v34, v35, vcc_lo
	v_cmp_eq_u32_e32 vcc_lo, 2, v124
	s_delay_alu instid0(VALU_DEP_2) | instskip(SKIP_1) | instid1(VALU_DEP_2)
	v_cndmask_b32_e32 v65, v65, v36, vcc_lo
	v_cmp_eq_u32_e32 vcc_lo, 3, v124
	v_cndmask_b32_e32 v65, v65, v37, vcc_lo
	v_cmp_eq_u32_e32 vcc_lo, 4, v124
	s_delay_alu instid0(VALU_DEP_2) | instskip(SKIP_1) | instid1(VALU_DEP_2)
	v_cndmask_b32_e32 v65, v65, v38, vcc_lo
	v_cmp_eq_u32_e32 vcc_lo, 5, v124
	;; [unrolled: 5-line block ×13, first 2 shown]
	v_cndmask_b32_e32 v65, v65, v61, vcc_lo
	v_cmp_eq_u32_e32 vcc_lo, 28, v124
	v_add_nc_u64_e32 v[124:125], 1, v[124:125]
	s_delay_alu instid0(VALU_DEP_3) | instskip(SKIP_2) | instid1(VALU_DEP_2)
	v_cndmask_b32_e32 v65, v65, v62, vcc_lo
	v_cmp_eq_u32_e32 vcc_lo, 0, v63
	s_wait_dscnt 0x0
	v_fmac_f32_e32 v128, v65, v126
	s_or_b32 s2, vcc_lo, s2
	s_delay_alu instid0(SALU_CYCLE_1)
	s_and_not1_b32 exec_lo, exec_lo, s2
	s_cbranch_execnz .LBB28_125
; %bb.126:
	s_or_b32 exec_lo, exec_lo, s2
.LBB28_127:
	s_delay_alu instid0(SALU_CYCLE_1)
	s_or_b32 exec_lo, exec_lo, s0
.LBB28_128:
	s_delay_alu instid0(SALU_CYCLE_1)
	s_or_b32 exec_lo, exec_lo, s5
	v_mov_b32_e32 v53, 0
	ds_load_b32 v53, v53 offset:76
	s_wait_dscnt 0x0
	v_mul_f32_e32 v53, v128, v53
.LBB28_129:
	s_or_b32 exec_lo, exec_lo, s4
	v_cmp_lt_u32_e64 s0, 18, v0
	ds_store_b32 v127, v52
	s_wait_dscnt 0x0
	s_barrier_signal -1
	s_barrier_wait -1
	s_and_saveexec_b32 s4, s0
	s_cbranch_execz .LBB28_145
; %bb.130:
	s_and_not1_b32 vcc_lo, exec_lo, s29
	s_cbranch_vccnz .LBB28_132
; %bb.131:
	v_cmp_eq_u32_e32 vcc_lo, 1, v0
	ds_load_b32 v125, v127
	v_cndmask_b32_e32 v124, v34, v35, vcc_lo
	v_cmp_eq_u32_e32 vcc_lo, 2, v0
	s_delay_alu instid0(VALU_DEP_2) | instskip(SKIP_1) | instid1(VALU_DEP_2)
	v_cndmask_b32_e32 v124, v124, v36, vcc_lo
	v_cmp_eq_u32_e32 vcc_lo, 3, v0
	v_cndmask_b32_e32 v124, v124, v37, vcc_lo
	v_cmp_eq_u32_e32 vcc_lo, 4, v0
	s_delay_alu instid0(VALU_DEP_2) | instskip(SKIP_1) | instid1(VALU_DEP_2)
	v_cndmask_b32_e32 v124, v124, v38, vcc_lo
	v_cmp_eq_u32_e32 vcc_lo, 5, v0
	;; [unrolled: 5-line block ×13, first 2 shown]
	v_cndmask_b32_e32 v124, v124, v61, vcc_lo
	v_cmp_eq_u32_e32 vcc_lo, 28, v0
	s_delay_alu instid0(VALU_DEP_2) | instskip(SKIP_1) | instid1(VALU_DEP_1)
	v_cndmask_b32_e32 v124, v124, v62, vcc_lo
	s_wait_dscnt 0x0
	v_mul_f32_e32 v128, v124, v125
	s_cbranch_execz .LBB28_133
	s_branch .LBB28_134
.LBB28_132:
                                        ; implicit-def: $vgpr128
.LBB28_133:
	ds_load_b32 v128, v127
.LBB28_134:
	s_and_saveexec_b32 s5, s1
	s_cbranch_execz .LBB28_144
; %bb.135:
	v_subrev_nc_u32_e32 v126, 20, v0
	v_mov_b32_e32 v124, 19
	v_subrev_nc_u32_e32 v125, 19, v0
	s_mov_b32 s1, exec_lo
	s_delay_alu instid0(VALU_DEP_3)
	v_cmpx_lt_u32_e32 6, v126
	s_cbranch_execz .LBB28_139
; %bb.136:
	s_delay_alu instid0(VALU_DEP_2) | instskip(SKIP_3) | instid1(VALU_DEP_1)
	v_and_b32_e32 v124, -8, v125
	s_mov_b32 s6, 0
	s_mov_b64 s[2:3], 26
	s_movk_i32 s7, 0xcc
	v_sub_nc_u32_e32 v126, 0, v124
.LBB28_137:                             ; =>This Inner Loop Header: Depth=1
	s_add_co_i32 m0, s2, -7
	v_movrels_b32_e32 v129, v34
	v_mov_b32_e32 v124, s7
	s_add_co_i32 m0, s2, -6
	s_add_co_i32 s7, s7, 32
	v_movrels_b32_e32 v138, v34
	ds_load_2addr_b32 v[130:131], v124 offset1:1
	ds_load_2addr_b32 v[132:133], v124 offset0:2 offset1:3
	s_add_co_i32 m0, s2, -5
	s_wait_dscnt 0x1
	v_fmac_f32_e32 v128, v129, v130
	ds_load_2addr_b32 v[134:135], v124 offset0:4 offset1:5
	ds_load_2addr_b32 v[136:137], v124 offset0:6 offset1:7
	v_movrels_b32_e32 v124, v34
	s_add_co_i32 m0, s2, -4
	v_fmac_f32_e32 v128, v138, v131
	v_movrels_b32_e32 v129, v34
	s_add_co_i32 m0, s2, -3
	s_wait_dscnt 0x2
	s_delay_alu instid0(VALU_DEP_2) | instskip(SKIP_2) | instid1(VALU_DEP_2)
	v_fmac_f32_e32 v128, v124, v132
	v_movrels_b32_e32 v124, v34
	s_add_co_i32 m0, s2, -2
	v_fmac_f32_e32 v128, v129, v133
	v_movrels_b32_e32 v129, v34
	s_add_co_i32 m0, s2, -1
	s_wait_dscnt 0x1
	s_delay_alu instid0(VALU_DEP_2)
	v_fmac_f32_e32 v128, v124, v134
	v_movrels_b32_e32 v124, v34
	s_mov_b32 m0, s2
	s_add_nc_u64 s[2:3], s[2:3], 8
	v_movrels_b32_e32 v130, v34
	v_dual_fmac_f32 v128, v129, v135 :: v_dual_add_nc_u32 v129, s2, v126
	s_add_co_i32 s8, s2, -7
	s_wait_dscnt 0x0
	s_delay_alu instid0(VALU_DEP_1) | instskip(NEXT) | instid1(VALU_DEP_2)
	v_fmac_f32_e32 v128, v124, v136
	v_cmp_eq_u32_e32 vcc_lo, 26, v129
	s_delay_alu instid0(VALU_DEP_2) | instskip(SKIP_1) | instid1(SALU_CYCLE_1)
	v_dual_mov_b32 v124, s8 :: v_dual_fmac_f32 v128, v130, v137
	s_or_b32 s6, vcc_lo, s6
	s_and_not1_b32 exec_lo, exec_lo, s6
	s_cbranch_execnz .LBB28_137
; %bb.138:
	s_or_b32 exec_lo, exec_lo, s6
.LBB28_139:
	s_delay_alu instid0(SALU_CYCLE_1) | instskip(SKIP_3) | instid1(VALU_DEP_1)
	s_or_b32 exec_lo, exec_lo, s1
	v_and_b32_e32 v63, 7, v125
	s_mov_b32 s2, 0
	s_mov_b32 s1, exec_lo
	v_cmpx_ne_u32_e32 0, v63
	s_cbranch_execz .LBB28_143
; %bb.140:
	v_lshl_add_u32 v64, v124, 2, 0x80
	v_mov_b32_e32 v125, 0
.LBB28_141:                             ; =>This Inner Loop Header: Depth=1
	v_cmp_eq_u32_e32 vcc_lo, 1, v124
	ds_load_b32 v126, v64
	v_dual_add_nc_u32 v64, 4, v64 :: v_dual_add_nc_u32 v63, -1, v63
	v_cndmask_b32_e32 v65, v34, v35, vcc_lo
	v_cmp_eq_u32_e32 vcc_lo, 2, v124
	s_delay_alu instid0(VALU_DEP_2) | instskip(SKIP_1) | instid1(VALU_DEP_2)
	v_cndmask_b32_e32 v65, v65, v36, vcc_lo
	v_cmp_eq_u32_e32 vcc_lo, 3, v124
	v_cndmask_b32_e32 v65, v65, v37, vcc_lo
	v_cmp_eq_u32_e32 vcc_lo, 4, v124
	s_delay_alu instid0(VALU_DEP_2) | instskip(SKIP_1) | instid1(VALU_DEP_2)
	v_cndmask_b32_e32 v65, v65, v38, vcc_lo
	v_cmp_eq_u32_e32 vcc_lo, 5, v124
	;; [unrolled: 5-line block ×13, first 2 shown]
	v_cndmask_b32_e32 v65, v65, v61, vcc_lo
	v_cmp_eq_u32_e32 vcc_lo, 28, v124
	v_add_nc_u64_e32 v[124:125], 1, v[124:125]
	s_delay_alu instid0(VALU_DEP_3) | instskip(SKIP_2) | instid1(VALU_DEP_2)
	v_cndmask_b32_e32 v65, v65, v62, vcc_lo
	v_cmp_eq_u32_e32 vcc_lo, 0, v63
	s_wait_dscnt 0x0
	v_fmac_f32_e32 v128, v65, v126
	s_or_b32 s2, vcc_lo, s2
	s_delay_alu instid0(SALU_CYCLE_1)
	s_and_not1_b32 exec_lo, exec_lo, s2
	s_cbranch_execnz .LBB28_141
; %bb.142:
	s_or_b32 exec_lo, exec_lo, s2
.LBB28_143:
	s_delay_alu instid0(SALU_CYCLE_1)
	s_or_b32 exec_lo, exec_lo, s1
.LBB28_144:
	s_delay_alu instid0(SALU_CYCLE_1)
	s_or_b32 exec_lo, exec_lo, s5
	v_mov_b32_e32 v52, 0
	ds_load_b32 v52, v52 offset:72
	s_wait_dscnt 0x0
	v_mul_f32_e32 v52, v128, v52
.LBB28_145:
	s_or_b32 exec_lo, exec_lo, s4
	v_cmp_lt_u32_e64 s1, 17, v0
	ds_store_b32 v127, v51
	s_wait_dscnt 0x0
	s_barrier_signal -1
	s_barrier_wait -1
	s_and_saveexec_b32 s4, s1
	s_cbranch_execz .LBB28_161
; %bb.146:
	s_and_not1_b32 vcc_lo, exec_lo, s29
	s_cbranch_vccnz .LBB28_148
; %bb.147:
	v_cmp_eq_u32_e32 vcc_lo, 1, v0
	ds_load_b32 v125, v127
	v_cndmask_b32_e32 v124, v34, v35, vcc_lo
	v_cmp_eq_u32_e32 vcc_lo, 2, v0
	s_delay_alu instid0(VALU_DEP_2) | instskip(SKIP_1) | instid1(VALU_DEP_2)
	v_cndmask_b32_e32 v124, v124, v36, vcc_lo
	v_cmp_eq_u32_e32 vcc_lo, 3, v0
	v_cndmask_b32_e32 v124, v124, v37, vcc_lo
	v_cmp_eq_u32_e32 vcc_lo, 4, v0
	s_delay_alu instid0(VALU_DEP_2) | instskip(SKIP_1) | instid1(VALU_DEP_2)
	v_cndmask_b32_e32 v124, v124, v38, vcc_lo
	v_cmp_eq_u32_e32 vcc_lo, 5, v0
	;; [unrolled: 5-line block ×13, first 2 shown]
	v_cndmask_b32_e32 v124, v124, v61, vcc_lo
	v_cmp_eq_u32_e32 vcc_lo, 28, v0
	s_delay_alu instid0(VALU_DEP_2) | instskip(SKIP_1) | instid1(VALU_DEP_1)
	v_cndmask_b32_e32 v124, v124, v62, vcc_lo
	s_wait_dscnt 0x0
	v_mul_f32_e32 v128, v124, v125
	s_cbranch_execz .LBB28_149
	s_branch .LBB28_150
.LBB28_148:
                                        ; implicit-def: $vgpr128
.LBB28_149:
	ds_load_b32 v128, v127
.LBB28_150:
	s_and_saveexec_b32 s5, s0
	s_cbranch_execz .LBB28_160
; %bb.151:
	v_subrev_nc_u32_e32 v126, 19, v0
	v_mov_b32_e32 v124, 18
	v_subrev_nc_u32_e32 v125, 18, v0
	s_mov_b32 s0, exec_lo
	s_delay_alu instid0(VALU_DEP_3)
	v_cmpx_lt_u32_e32 6, v126
	s_cbranch_execz .LBB28_155
; %bb.152:
	s_delay_alu instid0(VALU_DEP_2) | instskip(SKIP_3) | instid1(VALU_DEP_1)
	v_and_b32_e32 v124, -8, v125
	s_mov_b32 s6, 0
	s_mov_b64 s[2:3], 25
	s_movk_i32 s7, 0xc8
	v_sub_nc_u32_e32 v126, 0, v124
.LBB28_153:                             ; =>This Inner Loop Header: Depth=1
	s_add_co_i32 m0, s2, -7
	v_movrels_b32_e32 v129, v34
	v_mov_b32_e32 v124, s7
	s_add_co_i32 m0, s2, -6
	s_add_co_i32 s7, s7, 32
	v_movrels_b32_e32 v138, v34
	s_add_co_i32 m0, s2, -5
	ds_load_2addr_b64 v[130:133], v124 offset1:1
	ds_load_2addr_b64 v[134:137], v124 offset0:2 offset1:3
	v_movrels_b32_e32 v124, v34
	s_add_co_i32 m0, s2, -4
	s_wait_dscnt 0x1
	v_fmac_f32_e32 v128, v129, v130
	v_movrels_b32_e32 v129, v34
	s_add_co_i32 m0, s2, -3
	s_delay_alu instid0(VALU_DEP_2) | instskip(NEXT) | instid1(VALU_DEP_1)
	v_fmac_f32_e32 v128, v138, v131
	v_fmac_f32_e32 v128, v124, v132
	v_movrels_b32_e32 v124, v34
	s_add_co_i32 m0, s2, -2
	s_delay_alu instid0(VALU_DEP_2) | instskip(SKIP_3) | instid1(VALU_DEP_2)
	v_fmac_f32_e32 v128, v129, v133
	v_movrels_b32_e32 v129, v34
	s_add_co_i32 m0, s2, -1
	s_wait_dscnt 0x0
	v_fmac_f32_e32 v128, v124, v134
	v_movrels_b32_e32 v124, v34
	s_mov_b32 m0, s2
	s_add_nc_u64 s[2:3], s[2:3], 8
	v_movrels_b32_e32 v130, v34
	v_dual_fmac_f32 v128, v129, v135 :: v_dual_add_nc_u32 v129, s2, v126
	s_add_co_i32 s8, s2, -7
	s_delay_alu instid0(VALU_DEP_1) | instskip(NEXT) | instid1(VALU_DEP_2)
	v_fmac_f32_e32 v128, v124, v136
	v_cmp_eq_u32_e32 vcc_lo, 25, v129
	s_delay_alu instid0(VALU_DEP_2) | instskip(SKIP_1) | instid1(SALU_CYCLE_1)
	v_dual_mov_b32 v124, s8 :: v_dual_fmac_f32 v128, v130, v137
	s_or_b32 s6, vcc_lo, s6
	s_and_not1_b32 exec_lo, exec_lo, s6
	s_cbranch_execnz .LBB28_153
; %bb.154:
	s_or_b32 exec_lo, exec_lo, s6
.LBB28_155:
	s_delay_alu instid0(SALU_CYCLE_1) | instskip(SKIP_3) | instid1(VALU_DEP_1)
	s_or_b32 exec_lo, exec_lo, s0
	v_and_b32_e32 v63, 7, v125
	s_mov_b32 s2, 0
	s_mov_b32 s0, exec_lo
	v_cmpx_ne_u32_e32 0, v63
	s_cbranch_execz .LBB28_159
; %bb.156:
	v_lshl_add_u32 v64, v124, 2, 0x80
	v_mov_b32_e32 v125, 0
.LBB28_157:                             ; =>This Inner Loop Header: Depth=1
	v_cmp_eq_u32_e32 vcc_lo, 1, v124
	ds_load_b32 v126, v64
	v_dual_add_nc_u32 v64, 4, v64 :: v_dual_add_nc_u32 v63, -1, v63
	v_cndmask_b32_e32 v65, v34, v35, vcc_lo
	v_cmp_eq_u32_e32 vcc_lo, 2, v124
	s_delay_alu instid0(VALU_DEP_2) | instskip(SKIP_1) | instid1(VALU_DEP_2)
	v_cndmask_b32_e32 v65, v65, v36, vcc_lo
	v_cmp_eq_u32_e32 vcc_lo, 3, v124
	v_cndmask_b32_e32 v65, v65, v37, vcc_lo
	v_cmp_eq_u32_e32 vcc_lo, 4, v124
	s_delay_alu instid0(VALU_DEP_2) | instskip(SKIP_1) | instid1(VALU_DEP_2)
	v_cndmask_b32_e32 v65, v65, v38, vcc_lo
	v_cmp_eq_u32_e32 vcc_lo, 5, v124
	;; [unrolled: 5-line block ×13, first 2 shown]
	v_cndmask_b32_e32 v65, v65, v61, vcc_lo
	v_cmp_eq_u32_e32 vcc_lo, 28, v124
	v_add_nc_u64_e32 v[124:125], 1, v[124:125]
	s_delay_alu instid0(VALU_DEP_3) | instskip(SKIP_2) | instid1(VALU_DEP_2)
	v_cndmask_b32_e32 v65, v65, v62, vcc_lo
	v_cmp_eq_u32_e32 vcc_lo, 0, v63
	s_wait_dscnt 0x0
	v_fmac_f32_e32 v128, v65, v126
	s_or_b32 s2, vcc_lo, s2
	s_delay_alu instid0(SALU_CYCLE_1)
	s_and_not1_b32 exec_lo, exec_lo, s2
	s_cbranch_execnz .LBB28_157
; %bb.158:
	s_or_b32 exec_lo, exec_lo, s2
.LBB28_159:
	s_delay_alu instid0(SALU_CYCLE_1)
	s_or_b32 exec_lo, exec_lo, s0
.LBB28_160:
	s_delay_alu instid0(SALU_CYCLE_1)
	s_or_b32 exec_lo, exec_lo, s5
	v_mov_b32_e32 v51, 0
	ds_load_b32 v51, v51 offset:68
	s_wait_dscnt 0x0
	v_mul_f32_e32 v51, v128, v51
.LBB28_161:
	s_or_b32 exec_lo, exec_lo, s4
	v_cmp_lt_u32_e64 s0, 16, v0
	ds_store_b32 v127, v50
	s_wait_dscnt 0x0
	s_barrier_signal -1
	s_barrier_wait -1
	s_and_saveexec_b32 s4, s0
	s_cbranch_execz .LBB28_177
; %bb.162:
	s_and_not1_b32 vcc_lo, exec_lo, s29
	s_cbranch_vccnz .LBB28_164
; %bb.163:
	v_cmp_eq_u32_e32 vcc_lo, 1, v0
	ds_load_b32 v125, v127
	v_cndmask_b32_e32 v124, v34, v35, vcc_lo
	v_cmp_eq_u32_e32 vcc_lo, 2, v0
	s_delay_alu instid0(VALU_DEP_2) | instskip(SKIP_1) | instid1(VALU_DEP_2)
	v_cndmask_b32_e32 v124, v124, v36, vcc_lo
	v_cmp_eq_u32_e32 vcc_lo, 3, v0
	v_cndmask_b32_e32 v124, v124, v37, vcc_lo
	v_cmp_eq_u32_e32 vcc_lo, 4, v0
	s_delay_alu instid0(VALU_DEP_2) | instskip(SKIP_1) | instid1(VALU_DEP_2)
	v_cndmask_b32_e32 v124, v124, v38, vcc_lo
	v_cmp_eq_u32_e32 vcc_lo, 5, v0
	;; [unrolled: 5-line block ×13, first 2 shown]
	v_cndmask_b32_e32 v124, v124, v61, vcc_lo
	v_cmp_eq_u32_e32 vcc_lo, 28, v0
	s_delay_alu instid0(VALU_DEP_2) | instskip(SKIP_1) | instid1(VALU_DEP_1)
	v_cndmask_b32_e32 v124, v124, v62, vcc_lo
	s_wait_dscnt 0x0
	v_mul_f32_e32 v128, v124, v125
	s_cbranch_execz .LBB28_165
	s_branch .LBB28_166
.LBB28_164:
                                        ; implicit-def: $vgpr128
.LBB28_165:
	ds_load_b32 v128, v127
.LBB28_166:
	s_and_saveexec_b32 s5, s1
	s_cbranch_execz .LBB28_176
; %bb.167:
	v_subrev_nc_u32_e32 v126, 18, v0
	v_mov_b32_e32 v124, 17
	v_subrev_nc_u32_e32 v125, 17, v0
	s_mov_b32 s1, exec_lo
	s_delay_alu instid0(VALU_DEP_3)
	v_cmpx_lt_u32_e32 6, v126
	s_cbranch_execz .LBB28_171
; %bb.168:
	s_delay_alu instid0(VALU_DEP_2) | instskip(SKIP_3) | instid1(VALU_DEP_1)
	v_and_b32_e32 v124, -8, v125
	s_mov_b32 s6, 0
	s_mov_b64 s[2:3], 24
	s_movk_i32 s7, 0xc4
	v_sub_nc_u32_e32 v126, 0, v124
.LBB28_169:                             ; =>This Inner Loop Header: Depth=1
	s_add_co_i32 m0, s2, -7
	v_movrels_b32_e32 v129, v34
	v_mov_b32_e32 v124, s7
	s_add_co_i32 m0, s2, -6
	s_add_co_i32 s7, s7, 32
	v_movrels_b32_e32 v138, v34
	ds_load_2addr_b32 v[130:131], v124 offset1:1
	ds_load_2addr_b32 v[132:133], v124 offset0:2 offset1:3
	s_add_co_i32 m0, s2, -5
	s_wait_dscnt 0x1
	v_fmac_f32_e32 v128, v129, v130
	ds_load_2addr_b32 v[134:135], v124 offset0:4 offset1:5
	ds_load_2addr_b32 v[136:137], v124 offset0:6 offset1:7
	v_movrels_b32_e32 v124, v34
	s_add_co_i32 m0, s2, -4
	v_fmac_f32_e32 v128, v138, v131
	v_movrels_b32_e32 v129, v34
	s_add_co_i32 m0, s2, -3
	s_wait_dscnt 0x2
	s_delay_alu instid0(VALU_DEP_2) | instskip(SKIP_2) | instid1(VALU_DEP_2)
	v_fmac_f32_e32 v128, v124, v132
	v_movrels_b32_e32 v124, v34
	s_add_co_i32 m0, s2, -2
	v_fmac_f32_e32 v128, v129, v133
	v_movrels_b32_e32 v129, v34
	s_add_co_i32 m0, s2, -1
	s_wait_dscnt 0x1
	s_delay_alu instid0(VALU_DEP_2)
	v_fmac_f32_e32 v128, v124, v134
	v_movrels_b32_e32 v124, v34
	s_mov_b32 m0, s2
	s_add_nc_u64 s[2:3], s[2:3], 8
	v_movrels_b32_e32 v130, v34
	v_dual_fmac_f32 v128, v129, v135 :: v_dual_add_nc_u32 v129, s2, v126
	s_add_co_i32 s8, s2, -7
	s_wait_dscnt 0x0
	s_delay_alu instid0(VALU_DEP_1) | instskip(NEXT) | instid1(VALU_DEP_2)
	v_fmac_f32_e32 v128, v124, v136
	v_cmp_eq_u32_e32 vcc_lo, 24, v129
	s_delay_alu instid0(VALU_DEP_2) | instskip(SKIP_1) | instid1(SALU_CYCLE_1)
	v_dual_mov_b32 v124, s8 :: v_dual_fmac_f32 v128, v130, v137
	s_or_b32 s6, vcc_lo, s6
	s_and_not1_b32 exec_lo, exec_lo, s6
	s_cbranch_execnz .LBB28_169
; %bb.170:
	s_or_b32 exec_lo, exec_lo, s6
.LBB28_171:
	s_delay_alu instid0(SALU_CYCLE_1) | instskip(SKIP_3) | instid1(VALU_DEP_1)
	s_or_b32 exec_lo, exec_lo, s1
	v_and_b32_e32 v63, 7, v125
	s_mov_b32 s2, 0
	s_mov_b32 s1, exec_lo
	v_cmpx_ne_u32_e32 0, v63
	s_cbranch_execz .LBB28_175
; %bb.172:
	v_lshl_add_u32 v64, v124, 2, 0x80
	v_mov_b32_e32 v125, 0
.LBB28_173:                             ; =>This Inner Loop Header: Depth=1
	v_cmp_eq_u32_e32 vcc_lo, 1, v124
	ds_load_b32 v126, v64
	v_dual_add_nc_u32 v64, 4, v64 :: v_dual_add_nc_u32 v63, -1, v63
	v_cndmask_b32_e32 v65, v34, v35, vcc_lo
	v_cmp_eq_u32_e32 vcc_lo, 2, v124
	s_delay_alu instid0(VALU_DEP_2) | instskip(SKIP_1) | instid1(VALU_DEP_2)
	v_cndmask_b32_e32 v65, v65, v36, vcc_lo
	v_cmp_eq_u32_e32 vcc_lo, 3, v124
	v_cndmask_b32_e32 v65, v65, v37, vcc_lo
	v_cmp_eq_u32_e32 vcc_lo, 4, v124
	s_delay_alu instid0(VALU_DEP_2) | instskip(SKIP_1) | instid1(VALU_DEP_2)
	v_cndmask_b32_e32 v65, v65, v38, vcc_lo
	v_cmp_eq_u32_e32 vcc_lo, 5, v124
	;; [unrolled: 5-line block ×13, first 2 shown]
	v_cndmask_b32_e32 v65, v65, v61, vcc_lo
	v_cmp_eq_u32_e32 vcc_lo, 28, v124
	v_add_nc_u64_e32 v[124:125], 1, v[124:125]
	s_delay_alu instid0(VALU_DEP_3) | instskip(SKIP_2) | instid1(VALU_DEP_2)
	v_cndmask_b32_e32 v65, v65, v62, vcc_lo
	v_cmp_eq_u32_e32 vcc_lo, 0, v63
	s_wait_dscnt 0x0
	v_fmac_f32_e32 v128, v65, v126
	s_or_b32 s2, vcc_lo, s2
	s_delay_alu instid0(SALU_CYCLE_1)
	s_and_not1_b32 exec_lo, exec_lo, s2
	s_cbranch_execnz .LBB28_173
; %bb.174:
	s_or_b32 exec_lo, exec_lo, s2
.LBB28_175:
	s_delay_alu instid0(SALU_CYCLE_1)
	s_or_b32 exec_lo, exec_lo, s1
.LBB28_176:
	s_delay_alu instid0(SALU_CYCLE_1)
	s_or_b32 exec_lo, exec_lo, s5
	v_mov_b32_e32 v50, 0
	ds_load_b32 v50, v50 offset:64
	s_wait_dscnt 0x0
	v_mul_f32_e32 v50, v128, v50
.LBB28_177:
	s_or_b32 exec_lo, exec_lo, s4
	v_cmp_lt_u32_e64 s1, 15, v0
	ds_store_b32 v127, v49
	s_wait_dscnt 0x0
	s_barrier_signal -1
	s_barrier_wait -1
	s_and_saveexec_b32 s4, s1
	s_cbranch_execz .LBB28_193
; %bb.178:
	s_and_not1_b32 vcc_lo, exec_lo, s29
	s_cbranch_vccnz .LBB28_180
; %bb.179:
	v_cmp_eq_u32_e32 vcc_lo, 1, v0
	ds_load_b32 v125, v127
	v_cndmask_b32_e32 v124, v34, v35, vcc_lo
	v_cmp_eq_u32_e32 vcc_lo, 2, v0
	s_delay_alu instid0(VALU_DEP_2) | instskip(SKIP_1) | instid1(VALU_DEP_2)
	v_cndmask_b32_e32 v124, v124, v36, vcc_lo
	v_cmp_eq_u32_e32 vcc_lo, 3, v0
	v_cndmask_b32_e32 v124, v124, v37, vcc_lo
	v_cmp_eq_u32_e32 vcc_lo, 4, v0
	s_delay_alu instid0(VALU_DEP_2) | instskip(SKIP_1) | instid1(VALU_DEP_2)
	v_cndmask_b32_e32 v124, v124, v38, vcc_lo
	v_cmp_eq_u32_e32 vcc_lo, 5, v0
	;; [unrolled: 5-line block ×13, first 2 shown]
	v_cndmask_b32_e32 v124, v124, v61, vcc_lo
	v_cmp_eq_u32_e32 vcc_lo, 28, v0
	s_delay_alu instid0(VALU_DEP_2) | instskip(SKIP_1) | instid1(VALU_DEP_1)
	v_cndmask_b32_e32 v124, v124, v62, vcc_lo
	s_wait_dscnt 0x0
	v_mul_f32_e32 v128, v124, v125
	s_cbranch_execz .LBB28_181
	s_branch .LBB28_182
.LBB28_180:
                                        ; implicit-def: $vgpr128
.LBB28_181:
	ds_load_b32 v128, v127
.LBB28_182:
	s_and_saveexec_b32 s5, s0
	s_cbranch_execz .LBB28_192
; %bb.183:
	v_subrev_nc_u32_e32 v124, 17, v0
	s_delay_alu instid0(VALU_DEP_1)
	v_cmp_lt_u32_e32 vcc_lo, 6, v124
	v_mov_b32_e32 v124, 16
	s_and_saveexec_b32 s0, vcc_lo
	s_cbranch_execz .LBB28_187
; %bb.184:
	v_and_b32_e32 v124, 24, v0
	s_mov_b32 s6, 0
	s_mov_b64 s[2:3], 23
	s_movk_i32 s7, 0xc0
	s_delay_alu instid0(VALU_DEP_1)
	v_sub_nc_u32_e32 v126, 0, v124
.LBB28_185:                             ; =>This Inner Loop Header: Depth=1
	s_add_co_i32 m0, s2, -7
	v_movrels_b32_e32 v125, v34
	v_mov_b32_e32 v124, s7
	s_add_co_i32 m0, s2, -6
	s_add_co_i32 s7, s7, 32
	v_movrels_b32_e32 v129, v34
	s_add_co_i32 m0, s2, -5
	ds_load_b128 v[130:133], v124
	ds_load_b128 v[134:137], v124 offset:16
	v_movrels_b32_e32 v124, v34
	s_add_co_i32 m0, s2, -4
	s_wait_dscnt 0x1
	v_fmac_f32_e32 v128, v125, v130
	v_movrels_b32_e32 v125, v34
	s_add_co_i32 m0, s2, -3
	s_delay_alu instid0(VALU_DEP_2) | instskip(NEXT) | instid1(VALU_DEP_1)
	v_fmac_f32_e32 v128, v129, v131
	v_fmac_f32_e32 v128, v124, v132
	v_movrels_b32_e32 v124, v34
	s_add_co_i32 m0, s2, -2
	s_delay_alu instid0(VALU_DEP_2) | instskip(SKIP_3) | instid1(VALU_DEP_2)
	v_fmac_f32_e32 v128, v125, v133
	v_movrels_b32_e32 v125, v34
	s_add_co_i32 m0, s2, -1
	s_wait_dscnt 0x0
	v_fmac_f32_e32 v128, v124, v134
	v_movrels_b32_e32 v124, v34
	s_mov_b32 m0, s2
	s_add_nc_u64 s[2:3], s[2:3], 8
	v_movrels_b32_e32 v129, v34
	v_dual_fmac_f32 v128, v125, v135 :: v_dual_add_nc_u32 v125, s2, v126
	s_add_co_i32 s8, s2, -7
	s_delay_alu instid0(VALU_DEP_1) | instskip(NEXT) | instid1(VALU_DEP_2)
	v_fmac_f32_e32 v128, v124, v136
	v_cmp_eq_u32_e32 vcc_lo, 7, v125
	s_delay_alu instid0(VALU_DEP_2) | instskip(SKIP_1) | instid1(SALU_CYCLE_1)
	v_dual_mov_b32 v124, s8 :: v_dual_fmac_f32 v128, v129, v137
	s_or_b32 s6, vcc_lo, s6
	s_and_not1_b32 exec_lo, exec_lo, s6
	s_cbranch_execnz .LBB28_185
; %bb.186:
	s_or_b32 exec_lo, exec_lo, s6
.LBB28_187:
	s_delay_alu instid0(SALU_CYCLE_1) | instskip(SKIP_3) | instid1(VALU_DEP_1)
	s_or_b32 exec_lo, exec_lo, s0
	v_and_b32_e32 v63, 7, v0
	s_mov_b32 s2, 0
	s_mov_b32 s0, exec_lo
	v_cmpx_ne_u32_e32 0, v63
	s_cbranch_execz .LBB28_191
; %bb.188:
	v_lshl_add_u32 v64, v124, 2, 0x80
	v_mov_b32_e32 v125, 0
.LBB28_189:                             ; =>This Inner Loop Header: Depth=1
	v_cmp_eq_u32_e32 vcc_lo, 1, v124
	ds_load_b32 v126, v64
	v_dual_add_nc_u32 v64, 4, v64 :: v_dual_add_nc_u32 v63, -1, v63
	v_cndmask_b32_e32 v65, v34, v35, vcc_lo
	v_cmp_eq_u32_e32 vcc_lo, 2, v124
	s_delay_alu instid0(VALU_DEP_2) | instskip(SKIP_1) | instid1(VALU_DEP_2)
	v_cndmask_b32_e32 v65, v65, v36, vcc_lo
	v_cmp_eq_u32_e32 vcc_lo, 3, v124
	v_cndmask_b32_e32 v65, v65, v37, vcc_lo
	v_cmp_eq_u32_e32 vcc_lo, 4, v124
	s_delay_alu instid0(VALU_DEP_2) | instskip(SKIP_1) | instid1(VALU_DEP_2)
	v_cndmask_b32_e32 v65, v65, v38, vcc_lo
	v_cmp_eq_u32_e32 vcc_lo, 5, v124
	;; [unrolled: 5-line block ×13, first 2 shown]
	v_cndmask_b32_e32 v65, v65, v61, vcc_lo
	v_cmp_eq_u32_e32 vcc_lo, 28, v124
	v_add_nc_u64_e32 v[124:125], 1, v[124:125]
	s_delay_alu instid0(VALU_DEP_3) | instskip(SKIP_2) | instid1(VALU_DEP_2)
	v_cndmask_b32_e32 v65, v65, v62, vcc_lo
	v_cmp_eq_u32_e32 vcc_lo, 0, v63
	s_wait_dscnt 0x0
	v_fmac_f32_e32 v128, v65, v126
	s_or_b32 s2, vcc_lo, s2
	s_delay_alu instid0(SALU_CYCLE_1)
	s_and_not1_b32 exec_lo, exec_lo, s2
	s_cbranch_execnz .LBB28_189
; %bb.190:
	s_or_b32 exec_lo, exec_lo, s2
.LBB28_191:
	s_delay_alu instid0(SALU_CYCLE_1)
	s_or_b32 exec_lo, exec_lo, s0
.LBB28_192:
	s_delay_alu instid0(SALU_CYCLE_1)
	s_or_b32 exec_lo, exec_lo, s5
	v_mov_b32_e32 v49, 0
	ds_load_b32 v49, v49 offset:60
	s_wait_dscnt 0x0
	v_mul_f32_e32 v49, v128, v49
.LBB28_193:
	s_or_b32 exec_lo, exec_lo, s4
	v_cmp_lt_u32_e64 s0, 14, v0
	ds_store_b32 v127, v48
	s_wait_dscnt 0x0
	s_barrier_signal -1
	s_barrier_wait -1
	s_and_saveexec_b32 s4, s0
	s_cbranch_execz .LBB28_209
; %bb.194:
	s_and_not1_b32 vcc_lo, exec_lo, s29
	s_cbranch_vccnz .LBB28_196
; %bb.195:
	v_cmp_eq_u32_e32 vcc_lo, 1, v0
	ds_load_b32 v125, v127
	v_cndmask_b32_e32 v124, v34, v35, vcc_lo
	v_cmp_eq_u32_e32 vcc_lo, 2, v0
	s_delay_alu instid0(VALU_DEP_2) | instskip(SKIP_1) | instid1(VALU_DEP_2)
	v_cndmask_b32_e32 v124, v124, v36, vcc_lo
	v_cmp_eq_u32_e32 vcc_lo, 3, v0
	v_cndmask_b32_e32 v124, v124, v37, vcc_lo
	v_cmp_eq_u32_e32 vcc_lo, 4, v0
	s_delay_alu instid0(VALU_DEP_2) | instskip(SKIP_1) | instid1(VALU_DEP_2)
	v_cndmask_b32_e32 v124, v124, v38, vcc_lo
	v_cmp_eq_u32_e32 vcc_lo, 5, v0
	v_cndmask_b32_e32 v124, v124, v39, vcc_lo
	v_cmp_eq_u32_e32 vcc_lo, 6, v0
	s_delay_alu instid0(VALU_DEP_2) | instskip(SKIP_1) | instid1(VALU_DEP_2)
	v_cndmask_b32_e32 v124, v124, v40, vcc_lo
	v_cmp_eq_u32_e32 vcc_lo, 7, v0
	v_cndmask_b32_e32 v124, v124, v41, vcc_lo
	v_cmp_eq_u32_e32 vcc_lo, 8, v0
	s_delay_alu instid0(VALU_DEP_2) | instskip(SKIP_1) | instid1(VALU_DEP_2)
	v_cndmask_b32_e32 v124, v124, v42, vcc_lo
	v_cmp_eq_u32_e32 vcc_lo, 9, v0
	v_cndmask_b32_e32 v124, v124, v43, vcc_lo
	v_cmp_eq_u32_e32 vcc_lo, 10, v0
	s_delay_alu instid0(VALU_DEP_2) | instskip(SKIP_1) | instid1(VALU_DEP_2)
	v_cndmask_b32_e32 v124, v124, v44, vcc_lo
	v_cmp_eq_u32_e32 vcc_lo, 11, v0
	v_cndmask_b32_e32 v124, v124, v45, vcc_lo
	v_cmp_eq_u32_e32 vcc_lo, 12, v0
	s_delay_alu instid0(VALU_DEP_2) | instskip(SKIP_1) | instid1(VALU_DEP_2)
	v_cndmask_b32_e32 v124, v124, v46, vcc_lo
	v_cmp_eq_u32_e32 vcc_lo, 13, v0
	v_cndmask_b32_e32 v124, v124, v47, vcc_lo
	v_cmp_eq_u32_e32 vcc_lo, 14, v0
	s_delay_alu instid0(VALU_DEP_2) | instskip(SKIP_1) | instid1(VALU_DEP_2)
	v_cndmask_b32_e32 v124, v124, v48, vcc_lo
	v_cmp_eq_u32_e32 vcc_lo, 15, v0
	v_cndmask_b32_e32 v124, v124, v49, vcc_lo
	v_cmp_eq_u32_e32 vcc_lo, 16, v0
	s_delay_alu instid0(VALU_DEP_2) | instskip(SKIP_1) | instid1(VALU_DEP_2)
	v_cndmask_b32_e32 v124, v124, v50, vcc_lo
	v_cmp_eq_u32_e32 vcc_lo, 17, v0
	v_cndmask_b32_e32 v124, v124, v51, vcc_lo
	v_cmp_eq_u32_e32 vcc_lo, 18, v0
	s_delay_alu instid0(VALU_DEP_2) | instskip(SKIP_1) | instid1(VALU_DEP_2)
	v_cndmask_b32_e32 v124, v124, v52, vcc_lo
	v_cmp_eq_u32_e32 vcc_lo, 19, v0
	v_cndmask_b32_e32 v124, v124, v53, vcc_lo
	v_cmp_eq_u32_e32 vcc_lo, 20, v0
	s_delay_alu instid0(VALU_DEP_2) | instskip(SKIP_1) | instid1(VALU_DEP_2)
	v_cndmask_b32_e32 v124, v124, v54, vcc_lo
	v_cmp_eq_u32_e32 vcc_lo, 21, v0
	v_cndmask_b32_e32 v124, v124, v55, vcc_lo
	v_cmp_eq_u32_e32 vcc_lo, 22, v0
	s_delay_alu instid0(VALU_DEP_2) | instskip(SKIP_1) | instid1(VALU_DEP_2)
	v_cndmask_b32_e32 v124, v124, v56, vcc_lo
	v_cmp_eq_u32_e32 vcc_lo, 23, v0
	v_cndmask_b32_e32 v124, v124, v57, vcc_lo
	v_cmp_eq_u32_e32 vcc_lo, 24, v0
	s_delay_alu instid0(VALU_DEP_2) | instskip(SKIP_1) | instid1(VALU_DEP_2)
	v_cndmask_b32_e32 v124, v124, v58, vcc_lo
	v_cmp_eq_u32_e32 vcc_lo, 25, v0
	v_cndmask_b32_e32 v124, v124, v59, vcc_lo
	v_cmp_eq_u32_e32 vcc_lo, 26, v0
	s_delay_alu instid0(VALU_DEP_2) | instskip(SKIP_1) | instid1(VALU_DEP_2)
	v_cndmask_b32_e32 v124, v124, v60, vcc_lo
	v_cmp_eq_u32_e32 vcc_lo, 27, v0
	v_cndmask_b32_e32 v124, v124, v61, vcc_lo
	v_cmp_eq_u32_e32 vcc_lo, 28, v0
	s_delay_alu instid0(VALU_DEP_2) | instskip(SKIP_1) | instid1(VALU_DEP_1)
	v_cndmask_b32_e32 v124, v124, v62, vcc_lo
	s_wait_dscnt 0x0
	v_mul_f32_e32 v128, v124, v125
	s_cbranch_execz .LBB28_197
	s_branch .LBB28_198
.LBB28_196:
                                        ; implicit-def: $vgpr128
.LBB28_197:
	ds_load_b32 v128, v127
.LBB28_198:
	s_and_saveexec_b32 s5, s1
	s_cbranch_execz .LBB28_208
; %bb.199:
	v_dual_add_nc_u32 v124, -16, v0 :: v_dual_add_nc_u32 v125, -15, v0
	s_delay_alu instid0(VALU_DEP_1)
	v_cmp_lt_u32_e32 vcc_lo, 6, v124
	v_mov_b32_e32 v124, 15
	s_and_saveexec_b32 s1, vcc_lo
	s_cbranch_execz .LBB28_203
; %bb.200:
	v_and_b32_e32 v124, -8, v125
	s_mov_b32 s6, 0
	s_mov_b64 s[2:3], 22
	s_movk_i32 s7, 0xbc
	s_delay_alu instid0(VALU_DEP_1)
	v_sub_nc_u32_e32 v126, 0, v124
.LBB28_201:                             ; =>This Inner Loop Header: Depth=1
	s_add_co_i32 m0, s2, -7
	v_movrels_b32_e32 v129, v34
	v_mov_b32_e32 v124, s7
	s_add_co_i32 m0, s2, -6
	s_add_co_i32 s7, s7, 32
	v_movrels_b32_e32 v138, v34
	ds_load_2addr_b32 v[130:131], v124 offset1:1
	ds_load_2addr_b32 v[132:133], v124 offset0:2 offset1:3
	s_add_co_i32 m0, s2, -5
	s_wait_dscnt 0x1
	v_fmac_f32_e32 v128, v129, v130
	ds_load_2addr_b32 v[134:135], v124 offset0:4 offset1:5
	ds_load_2addr_b32 v[136:137], v124 offset0:6 offset1:7
	v_movrels_b32_e32 v124, v34
	s_add_co_i32 m0, s2, -4
	v_fmac_f32_e32 v128, v138, v131
	v_movrels_b32_e32 v129, v34
	s_add_co_i32 m0, s2, -3
	s_wait_dscnt 0x2
	s_delay_alu instid0(VALU_DEP_2) | instskip(SKIP_2) | instid1(VALU_DEP_2)
	v_fmac_f32_e32 v128, v124, v132
	v_movrels_b32_e32 v124, v34
	s_add_co_i32 m0, s2, -2
	v_fmac_f32_e32 v128, v129, v133
	v_movrels_b32_e32 v129, v34
	s_add_co_i32 m0, s2, -1
	s_wait_dscnt 0x1
	s_delay_alu instid0(VALU_DEP_2)
	v_fmac_f32_e32 v128, v124, v134
	v_movrels_b32_e32 v124, v34
	s_mov_b32 m0, s2
	s_add_nc_u64 s[2:3], s[2:3], 8
	v_movrels_b32_e32 v130, v34
	v_dual_fmac_f32 v128, v129, v135 :: v_dual_add_nc_u32 v129, s2, v126
	s_add_co_i32 s8, s2, -7
	s_wait_dscnt 0x0
	s_delay_alu instid0(VALU_DEP_1) | instskip(NEXT) | instid1(VALU_DEP_2)
	v_fmac_f32_e32 v128, v124, v136
	v_cmp_eq_u32_e32 vcc_lo, 22, v129
	s_delay_alu instid0(VALU_DEP_2) | instskip(SKIP_1) | instid1(SALU_CYCLE_1)
	v_dual_mov_b32 v124, s8 :: v_dual_fmac_f32 v128, v130, v137
	s_or_b32 s6, vcc_lo, s6
	s_and_not1_b32 exec_lo, exec_lo, s6
	s_cbranch_execnz .LBB28_201
; %bb.202:
	s_or_b32 exec_lo, exec_lo, s6
.LBB28_203:
	s_delay_alu instid0(SALU_CYCLE_1) | instskip(SKIP_3) | instid1(VALU_DEP_1)
	s_or_b32 exec_lo, exec_lo, s1
	v_and_b32_e32 v63, 7, v125
	s_mov_b32 s2, 0
	s_mov_b32 s1, exec_lo
	v_cmpx_ne_u32_e32 0, v63
	s_cbranch_execz .LBB28_207
; %bb.204:
	v_lshl_add_u32 v64, v124, 2, 0x80
	v_mov_b32_e32 v125, 0
.LBB28_205:                             ; =>This Inner Loop Header: Depth=1
	v_cmp_eq_u32_e32 vcc_lo, 1, v124
	ds_load_b32 v126, v64
	v_dual_add_nc_u32 v64, 4, v64 :: v_dual_add_nc_u32 v63, -1, v63
	v_cndmask_b32_e32 v65, v34, v35, vcc_lo
	v_cmp_eq_u32_e32 vcc_lo, 2, v124
	s_delay_alu instid0(VALU_DEP_2) | instskip(SKIP_1) | instid1(VALU_DEP_2)
	v_cndmask_b32_e32 v65, v65, v36, vcc_lo
	v_cmp_eq_u32_e32 vcc_lo, 3, v124
	v_cndmask_b32_e32 v65, v65, v37, vcc_lo
	v_cmp_eq_u32_e32 vcc_lo, 4, v124
	s_delay_alu instid0(VALU_DEP_2) | instskip(SKIP_1) | instid1(VALU_DEP_2)
	v_cndmask_b32_e32 v65, v65, v38, vcc_lo
	v_cmp_eq_u32_e32 vcc_lo, 5, v124
	;; [unrolled: 5-line block ×13, first 2 shown]
	v_cndmask_b32_e32 v65, v65, v61, vcc_lo
	v_cmp_eq_u32_e32 vcc_lo, 28, v124
	v_add_nc_u64_e32 v[124:125], 1, v[124:125]
	s_delay_alu instid0(VALU_DEP_3) | instskip(SKIP_2) | instid1(VALU_DEP_2)
	v_cndmask_b32_e32 v65, v65, v62, vcc_lo
	v_cmp_eq_u32_e32 vcc_lo, 0, v63
	s_wait_dscnt 0x0
	v_fmac_f32_e32 v128, v65, v126
	s_or_b32 s2, vcc_lo, s2
	s_delay_alu instid0(SALU_CYCLE_1)
	s_and_not1_b32 exec_lo, exec_lo, s2
	s_cbranch_execnz .LBB28_205
; %bb.206:
	s_or_b32 exec_lo, exec_lo, s2
.LBB28_207:
	s_delay_alu instid0(SALU_CYCLE_1)
	s_or_b32 exec_lo, exec_lo, s1
.LBB28_208:
	s_delay_alu instid0(SALU_CYCLE_1)
	s_or_b32 exec_lo, exec_lo, s5
	v_mov_b32_e32 v48, 0
	ds_load_b32 v48, v48 offset:56
	s_wait_dscnt 0x0
	v_mul_f32_e32 v48, v128, v48
.LBB28_209:
	s_or_b32 exec_lo, exec_lo, s4
	v_cmp_lt_u32_e64 s1, 13, v0
	ds_store_b32 v127, v47
	s_wait_dscnt 0x0
	s_barrier_signal -1
	s_barrier_wait -1
	s_and_saveexec_b32 s4, s1
	s_cbranch_execz .LBB28_225
; %bb.210:
	s_and_not1_b32 vcc_lo, exec_lo, s29
	s_cbranch_vccnz .LBB28_212
; %bb.211:
	v_cmp_eq_u32_e32 vcc_lo, 1, v0
	ds_load_b32 v125, v127
	v_cndmask_b32_e32 v124, v34, v35, vcc_lo
	v_cmp_eq_u32_e32 vcc_lo, 2, v0
	s_delay_alu instid0(VALU_DEP_2) | instskip(SKIP_1) | instid1(VALU_DEP_2)
	v_cndmask_b32_e32 v124, v124, v36, vcc_lo
	v_cmp_eq_u32_e32 vcc_lo, 3, v0
	v_cndmask_b32_e32 v124, v124, v37, vcc_lo
	v_cmp_eq_u32_e32 vcc_lo, 4, v0
	s_delay_alu instid0(VALU_DEP_2) | instskip(SKIP_1) | instid1(VALU_DEP_2)
	v_cndmask_b32_e32 v124, v124, v38, vcc_lo
	v_cmp_eq_u32_e32 vcc_lo, 5, v0
	;; [unrolled: 5-line block ×13, first 2 shown]
	v_cndmask_b32_e32 v124, v124, v61, vcc_lo
	v_cmp_eq_u32_e32 vcc_lo, 28, v0
	s_delay_alu instid0(VALU_DEP_2) | instskip(SKIP_1) | instid1(VALU_DEP_1)
	v_cndmask_b32_e32 v124, v124, v62, vcc_lo
	s_wait_dscnt 0x0
	v_mul_f32_e32 v128, v124, v125
	s_cbranch_execz .LBB28_213
	s_branch .LBB28_214
.LBB28_212:
                                        ; implicit-def: $vgpr128
.LBB28_213:
	ds_load_b32 v128, v127
.LBB28_214:
	s_and_saveexec_b32 s5, s0
	s_cbranch_execz .LBB28_224
; %bb.215:
	v_dual_add_nc_u32 v124, -15, v0 :: v_dual_add_nc_u32 v125, -14, v0
	s_delay_alu instid0(VALU_DEP_1)
	v_cmp_lt_u32_e32 vcc_lo, 6, v124
	v_mov_b32_e32 v124, 14
	s_and_saveexec_b32 s0, vcc_lo
	s_cbranch_execz .LBB28_219
; %bb.216:
	v_and_b32_e32 v124, -8, v125
	s_mov_b32 s6, 0
	s_mov_b64 s[2:3], 21
	s_movk_i32 s7, 0xb8
	s_delay_alu instid0(VALU_DEP_1)
	v_sub_nc_u32_e32 v126, 0, v124
.LBB28_217:                             ; =>This Inner Loop Header: Depth=1
	s_add_co_i32 m0, s2, -7
	v_movrels_b32_e32 v129, v34
	v_mov_b32_e32 v124, s7
	s_add_co_i32 m0, s2, -6
	s_add_co_i32 s7, s7, 32
	v_movrels_b32_e32 v138, v34
	s_add_co_i32 m0, s2, -5
	ds_load_2addr_b64 v[130:133], v124 offset1:1
	ds_load_2addr_b64 v[134:137], v124 offset0:2 offset1:3
	v_movrels_b32_e32 v124, v34
	s_add_co_i32 m0, s2, -4
	s_wait_dscnt 0x1
	v_fmac_f32_e32 v128, v129, v130
	v_movrels_b32_e32 v129, v34
	s_add_co_i32 m0, s2, -3
	s_delay_alu instid0(VALU_DEP_2) | instskip(NEXT) | instid1(VALU_DEP_1)
	v_fmac_f32_e32 v128, v138, v131
	v_fmac_f32_e32 v128, v124, v132
	v_movrels_b32_e32 v124, v34
	s_add_co_i32 m0, s2, -2
	s_delay_alu instid0(VALU_DEP_2) | instskip(SKIP_3) | instid1(VALU_DEP_2)
	v_fmac_f32_e32 v128, v129, v133
	v_movrels_b32_e32 v129, v34
	s_add_co_i32 m0, s2, -1
	s_wait_dscnt 0x0
	v_fmac_f32_e32 v128, v124, v134
	v_movrels_b32_e32 v124, v34
	s_mov_b32 m0, s2
	s_add_nc_u64 s[2:3], s[2:3], 8
	v_movrels_b32_e32 v130, v34
	v_dual_fmac_f32 v128, v129, v135 :: v_dual_add_nc_u32 v129, s2, v126
	s_add_co_i32 s8, s2, -7
	s_delay_alu instid0(VALU_DEP_1) | instskip(NEXT) | instid1(VALU_DEP_2)
	v_fmac_f32_e32 v128, v124, v136
	v_cmp_eq_u32_e32 vcc_lo, 21, v129
	s_delay_alu instid0(VALU_DEP_2) | instskip(SKIP_1) | instid1(SALU_CYCLE_1)
	v_dual_mov_b32 v124, s8 :: v_dual_fmac_f32 v128, v130, v137
	s_or_b32 s6, vcc_lo, s6
	s_and_not1_b32 exec_lo, exec_lo, s6
	s_cbranch_execnz .LBB28_217
; %bb.218:
	s_or_b32 exec_lo, exec_lo, s6
.LBB28_219:
	s_delay_alu instid0(SALU_CYCLE_1) | instskip(SKIP_3) | instid1(VALU_DEP_1)
	s_or_b32 exec_lo, exec_lo, s0
	v_and_b32_e32 v63, 7, v125
	s_mov_b32 s2, 0
	s_mov_b32 s0, exec_lo
	v_cmpx_ne_u32_e32 0, v63
	s_cbranch_execz .LBB28_223
; %bb.220:
	v_lshl_add_u32 v64, v124, 2, 0x80
	v_mov_b32_e32 v125, 0
.LBB28_221:                             ; =>This Inner Loop Header: Depth=1
	v_cmp_eq_u32_e32 vcc_lo, 1, v124
	ds_load_b32 v126, v64
	v_dual_add_nc_u32 v64, 4, v64 :: v_dual_add_nc_u32 v63, -1, v63
	v_cndmask_b32_e32 v65, v34, v35, vcc_lo
	v_cmp_eq_u32_e32 vcc_lo, 2, v124
	s_delay_alu instid0(VALU_DEP_2) | instskip(SKIP_1) | instid1(VALU_DEP_2)
	v_cndmask_b32_e32 v65, v65, v36, vcc_lo
	v_cmp_eq_u32_e32 vcc_lo, 3, v124
	v_cndmask_b32_e32 v65, v65, v37, vcc_lo
	v_cmp_eq_u32_e32 vcc_lo, 4, v124
	s_delay_alu instid0(VALU_DEP_2) | instskip(SKIP_1) | instid1(VALU_DEP_2)
	v_cndmask_b32_e32 v65, v65, v38, vcc_lo
	v_cmp_eq_u32_e32 vcc_lo, 5, v124
	;; [unrolled: 5-line block ×13, first 2 shown]
	v_cndmask_b32_e32 v65, v65, v61, vcc_lo
	v_cmp_eq_u32_e32 vcc_lo, 28, v124
	v_add_nc_u64_e32 v[124:125], 1, v[124:125]
	s_delay_alu instid0(VALU_DEP_3) | instskip(SKIP_2) | instid1(VALU_DEP_2)
	v_cndmask_b32_e32 v65, v65, v62, vcc_lo
	v_cmp_eq_u32_e32 vcc_lo, 0, v63
	s_wait_dscnt 0x0
	v_fmac_f32_e32 v128, v65, v126
	s_or_b32 s2, vcc_lo, s2
	s_delay_alu instid0(SALU_CYCLE_1)
	s_and_not1_b32 exec_lo, exec_lo, s2
	s_cbranch_execnz .LBB28_221
; %bb.222:
	s_or_b32 exec_lo, exec_lo, s2
.LBB28_223:
	s_delay_alu instid0(SALU_CYCLE_1)
	s_or_b32 exec_lo, exec_lo, s0
.LBB28_224:
	s_delay_alu instid0(SALU_CYCLE_1)
	s_or_b32 exec_lo, exec_lo, s5
	v_mov_b32_e32 v47, 0
	ds_load_b32 v47, v47 offset:52
	s_wait_dscnt 0x0
	v_mul_f32_e32 v47, v128, v47
.LBB28_225:
	s_or_b32 exec_lo, exec_lo, s4
	v_cmp_lt_u32_e64 s0, 12, v0
	ds_store_b32 v127, v46
	s_wait_dscnt 0x0
	s_barrier_signal -1
	s_barrier_wait -1
	s_and_saveexec_b32 s4, s0
	s_cbranch_execz .LBB28_241
; %bb.226:
	s_and_not1_b32 vcc_lo, exec_lo, s29
	s_cbranch_vccnz .LBB28_228
; %bb.227:
	v_cmp_eq_u32_e32 vcc_lo, 1, v0
	ds_load_b32 v125, v127
	v_cndmask_b32_e32 v124, v34, v35, vcc_lo
	v_cmp_eq_u32_e32 vcc_lo, 2, v0
	s_delay_alu instid0(VALU_DEP_2) | instskip(SKIP_1) | instid1(VALU_DEP_2)
	v_cndmask_b32_e32 v124, v124, v36, vcc_lo
	v_cmp_eq_u32_e32 vcc_lo, 3, v0
	v_cndmask_b32_e32 v124, v124, v37, vcc_lo
	v_cmp_eq_u32_e32 vcc_lo, 4, v0
	s_delay_alu instid0(VALU_DEP_2) | instskip(SKIP_1) | instid1(VALU_DEP_2)
	v_cndmask_b32_e32 v124, v124, v38, vcc_lo
	v_cmp_eq_u32_e32 vcc_lo, 5, v0
	;; [unrolled: 5-line block ×13, first 2 shown]
	v_cndmask_b32_e32 v124, v124, v61, vcc_lo
	v_cmp_eq_u32_e32 vcc_lo, 28, v0
	s_delay_alu instid0(VALU_DEP_2) | instskip(SKIP_1) | instid1(VALU_DEP_1)
	v_cndmask_b32_e32 v124, v124, v62, vcc_lo
	s_wait_dscnt 0x0
	v_mul_f32_e32 v128, v124, v125
	s_cbranch_execz .LBB28_229
	s_branch .LBB28_230
.LBB28_228:
                                        ; implicit-def: $vgpr128
.LBB28_229:
	ds_load_b32 v128, v127
.LBB28_230:
	s_and_saveexec_b32 s5, s1
	s_cbranch_execz .LBB28_240
; %bb.231:
	v_dual_add_nc_u32 v124, -14, v0 :: v_dual_add_nc_u32 v125, -13, v0
	s_delay_alu instid0(VALU_DEP_1)
	v_cmp_lt_u32_e32 vcc_lo, 6, v124
	v_mov_b32_e32 v124, 13
	s_and_saveexec_b32 s1, vcc_lo
	s_cbranch_execz .LBB28_235
; %bb.232:
	v_and_b32_e32 v124, -8, v125
	s_mov_b32 s6, 0
	s_mov_b64 s[2:3], 20
	s_movk_i32 s7, 0xb4
	s_delay_alu instid0(VALU_DEP_1)
	v_sub_nc_u32_e32 v126, 0, v124
.LBB28_233:                             ; =>This Inner Loop Header: Depth=1
	s_add_co_i32 m0, s2, -7
	v_movrels_b32_e32 v129, v34
	v_mov_b32_e32 v124, s7
	s_add_co_i32 m0, s2, -6
	s_add_co_i32 s7, s7, 32
	v_movrels_b32_e32 v138, v34
	ds_load_2addr_b32 v[130:131], v124 offset1:1
	ds_load_2addr_b32 v[132:133], v124 offset0:2 offset1:3
	s_add_co_i32 m0, s2, -5
	s_wait_dscnt 0x1
	v_fmac_f32_e32 v128, v129, v130
	ds_load_2addr_b32 v[134:135], v124 offset0:4 offset1:5
	ds_load_2addr_b32 v[136:137], v124 offset0:6 offset1:7
	v_movrels_b32_e32 v124, v34
	s_add_co_i32 m0, s2, -4
	v_fmac_f32_e32 v128, v138, v131
	v_movrels_b32_e32 v129, v34
	s_add_co_i32 m0, s2, -3
	s_wait_dscnt 0x2
	s_delay_alu instid0(VALU_DEP_2) | instskip(SKIP_2) | instid1(VALU_DEP_2)
	v_fmac_f32_e32 v128, v124, v132
	v_movrels_b32_e32 v124, v34
	s_add_co_i32 m0, s2, -2
	v_fmac_f32_e32 v128, v129, v133
	v_movrels_b32_e32 v129, v34
	s_add_co_i32 m0, s2, -1
	s_wait_dscnt 0x1
	s_delay_alu instid0(VALU_DEP_2)
	v_fmac_f32_e32 v128, v124, v134
	v_movrels_b32_e32 v124, v34
	s_mov_b32 m0, s2
	s_add_nc_u64 s[2:3], s[2:3], 8
	v_movrels_b32_e32 v130, v34
	v_dual_fmac_f32 v128, v129, v135 :: v_dual_add_nc_u32 v129, s2, v126
	s_add_co_i32 s8, s2, -7
	s_wait_dscnt 0x0
	s_delay_alu instid0(VALU_DEP_1) | instskip(NEXT) | instid1(VALU_DEP_2)
	v_fmac_f32_e32 v128, v124, v136
	v_cmp_eq_u32_e32 vcc_lo, 20, v129
	s_delay_alu instid0(VALU_DEP_2) | instskip(SKIP_1) | instid1(SALU_CYCLE_1)
	v_dual_mov_b32 v124, s8 :: v_dual_fmac_f32 v128, v130, v137
	s_or_b32 s6, vcc_lo, s6
	s_and_not1_b32 exec_lo, exec_lo, s6
	s_cbranch_execnz .LBB28_233
; %bb.234:
	s_or_b32 exec_lo, exec_lo, s6
.LBB28_235:
	s_delay_alu instid0(SALU_CYCLE_1) | instskip(SKIP_3) | instid1(VALU_DEP_1)
	s_or_b32 exec_lo, exec_lo, s1
	v_and_b32_e32 v63, 7, v125
	s_mov_b32 s2, 0
	s_mov_b32 s1, exec_lo
	v_cmpx_ne_u32_e32 0, v63
	s_cbranch_execz .LBB28_239
; %bb.236:
	v_lshl_add_u32 v64, v124, 2, 0x80
	v_mov_b32_e32 v125, 0
.LBB28_237:                             ; =>This Inner Loop Header: Depth=1
	v_cmp_eq_u32_e32 vcc_lo, 1, v124
	ds_load_b32 v126, v64
	v_dual_add_nc_u32 v64, 4, v64 :: v_dual_add_nc_u32 v63, -1, v63
	v_cndmask_b32_e32 v65, v34, v35, vcc_lo
	v_cmp_eq_u32_e32 vcc_lo, 2, v124
	s_delay_alu instid0(VALU_DEP_2) | instskip(SKIP_1) | instid1(VALU_DEP_2)
	v_cndmask_b32_e32 v65, v65, v36, vcc_lo
	v_cmp_eq_u32_e32 vcc_lo, 3, v124
	v_cndmask_b32_e32 v65, v65, v37, vcc_lo
	v_cmp_eq_u32_e32 vcc_lo, 4, v124
	s_delay_alu instid0(VALU_DEP_2) | instskip(SKIP_1) | instid1(VALU_DEP_2)
	v_cndmask_b32_e32 v65, v65, v38, vcc_lo
	v_cmp_eq_u32_e32 vcc_lo, 5, v124
	v_cndmask_b32_e32 v65, v65, v39, vcc_lo
	v_cmp_eq_u32_e32 vcc_lo, 6, v124
	s_delay_alu instid0(VALU_DEP_2) | instskip(SKIP_1) | instid1(VALU_DEP_2)
	v_cndmask_b32_e32 v65, v65, v40, vcc_lo
	v_cmp_eq_u32_e32 vcc_lo, 7, v124
	v_cndmask_b32_e32 v65, v65, v41, vcc_lo
	v_cmp_eq_u32_e32 vcc_lo, 8, v124
	s_delay_alu instid0(VALU_DEP_2) | instskip(SKIP_1) | instid1(VALU_DEP_2)
	v_cndmask_b32_e32 v65, v65, v42, vcc_lo
	v_cmp_eq_u32_e32 vcc_lo, 9, v124
	v_cndmask_b32_e32 v65, v65, v43, vcc_lo
	v_cmp_eq_u32_e32 vcc_lo, 10, v124
	s_delay_alu instid0(VALU_DEP_2) | instskip(SKIP_1) | instid1(VALU_DEP_2)
	v_cndmask_b32_e32 v65, v65, v44, vcc_lo
	v_cmp_eq_u32_e32 vcc_lo, 11, v124
	v_cndmask_b32_e32 v65, v65, v45, vcc_lo
	v_cmp_eq_u32_e32 vcc_lo, 12, v124
	s_delay_alu instid0(VALU_DEP_2) | instskip(SKIP_1) | instid1(VALU_DEP_2)
	v_cndmask_b32_e32 v65, v65, v46, vcc_lo
	v_cmp_eq_u32_e32 vcc_lo, 13, v124
	v_cndmask_b32_e32 v65, v65, v47, vcc_lo
	v_cmp_eq_u32_e32 vcc_lo, 14, v124
	s_delay_alu instid0(VALU_DEP_2) | instskip(SKIP_1) | instid1(VALU_DEP_2)
	v_cndmask_b32_e32 v65, v65, v48, vcc_lo
	v_cmp_eq_u32_e32 vcc_lo, 15, v124
	v_cndmask_b32_e32 v65, v65, v49, vcc_lo
	v_cmp_eq_u32_e32 vcc_lo, 16, v124
	s_delay_alu instid0(VALU_DEP_2) | instskip(SKIP_1) | instid1(VALU_DEP_2)
	v_cndmask_b32_e32 v65, v65, v50, vcc_lo
	v_cmp_eq_u32_e32 vcc_lo, 17, v124
	v_cndmask_b32_e32 v65, v65, v51, vcc_lo
	v_cmp_eq_u32_e32 vcc_lo, 18, v124
	s_delay_alu instid0(VALU_DEP_2) | instskip(SKIP_1) | instid1(VALU_DEP_2)
	v_cndmask_b32_e32 v65, v65, v52, vcc_lo
	v_cmp_eq_u32_e32 vcc_lo, 19, v124
	v_cndmask_b32_e32 v65, v65, v53, vcc_lo
	v_cmp_eq_u32_e32 vcc_lo, 20, v124
	s_delay_alu instid0(VALU_DEP_2) | instskip(SKIP_1) | instid1(VALU_DEP_2)
	v_cndmask_b32_e32 v65, v65, v54, vcc_lo
	v_cmp_eq_u32_e32 vcc_lo, 21, v124
	v_cndmask_b32_e32 v65, v65, v55, vcc_lo
	v_cmp_eq_u32_e32 vcc_lo, 22, v124
	s_delay_alu instid0(VALU_DEP_2) | instskip(SKIP_1) | instid1(VALU_DEP_2)
	v_cndmask_b32_e32 v65, v65, v56, vcc_lo
	v_cmp_eq_u32_e32 vcc_lo, 23, v124
	v_cndmask_b32_e32 v65, v65, v57, vcc_lo
	v_cmp_eq_u32_e32 vcc_lo, 24, v124
	s_delay_alu instid0(VALU_DEP_2) | instskip(SKIP_1) | instid1(VALU_DEP_2)
	v_cndmask_b32_e32 v65, v65, v58, vcc_lo
	v_cmp_eq_u32_e32 vcc_lo, 25, v124
	v_cndmask_b32_e32 v65, v65, v59, vcc_lo
	v_cmp_eq_u32_e32 vcc_lo, 26, v124
	s_delay_alu instid0(VALU_DEP_2) | instskip(SKIP_1) | instid1(VALU_DEP_2)
	v_cndmask_b32_e32 v65, v65, v60, vcc_lo
	v_cmp_eq_u32_e32 vcc_lo, 27, v124
	v_cndmask_b32_e32 v65, v65, v61, vcc_lo
	v_cmp_eq_u32_e32 vcc_lo, 28, v124
	v_add_nc_u64_e32 v[124:125], 1, v[124:125]
	s_delay_alu instid0(VALU_DEP_3) | instskip(SKIP_2) | instid1(VALU_DEP_2)
	v_cndmask_b32_e32 v65, v65, v62, vcc_lo
	v_cmp_eq_u32_e32 vcc_lo, 0, v63
	s_wait_dscnt 0x0
	v_fmac_f32_e32 v128, v65, v126
	s_or_b32 s2, vcc_lo, s2
	s_delay_alu instid0(SALU_CYCLE_1)
	s_and_not1_b32 exec_lo, exec_lo, s2
	s_cbranch_execnz .LBB28_237
; %bb.238:
	s_or_b32 exec_lo, exec_lo, s2
.LBB28_239:
	s_delay_alu instid0(SALU_CYCLE_1)
	s_or_b32 exec_lo, exec_lo, s1
.LBB28_240:
	s_delay_alu instid0(SALU_CYCLE_1)
	s_or_b32 exec_lo, exec_lo, s5
	v_mov_b32_e32 v46, 0
	ds_load_b32 v46, v46 offset:48
	s_wait_dscnt 0x0
	v_mul_f32_e32 v46, v128, v46
.LBB28_241:
	s_or_b32 exec_lo, exec_lo, s4
	v_cmp_lt_u32_e64 s1, 11, v0
	ds_store_b32 v127, v45
	s_wait_dscnt 0x0
	s_barrier_signal -1
	s_barrier_wait -1
	s_and_saveexec_b32 s4, s1
	s_cbranch_execz .LBB28_257
; %bb.242:
	s_and_not1_b32 vcc_lo, exec_lo, s29
	s_cbranch_vccnz .LBB28_244
; %bb.243:
	v_cmp_eq_u32_e32 vcc_lo, 1, v0
	ds_load_b32 v125, v127
	v_cndmask_b32_e32 v124, v34, v35, vcc_lo
	v_cmp_eq_u32_e32 vcc_lo, 2, v0
	s_delay_alu instid0(VALU_DEP_2) | instskip(SKIP_1) | instid1(VALU_DEP_2)
	v_cndmask_b32_e32 v124, v124, v36, vcc_lo
	v_cmp_eq_u32_e32 vcc_lo, 3, v0
	v_cndmask_b32_e32 v124, v124, v37, vcc_lo
	v_cmp_eq_u32_e32 vcc_lo, 4, v0
	s_delay_alu instid0(VALU_DEP_2) | instskip(SKIP_1) | instid1(VALU_DEP_2)
	v_cndmask_b32_e32 v124, v124, v38, vcc_lo
	v_cmp_eq_u32_e32 vcc_lo, 5, v0
	;; [unrolled: 5-line block ×13, first 2 shown]
	v_cndmask_b32_e32 v124, v124, v61, vcc_lo
	v_cmp_eq_u32_e32 vcc_lo, 28, v0
	s_delay_alu instid0(VALU_DEP_2) | instskip(SKIP_1) | instid1(VALU_DEP_1)
	v_cndmask_b32_e32 v124, v124, v62, vcc_lo
	s_wait_dscnt 0x0
	v_mul_f32_e32 v128, v124, v125
	s_cbranch_execz .LBB28_245
	s_branch .LBB28_246
.LBB28_244:
                                        ; implicit-def: $vgpr128
.LBB28_245:
	ds_load_b32 v128, v127
.LBB28_246:
	s_and_saveexec_b32 s5, s0
	s_cbranch_execz .LBB28_256
; %bb.247:
	v_dual_add_nc_u32 v124, -13, v0 :: v_dual_add_nc_u32 v125, -12, v0
	s_delay_alu instid0(VALU_DEP_1)
	v_cmp_lt_u32_e32 vcc_lo, 6, v124
	v_mov_b32_e32 v124, 12
	s_and_saveexec_b32 s0, vcc_lo
	s_cbranch_execz .LBB28_251
; %bb.248:
	v_and_b32_e32 v124, -8, v125
	s_mov_b32 s6, 0
	s_mov_b64 s[2:3], 19
	s_movk_i32 s7, 0xb0
	s_delay_alu instid0(VALU_DEP_1)
	v_sub_nc_u32_e32 v126, 0, v124
.LBB28_249:                             ; =>This Inner Loop Header: Depth=1
	s_add_co_i32 m0, s2, -7
	v_movrels_b32_e32 v129, v34
	v_mov_b32_e32 v124, s7
	s_add_co_i32 m0, s2, -6
	s_add_co_i32 s7, s7, 32
	v_movrels_b32_e32 v138, v34
	s_add_co_i32 m0, s2, -5
	ds_load_b128 v[130:133], v124
	ds_load_b128 v[134:137], v124 offset:16
	v_movrels_b32_e32 v124, v34
	s_add_co_i32 m0, s2, -4
	s_wait_dscnt 0x1
	v_fmac_f32_e32 v128, v129, v130
	v_movrels_b32_e32 v129, v34
	s_add_co_i32 m0, s2, -3
	s_delay_alu instid0(VALU_DEP_2) | instskip(NEXT) | instid1(VALU_DEP_1)
	v_fmac_f32_e32 v128, v138, v131
	v_fmac_f32_e32 v128, v124, v132
	v_movrels_b32_e32 v124, v34
	s_add_co_i32 m0, s2, -2
	s_delay_alu instid0(VALU_DEP_2) | instskip(SKIP_3) | instid1(VALU_DEP_2)
	v_fmac_f32_e32 v128, v129, v133
	v_movrels_b32_e32 v129, v34
	s_add_co_i32 m0, s2, -1
	s_wait_dscnt 0x0
	v_fmac_f32_e32 v128, v124, v134
	v_movrels_b32_e32 v124, v34
	s_mov_b32 m0, s2
	s_add_nc_u64 s[2:3], s[2:3], 8
	v_movrels_b32_e32 v130, v34
	v_dual_fmac_f32 v128, v129, v135 :: v_dual_add_nc_u32 v129, s2, v126
	s_add_co_i32 s8, s2, -7
	s_delay_alu instid0(VALU_DEP_1) | instskip(NEXT) | instid1(VALU_DEP_2)
	v_fmac_f32_e32 v128, v124, v136
	v_cmp_eq_u32_e32 vcc_lo, 19, v129
	s_delay_alu instid0(VALU_DEP_2) | instskip(SKIP_1) | instid1(SALU_CYCLE_1)
	v_dual_mov_b32 v124, s8 :: v_dual_fmac_f32 v128, v130, v137
	s_or_b32 s6, vcc_lo, s6
	s_and_not1_b32 exec_lo, exec_lo, s6
	s_cbranch_execnz .LBB28_249
; %bb.250:
	s_or_b32 exec_lo, exec_lo, s6
.LBB28_251:
	s_delay_alu instid0(SALU_CYCLE_1) | instskip(SKIP_3) | instid1(VALU_DEP_1)
	s_or_b32 exec_lo, exec_lo, s0
	v_and_b32_e32 v63, 7, v125
	s_mov_b32 s2, 0
	s_mov_b32 s0, exec_lo
	v_cmpx_ne_u32_e32 0, v63
	s_cbranch_execz .LBB28_255
; %bb.252:
	v_lshl_add_u32 v64, v124, 2, 0x80
	v_mov_b32_e32 v125, 0
.LBB28_253:                             ; =>This Inner Loop Header: Depth=1
	v_cmp_eq_u32_e32 vcc_lo, 1, v124
	ds_load_b32 v126, v64
	v_dual_add_nc_u32 v64, 4, v64 :: v_dual_add_nc_u32 v63, -1, v63
	v_cndmask_b32_e32 v65, v34, v35, vcc_lo
	v_cmp_eq_u32_e32 vcc_lo, 2, v124
	s_delay_alu instid0(VALU_DEP_2) | instskip(SKIP_1) | instid1(VALU_DEP_2)
	v_cndmask_b32_e32 v65, v65, v36, vcc_lo
	v_cmp_eq_u32_e32 vcc_lo, 3, v124
	v_cndmask_b32_e32 v65, v65, v37, vcc_lo
	v_cmp_eq_u32_e32 vcc_lo, 4, v124
	s_delay_alu instid0(VALU_DEP_2) | instskip(SKIP_1) | instid1(VALU_DEP_2)
	v_cndmask_b32_e32 v65, v65, v38, vcc_lo
	v_cmp_eq_u32_e32 vcc_lo, 5, v124
	v_cndmask_b32_e32 v65, v65, v39, vcc_lo
	v_cmp_eq_u32_e32 vcc_lo, 6, v124
	s_delay_alu instid0(VALU_DEP_2) | instskip(SKIP_1) | instid1(VALU_DEP_2)
	v_cndmask_b32_e32 v65, v65, v40, vcc_lo
	v_cmp_eq_u32_e32 vcc_lo, 7, v124
	v_cndmask_b32_e32 v65, v65, v41, vcc_lo
	v_cmp_eq_u32_e32 vcc_lo, 8, v124
	s_delay_alu instid0(VALU_DEP_2) | instskip(SKIP_1) | instid1(VALU_DEP_2)
	v_cndmask_b32_e32 v65, v65, v42, vcc_lo
	v_cmp_eq_u32_e32 vcc_lo, 9, v124
	v_cndmask_b32_e32 v65, v65, v43, vcc_lo
	v_cmp_eq_u32_e32 vcc_lo, 10, v124
	s_delay_alu instid0(VALU_DEP_2) | instskip(SKIP_1) | instid1(VALU_DEP_2)
	v_cndmask_b32_e32 v65, v65, v44, vcc_lo
	v_cmp_eq_u32_e32 vcc_lo, 11, v124
	v_cndmask_b32_e32 v65, v65, v45, vcc_lo
	v_cmp_eq_u32_e32 vcc_lo, 12, v124
	s_delay_alu instid0(VALU_DEP_2) | instskip(SKIP_1) | instid1(VALU_DEP_2)
	v_cndmask_b32_e32 v65, v65, v46, vcc_lo
	v_cmp_eq_u32_e32 vcc_lo, 13, v124
	v_cndmask_b32_e32 v65, v65, v47, vcc_lo
	v_cmp_eq_u32_e32 vcc_lo, 14, v124
	s_delay_alu instid0(VALU_DEP_2) | instskip(SKIP_1) | instid1(VALU_DEP_2)
	v_cndmask_b32_e32 v65, v65, v48, vcc_lo
	v_cmp_eq_u32_e32 vcc_lo, 15, v124
	v_cndmask_b32_e32 v65, v65, v49, vcc_lo
	v_cmp_eq_u32_e32 vcc_lo, 16, v124
	s_delay_alu instid0(VALU_DEP_2) | instskip(SKIP_1) | instid1(VALU_DEP_2)
	v_cndmask_b32_e32 v65, v65, v50, vcc_lo
	v_cmp_eq_u32_e32 vcc_lo, 17, v124
	v_cndmask_b32_e32 v65, v65, v51, vcc_lo
	v_cmp_eq_u32_e32 vcc_lo, 18, v124
	s_delay_alu instid0(VALU_DEP_2) | instskip(SKIP_1) | instid1(VALU_DEP_2)
	v_cndmask_b32_e32 v65, v65, v52, vcc_lo
	v_cmp_eq_u32_e32 vcc_lo, 19, v124
	v_cndmask_b32_e32 v65, v65, v53, vcc_lo
	v_cmp_eq_u32_e32 vcc_lo, 20, v124
	s_delay_alu instid0(VALU_DEP_2) | instskip(SKIP_1) | instid1(VALU_DEP_2)
	v_cndmask_b32_e32 v65, v65, v54, vcc_lo
	v_cmp_eq_u32_e32 vcc_lo, 21, v124
	v_cndmask_b32_e32 v65, v65, v55, vcc_lo
	v_cmp_eq_u32_e32 vcc_lo, 22, v124
	s_delay_alu instid0(VALU_DEP_2) | instskip(SKIP_1) | instid1(VALU_DEP_2)
	v_cndmask_b32_e32 v65, v65, v56, vcc_lo
	v_cmp_eq_u32_e32 vcc_lo, 23, v124
	v_cndmask_b32_e32 v65, v65, v57, vcc_lo
	v_cmp_eq_u32_e32 vcc_lo, 24, v124
	s_delay_alu instid0(VALU_DEP_2) | instskip(SKIP_1) | instid1(VALU_DEP_2)
	v_cndmask_b32_e32 v65, v65, v58, vcc_lo
	v_cmp_eq_u32_e32 vcc_lo, 25, v124
	v_cndmask_b32_e32 v65, v65, v59, vcc_lo
	v_cmp_eq_u32_e32 vcc_lo, 26, v124
	s_delay_alu instid0(VALU_DEP_2) | instskip(SKIP_1) | instid1(VALU_DEP_2)
	v_cndmask_b32_e32 v65, v65, v60, vcc_lo
	v_cmp_eq_u32_e32 vcc_lo, 27, v124
	v_cndmask_b32_e32 v65, v65, v61, vcc_lo
	v_cmp_eq_u32_e32 vcc_lo, 28, v124
	v_add_nc_u64_e32 v[124:125], 1, v[124:125]
	s_delay_alu instid0(VALU_DEP_3) | instskip(SKIP_2) | instid1(VALU_DEP_2)
	v_cndmask_b32_e32 v65, v65, v62, vcc_lo
	v_cmp_eq_u32_e32 vcc_lo, 0, v63
	s_wait_dscnt 0x0
	v_fmac_f32_e32 v128, v65, v126
	s_or_b32 s2, vcc_lo, s2
	s_delay_alu instid0(SALU_CYCLE_1)
	s_and_not1_b32 exec_lo, exec_lo, s2
	s_cbranch_execnz .LBB28_253
; %bb.254:
	s_or_b32 exec_lo, exec_lo, s2
.LBB28_255:
	s_delay_alu instid0(SALU_CYCLE_1)
	s_or_b32 exec_lo, exec_lo, s0
.LBB28_256:
	s_delay_alu instid0(SALU_CYCLE_1)
	s_or_b32 exec_lo, exec_lo, s5
	v_mov_b32_e32 v45, 0
	ds_load_b32 v45, v45 offset:44
	s_wait_dscnt 0x0
	v_mul_f32_e32 v45, v128, v45
.LBB28_257:
	s_or_b32 exec_lo, exec_lo, s4
	v_cmp_lt_u32_e64 s0, 10, v0
	ds_store_b32 v127, v44
	s_wait_dscnt 0x0
	s_barrier_signal -1
	s_barrier_wait -1
	s_and_saveexec_b32 s4, s0
	s_cbranch_execz .LBB28_273
; %bb.258:
	s_and_not1_b32 vcc_lo, exec_lo, s29
	s_cbranch_vccnz .LBB28_260
; %bb.259:
	v_cmp_eq_u32_e32 vcc_lo, 1, v0
	ds_load_b32 v125, v127
	v_cndmask_b32_e32 v124, v34, v35, vcc_lo
	v_cmp_eq_u32_e32 vcc_lo, 2, v0
	s_delay_alu instid0(VALU_DEP_2) | instskip(SKIP_1) | instid1(VALU_DEP_2)
	v_cndmask_b32_e32 v124, v124, v36, vcc_lo
	v_cmp_eq_u32_e32 vcc_lo, 3, v0
	v_cndmask_b32_e32 v124, v124, v37, vcc_lo
	v_cmp_eq_u32_e32 vcc_lo, 4, v0
	s_delay_alu instid0(VALU_DEP_2) | instskip(SKIP_1) | instid1(VALU_DEP_2)
	v_cndmask_b32_e32 v124, v124, v38, vcc_lo
	v_cmp_eq_u32_e32 vcc_lo, 5, v0
	;; [unrolled: 5-line block ×13, first 2 shown]
	v_cndmask_b32_e32 v124, v124, v61, vcc_lo
	v_cmp_eq_u32_e32 vcc_lo, 28, v0
	s_delay_alu instid0(VALU_DEP_2) | instskip(SKIP_1) | instid1(VALU_DEP_1)
	v_cndmask_b32_e32 v124, v124, v62, vcc_lo
	s_wait_dscnt 0x0
	v_mul_f32_e32 v128, v124, v125
	s_cbranch_execz .LBB28_261
	s_branch .LBB28_262
.LBB28_260:
                                        ; implicit-def: $vgpr128
.LBB28_261:
	ds_load_b32 v128, v127
.LBB28_262:
	s_and_saveexec_b32 s5, s1
	s_cbranch_execz .LBB28_272
; %bb.263:
	v_dual_add_nc_u32 v124, -12, v0 :: v_dual_add_nc_u32 v125, -11, v0
	s_delay_alu instid0(VALU_DEP_1)
	v_cmp_lt_u32_e32 vcc_lo, 6, v124
	v_mov_b32_e32 v124, 11
	s_and_saveexec_b32 s1, vcc_lo
	s_cbranch_execz .LBB28_267
; %bb.264:
	v_and_b32_e32 v124, -8, v125
	s_mov_b32 s6, 0
	s_mov_b64 s[2:3], 18
	s_movk_i32 s7, 0xac
	s_delay_alu instid0(VALU_DEP_1)
	v_sub_nc_u32_e32 v126, 0, v124
.LBB28_265:                             ; =>This Inner Loop Header: Depth=1
	s_add_co_i32 m0, s2, -7
	v_movrels_b32_e32 v129, v34
	v_mov_b32_e32 v124, s7
	s_add_co_i32 m0, s2, -6
	s_add_co_i32 s7, s7, 32
	v_movrels_b32_e32 v138, v34
	ds_load_2addr_b32 v[130:131], v124 offset1:1
	ds_load_2addr_b32 v[132:133], v124 offset0:2 offset1:3
	s_add_co_i32 m0, s2, -5
	s_wait_dscnt 0x1
	v_fmac_f32_e32 v128, v129, v130
	ds_load_2addr_b32 v[134:135], v124 offset0:4 offset1:5
	ds_load_2addr_b32 v[136:137], v124 offset0:6 offset1:7
	v_movrels_b32_e32 v124, v34
	s_add_co_i32 m0, s2, -4
	v_fmac_f32_e32 v128, v138, v131
	v_movrels_b32_e32 v129, v34
	s_add_co_i32 m0, s2, -3
	s_wait_dscnt 0x2
	s_delay_alu instid0(VALU_DEP_2) | instskip(SKIP_2) | instid1(VALU_DEP_2)
	v_fmac_f32_e32 v128, v124, v132
	v_movrels_b32_e32 v124, v34
	s_add_co_i32 m0, s2, -2
	v_fmac_f32_e32 v128, v129, v133
	v_movrels_b32_e32 v129, v34
	s_add_co_i32 m0, s2, -1
	s_wait_dscnt 0x1
	s_delay_alu instid0(VALU_DEP_2)
	v_fmac_f32_e32 v128, v124, v134
	v_movrels_b32_e32 v124, v34
	s_mov_b32 m0, s2
	s_add_nc_u64 s[2:3], s[2:3], 8
	v_movrels_b32_e32 v130, v34
	v_dual_fmac_f32 v128, v129, v135 :: v_dual_add_nc_u32 v129, s2, v126
	s_add_co_i32 s8, s2, -7
	s_wait_dscnt 0x0
	s_delay_alu instid0(VALU_DEP_1) | instskip(NEXT) | instid1(VALU_DEP_2)
	v_fmac_f32_e32 v128, v124, v136
	v_cmp_eq_u32_e32 vcc_lo, 18, v129
	s_delay_alu instid0(VALU_DEP_2) | instskip(SKIP_1) | instid1(SALU_CYCLE_1)
	v_dual_mov_b32 v124, s8 :: v_dual_fmac_f32 v128, v130, v137
	s_or_b32 s6, vcc_lo, s6
	s_and_not1_b32 exec_lo, exec_lo, s6
	s_cbranch_execnz .LBB28_265
; %bb.266:
	s_or_b32 exec_lo, exec_lo, s6
.LBB28_267:
	s_delay_alu instid0(SALU_CYCLE_1) | instskip(SKIP_3) | instid1(VALU_DEP_1)
	s_or_b32 exec_lo, exec_lo, s1
	v_and_b32_e32 v63, 7, v125
	s_mov_b32 s2, 0
	s_mov_b32 s1, exec_lo
	v_cmpx_ne_u32_e32 0, v63
	s_cbranch_execz .LBB28_271
; %bb.268:
	v_lshl_add_u32 v64, v124, 2, 0x80
	v_mov_b32_e32 v125, 0
.LBB28_269:                             ; =>This Inner Loop Header: Depth=1
	v_cmp_eq_u32_e32 vcc_lo, 1, v124
	ds_load_b32 v126, v64
	v_dual_add_nc_u32 v64, 4, v64 :: v_dual_add_nc_u32 v63, -1, v63
	v_cndmask_b32_e32 v65, v34, v35, vcc_lo
	v_cmp_eq_u32_e32 vcc_lo, 2, v124
	s_delay_alu instid0(VALU_DEP_2) | instskip(SKIP_1) | instid1(VALU_DEP_2)
	v_cndmask_b32_e32 v65, v65, v36, vcc_lo
	v_cmp_eq_u32_e32 vcc_lo, 3, v124
	v_cndmask_b32_e32 v65, v65, v37, vcc_lo
	v_cmp_eq_u32_e32 vcc_lo, 4, v124
	s_delay_alu instid0(VALU_DEP_2) | instskip(SKIP_1) | instid1(VALU_DEP_2)
	v_cndmask_b32_e32 v65, v65, v38, vcc_lo
	v_cmp_eq_u32_e32 vcc_lo, 5, v124
	v_cndmask_b32_e32 v65, v65, v39, vcc_lo
	v_cmp_eq_u32_e32 vcc_lo, 6, v124
	s_delay_alu instid0(VALU_DEP_2) | instskip(SKIP_1) | instid1(VALU_DEP_2)
	v_cndmask_b32_e32 v65, v65, v40, vcc_lo
	v_cmp_eq_u32_e32 vcc_lo, 7, v124
	v_cndmask_b32_e32 v65, v65, v41, vcc_lo
	v_cmp_eq_u32_e32 vcc_lo, 8, v124
	s_delay_alu instid0(VALU_DEP_2) | instskip(SKIP_1) | instid1(VALU_DEP_2)
	v_cndmask_b32_e32 v65, v65, v42, vcc_lo
	v_cmp_eq_u32_e32 vcc_lo, 9, v124
	v_cndmask_b32_e32 v65, v65, v43, vcc_lo
	v_cmp_eq_u32_e32 vcc_lo, 10, v124
	s_delay_alu instid0(VALU_DEP_2) | instskip(SKIP_1) | instid1(VALU_DEP_2)
	v_cndmask_b32_e32 v65, v65, v44, vcc_lo
	v_cmp_eq_u32_e32 vcc_lo, 11, v124
	v_cndmask_b32_e32 v65, v65, v45, vcc_lo
	v_cmp_eq_u32_e32 vcc_lo, 12, v124
	s_delay_alu instid0(VALU_DEP_2) | instskip(SKIP_1) | instid1(VALU_DEP_2)
	v_cndmask_b32_e32 v65, v65, v46, vcc_lo
	v_cmp_eq_u32_e32 vcc_lo, 13, v124
	v_cndmask_b32_e32 v65, v65, v47, vcc_lo
	v_cmp_eq_u32_e32 vcc_lo, 14, v124
	s_delay_alu instid0(VALU_DEP_2) | instskip(SKIP_1) | instid1(VALU_DEP_2)
	v_cndmask_b32_e32 v65, v65, v48, vcc_lo
	v_cmp_eq_u32_e32 vcc_lo, 15, v124
	v_cndmask_b32_e32 v65, v65, v49, vcc_lo
	v_cmp_eq_u32_e32 vcc_lo, 16, v124
	s_delay_alu instid0(VALU_DEP_2) | instskip(SKIP_1) | instid1(VALU_DEP_2)
	v_cndmask_b32_e32 v65, v65, v50, vcc_lo
	v_cmp_eq_u32_e32 vcc_lo, 17, v124
	v_cndmask_b32_e32 v65, v65, v51, vcc_lo
	v_cmp_eq_u32_e32 vcc_lo, 18, v124
	s_delay_alu instid0(VALU_DEP_2) | instskip(SKIP_1) | instid1(VALU_DEP_2)
	v_cndmask_b32_e32 v65, v65, v52, vcc_lo
	v_cmp_eq_u32_e32 vcc_lo, 19, v124
	v_cndmask_b32_e32 v65, v65, v53, vcc_lo
	v_cmp_eq_u32_e32 vcc_lo, 20, v124
	s_delay_alu instid0(VALU_DEP_2) | instskip(SKIP_1) | instid1(VALU_DEP_2)
	v_cndmask_b32_e32 v65, v65, v54, vcc_lo
	v_cmp_eq_u32_e32 vcc_lo, 21, v124
	v_cndmask_b32_e32 v65, v65, v55, vcc_lo
	v_cmp_eq_u32_e32 vcc_lo, 22, v124
	s_delay_alu instid0(VALU_DEP_2) | instskip(SKIP_1) | instid1(VALU_DEP_2)
	v_cndmask_b32_e32 v65, v65, v56, vcc_lo
	v_cmp_eq_u32_e32 vcc_lo, 23, v124
	v_cndmask_b32_e32 v65, v65, v57, vcc_lo
	v_cmp_eq_u32_e32 vcc_lo, 24, v124
	s_delay_alu instid0(VALU_DEP_2) | instskip(SKIP_1) | instid1(VALU_DEP_2)
	v_cndmask_b32_e32 v65, v65, v58, vcc_lo
	v_cmp_eq_u32_e32 vcc_lo, 25, v124
	v_cndmask_b32_e32 v65, v65, v59, vcc_lo
	v_cmp_eq_u32_e32 vcc_lo, 26, v124
	s_delay_alu instid0(VALU_DEP_2) | instskip(SKIP_1) | instid1(VALU_DEP_2)
	v_cndmask_b32_e32 v65, v65, v60, vcc_lo
	v_cmp_eq_u32_e32 vcc_lo, 27, v124
	v_cndmask_b32_e32 v65, v65, v61, vcc_lo
	v_cmp_eq_u32_e32 vcc_lo, 28, v124
	v_add_nc_u64_e32 v[124:125], 1, v[124:125]
	s_delay_alu instid0(VALU_DEP_3) | instskip(SKIP_2) | instid1(VALU_DEP_2)
	v_cndmask_b32_e32 v65, v65, v62, vcc_lo
	v_cmp_eq_u32_e32 vcc_lo, 0, v63
	s_wait_dscnt 0x0
	v_fmac_f32_e32 v128, v65, v126
	s_or_b32 s2, vcc_lo, s2
	s_delay_alu instid0(SALU_CYCLE_1)
	s_and_not1_b32 exec_lo, exec_lo, s2
	s_cbranch_execnz .LBB28_269
; %bb.270:
	s_or_b32 exec_lo, exec_lo, s2
.LBB28_271:
	s_delay_alu instid0(SALU_CYCLE_1)
	s_or_b32 exec_lo, exec_lo, s1
.LBB28_272:
	s_delay_alu instid0(SALU_CYCLE_1)
	s_or_b32 exec_lo, exec_lo, s5
	v_mov_b32_e32 v44, 0
	ds_load_b32 v44, v44 offset:40
	s_wait_dscnt 0x0
	v_mul_f32_e32 v44, v128, v44
.LBB28_273:
	s_or_b32 exec_lo, exec_lo, s4
	v_cmp_lt_u32_e64 s1, 9, v0
	ds_store_b32 v127, v43
	s_wait_dscnt 0x0
	s_barrier_signal -1
	s_barrier_wait -1
	s_and_saveexec_b32 s4, s1
	s_cbranch_execz .LBB28_289
; %bb.274:
	s_and_not1_b32 vcc_lo, exec_lo, s29
	s_cbranch_vccnz .LBB28_276
; %bb.275:
	v_cmp_eq_u32_e32 vcc_lo, 1, v0
	ds_load_b32 v125, v127
	v_cndmask_b32_e32 v124, v34, v35, vcc_lo
	v_cmp_eq_u32_e32 vcc_lo, 2, v0
	s_delay_alu instid0(VALU_DEP_2) | instskip(SKIP_1) | instid1(VALU_DEP_2)
	v_cndmask_b32_e32 v124, v124, v36, vcc_lo
	v_cmp_eq_u32_e32 vcc_lo, 3, v0
	v_cndmask_b32_e32 v124, v124, v37, vcc_lo
	v_cmp_eq_u32_e32 vcc_lo, 4, v0
	s_delay_alu instid0(VALU_DEP_2) | instskip(SKIP_1) | instid1(VALU_DEP_2)
	v_cndmask_b32_e32 v124, v124, v38, vcc_lo
	v_cmp_eq_u32_e32 vcc_lo, 5, v0
	;; [unrolled: 5-line block ×13, first 2 shown]
	v_cndmask_b32_e32 v124, v124, v61, vcc_lo
	v_cmp_eq_u32_e32 vcc_lo, 28, v0
	s_delay_alu instid0(VALU_DEP_2) | instskip(SKIP_1) | instid1(VALU_DEP_1)
	v_cndmask_b32_e32 v124, v124, v62, vcc_lo
	s_wait_dscnt 0x0
	v_mul_f32_e32 v128, v124, v125
	s_cbranch_execz .LBB28_277
	s_branch .LBB28_278
.LBB28_276:
                                        ; implicit-def: $vgpr128
.LBB28_277:
	ds_load_b32 v128, v127
.LBB28_278:
	s_and_saveexec_b32 s5, s0
	s_cbranch_execz .LBB28_288
; %bb.279:
	v_dual_add_nc_u32 v124, -11, v0 :: v_dual_add_nc_u32 v125, -10, v0
	s_delay_alu instid0(VALU_DEP_1)
	v_cmp_lt_u32_e32 vcc_lo, 6, v124
	v_mov_b32_e32 v124, 10
	s_and_saveexec_b32 s0, vcc_lo
	s_cbranch_execz .LBB28_283
; %bb.280:
	v_and_b32_e32 v124, -8, v125
	s_mov_b32 s6, 0
	s_mov_b64 s[2:3], 17
	s_movk_i32 s7, 0xa8
	s_delay_alu instid0(VALU_DEP_1)
	v_sub_nc_u32_e32 v126, 0, v124
.LBB28_281:                             ; =>This Inner Loop Header: Depth=1
	s_add_co_i32 m0, s2, -7
	v_movrels_b32_e32 v129, v34
	v_mov_b32_e32 v124, s7
	s_add_co_i32 m0, s2, -6
	s_add_co_i32 s7, s7, 32
	v_movrels_b32_e32 v138, v34
	s_add_co_i32 m0, s2, -5
	ds_load_2addr_b64 v[130:133], v124 offset1:1
	ds_load_2addr_b64 v[134:137], v124 offset0:2 offset1:3
	v_movrels_b32_e32 v124, v34
	s_add_co_i32 m0, s2, -4
	s_wait_dscnt 0x1
	v_fmac_f32_e32 v128, v129, v130
	v_movrels_b32_e32 v129, v34
	s_add_co_i32 m0, s2, -3
	s_delay_alu instid0(VALU_DEP_2) | instskip(NEXT) | instid1(VALU_DEP_1)
	v_fmac_f32_e32 v128, v138, v131
	v_fmac_f32_e32 v128, v124, v132
	v_movrels_b32_e32 v124, v34
	s_add_co_i32 m0, s2, -2
	s_delay_alu instid0(VALU_DEP_2) | instskip(SKIP_3) | instid1(VALU_DEP_2)
	v_fmac_f32_e32 v128, v129, v133
	v_movrels_b32_e32 v129, v34
	s_add_co_i32 m0, s2, -1
	s_wait_dscnt 0x0
	v_fmac_f32_e32 v128, v124, v134
	v_movrels_b32_e32 v124, v34
	s_mov_b32 m0, s2
	s_add_nc_u64 s[2:3], s[2:3], 8
	v_movrels_b32_e32 v130, v34
	v_dual_fmac_f32 v128, v129, v135 :: v_dual_add_nc_u32 v129, s2, v126
	s_add_co_i32 s8, s2, -7
	s_delay_alu instid0(VALU_DEP_1) | instskip(NEXT) | instid1(VALU_DEP_2)
	v_fmac_f32_e32 v128, v124, v136
	v_cmp_eq_u32_e32 vcc_lo, 17, v129
	s_delay_alu instid0(VALU_DEP_2) | instskip(SKIP_1) | instid1(SALU_CYCLE_1)
	v_dual_mov_b32 v124, s8 :: v_dual_fmac_f32 v128, v130, v137
	s_or_b32 s6, vcc_lo, s6
	s_and_not1_b32 exec_lo, exec_lo, s6
	s_cbranch_execnz .LBB28_281
; %bb.282:
	s_or_b32 exec_lo, exec_lo, s6
.LBB28_283:
	s_delay_alu instid0(SALU_CYCLE_1) | instskip(SKIP_3) | instid1(VALU_DEP_1)
	s_or_b32 exec_lo, exec_lo, s0
	v_and_b32_e32 v63, 7, v125
	s_mov_b32 s2, 0
	s_mov_b32 s0, exec_lo
	v_cmpx_ne_u32_e32 0, v63
	s_cbranch_execz .LBB28_287
; %bb.284:
	v_lshl_add_u32 v64, v124, 2, 0x80
	v_mov_b32_e32 v125, 0
.LBB28_285:                             ; =>This Inner Loop Header: Depth=1
	v_cmp_eq_u32_e32 vcc_lo, 1, v124
	ds_load_b32 v126, v64
	v_dual_add_nc_u32 v64, 4, v64 :: v_dual_add_nc_u32 v63, -1, v63
	v_cndmask_b32_e32 v65, v34, v35, vcc_lo
	v_cmp_eq_u32_e32 vcc_lo, 2, v124
	s_delay_alu instid0(VALU_DEP_2) | instskip(SKIP_1) | instid1(VALU_DEP_2)
	v_cndmask_b32_e32 v65, v65, v36, vcc_lo
	v_cmp_eq_u32_e32 vcc_lo, 3, v124
	v_cndmask_b32_e32 v65, v65, v37, vcc_lo
	v_cmp_eq_u32_e32 vcc_lo, 4, v124
	s_delay_alu instid0(VALU_DEP_2) | instskip(SKIP_1) | instid1(VALU_DEP_2)
	v_cndmask_b32_e32 v65, v65, v38, vcc_lo
	v_cmp_eq_u32_e32 vcc_lo, 5, v124
	;; [unrolled: 5-line block ×13, first 2 shown]
	v_cndmask_b32_e32 v65, v65, v61, vcc_lo
	v_cmp_eq_u32_e32 vcc_lo, 28, v124
	v_add_nc_u64_e32 v[124:125], 1, v[124:125]
	s_delay_alu instid0(VALU_DEP_3) | instskip(SKIP_2) | instid1(VALU_DEP_2)
	v_cndmask_b32_e32 v65, v65, v62, vcc_lo
	v_cmp_eq_u32_e32 vcc_lo, 0, v63
	s_wait_dscnt 0x0
	v_fmac_f32_e32 v128, v65, v126
	s_or_b32 s2, vcc_lo, s2
	s_delay_alu instid0(SALU_CYCLE_1)
	s_and_not1_b32 exec_lo, exec_lo, s2
	s_cbranch_execnz .LBB28_285
; %bb.286:
	s_or_b32 exec_lo, exec_lo, s2
.LBB28_287:
	s_delay_alu instid0(SALU_CYCLE_1)
	s_or_b32 exec_lo, exec_lo, s0
.LBB28_288:
	s_delay_alu instid0(SALU_CYCLE_1)
	s_or_b32 exec_lo, exec_lo, s5
	v_mov_b32_e32 v43, 0
	ds_load_b32 v43, v43 offset:36
	s_wait_dscnt 0x0
	v_mul_f32_e32 v43, v128, v43
.LBB28_289:
	s_or_b32 exec_lo, exec_lo, s4
	v_cmp_lt_u32_e64 s0, 8, v0
	ds_store_b32 v127, v42
	s_wait_dscnt 0x0
	s_barrier_signal -1
	s_barrier_wait -1
	s_and_saveexec_b32 s4, s0
	s_cbranch_execz .LBB28_305
; %bb.290:
	s_and_not1_b32 vcc_lo, exec_lo, s29
	s_cbranch_vccnz .LBB28_292
; %bb.291:
	v_cmp_eq_u32_e32 vcc_lo, 1, v0
	ds_load_b32 v125, v127
	v_cndmask_b32_e32 v124, v34, v35, vcc_lo
	v_cmp_eq_u32_e32 vcc_lo, 2, v0
	s_delay_alu instid0(VALU_DEP_2) | instskip(SKIP_1) | instid1(VALU_DEP_2)
	v_cndmask_b32_e32 v124, v124, v36, vcc_lo
	v_cmp_eq_u32_e32 vcc_lo, 3, v0
	v_cndmask_b32_e32 v124, v124, v37, vcc_lo
	v_cmp_eq_u32_e32 vcc_lo, 4, v0
	s_delay_alu instid0(VALU_DEP_2) | instskip(SKIP_1) | instid1(VALU_DEP_2)
	v_cndmask_b32_e32 v124, v124, v38, vcc_lo
	v_cmp_eq_u32_e32 vcc_lo, 5, v0
	;; [unrolled: 5-line block ×13, first 2 shown]
	v_cndmask_b32_e32 v124, v124, v61, vcc_lo
	v_cmp_eq_u32_e32 vcc_lo, 28, v0
	s_delay_alu instid0(VALU_DEP_2) | instskip(SKIP_1) | instid1(VALU_DEP_1)
	v_cndmask_b32_e32 v124, v124, v62, vcc_lo
	s_wait_dscnt 0x0
	v_mul_f32_e32 v128, v124, v125
	s_cbranch_execz .LBB28_293
	s_branch .LBB28_294
.LBB28_292:
                                        ; implicit-def: $vgpr128
.LBB28_293:
	ds_load_b32 v128, v127
.LBB28_294:
	s_and_saveexec_b32 s5, s1
	s_cbranch_execz .LBB28_304
; %bb.295:
	v_dual_add_nc_u32 v124, -10, v0 :: v_dual_add_nc_u32 v125, -9, v0
	s_delay_alu instid0(VALU_DEP_1)
	v_cmp_lt_u32_e32 vcc_lo, 6, v124
	v_mov_b32_e32 v124, 9
	s_and_saveexec_b32 s1, vcc_lo
	s_cbranch_execz .LBB28_299
; %bb.296:
	v_and_b32_e32 v124, -8, v125
	s_mov_b32 s6, 0
	s_mov_b64 s[2:3], 16
	s_movk_i32 s7, 0xa4
	s_delay_alu instid0(VALU_DEP_1)
	v_sub_nc_u32_e32 v126, 0, v124
.LBB28_297:                             ; =>This Inner Loop Header: Depth=1
	s_add_co_i32 m0, s2, -7
	v_movrels_b32_e32 v129, v34
	v_mov_b32_e32 v124, s7
	s_add_co_i32 m0, s2, -6
	s_add_co_i32 s7, s7, 32
	v_movrels_b32_e32 v138, v34
	ds_load_2addr_b32 v[130:131], v124 offset1:1
	ds_load_2addr_b32 v[132:133], v124 offset0:2 offset1:3
	s_add_co_i32 m0, s2, -5
	s_wait_dscnt 0x1
	v_fmac_f32_e32 v128, v129, v130
	ds_load_2addr_b32 v[134:135], v124 offset0:4 offset1:5
	ds_load_2addr_b32 v[136:137], v124 offset0:6 offset1:7
	v_movrels_b32_e32 v124, v34
	s_add_co_i32 m0, s2, -4
	v_fmac_f32_e32 v128, v138, v131
	v_movrels_b32_e32 v129, v34
	s_add_co_i32 m0, s2, -3
	s_wait_dscnt 0x2
	s_delay_alu instid0(VALU_DEP_2) | instskip(SKIP_2) | instid1(VALU_DEP_2)
	v_fmac_f32_e32 v128, v124, v132
	v_movrels_b32_e32 v124, v34
	s_add_co_i32 m0, s2, -2
	v_fmac_f32_e32 v128, v129, v133
	v_movrels_b32_e32 v129, v34
	s_add_co_i32 m0, s2, -1
	s_wait_dscnt 0x1
	s_delay_alu instid0(VALU_DEP_2)
	v_fmac_f32_e32 v128, v124, v134
	v_movrels_b32_e32 v124, v34
	s_mov_b32 m0, s2
	s_add_nc_u64 s[2:3], s[2:3], 8
	v_movrels_b32_e32 v130, v34
	v_dual_fmac_f32 v128, v129, v135 :: v_dual_add_nc_u32 v129, s2, v126
	s_add_co_i32 s8, s2, -7
	s_wait_dscnt 0x0
	s_delay_alu instid0(VALU_DEP_1) | instskip(NEXT) | instid1(VALU_DEP_2)
	v_fmac_f32_e32 v128, v124, v136
	v_cmp_eq_u32_e32 vcc_lo, 16, v129
	s_delay_alu instid0(VALU_DEP_2) | instskip(SKIP_1) | instid1(SALU_CYCLE_1)
	v_dual_mov_b32 v124, s8 :: v_dual_fmac_f32 v128, v130, v137
	s_or_b32 s6, vcc_lo, s6
	s_and_not1_b32 exec_lo, exec_lo, s6
	s_cbranch_execnz .LBB28_297
; %bb.298:
	s_or_b32 exec_lo, exec_lo, s6
.LBB28_299:
	s_delay_alu instid0(SALU_CYCLE_1) | instskip(SKIP_3) | instid1(VALU_DEP_1)
	s_or_b32 exec_lo, exec_lo, s1
	v_and_b32_e32 v63, 7, v125
	s_mov_b32 s2, 0
	s_mov_b32 s1, exec_lo
	v_cmpx_ne_u32_e32 0, v63
	s_cbranch_execz .LBB28_303
; %bb.300:
	v_lshl_add_u32 v64, v124, 2, 0x80
	v_mov_b32_e32 v125, 0
.LBB28_301:                             ; =>This Inner Loop Header: Depth=1
	v_cmp_eq_u32_e32 vcc_lo, 1, v124
	ds_load_b32 v126, v64
	v_dual_add_nc_u32 v64, 4, v64 :: v_dual_add_nc_u32 v63, -1, v63
	v_cndmask_b32_e32 v65, v34, v35, vcc_lo
	v_cmp_eq_u32_e32 vcc_lo, 2, v124
	s_delay_alu instid0(VALU_DEP_2) | instskip(SKIP_1) | instid1(VALU_DEP_2)
	v_cndmask_b32_e32 v65, v65, v36, vcc_lo
	v_cmp_eq_u32_e32 vcc_lo, 3, v124
	v_cndmask_b32_e32 v65, v65, v37, vcc_lo
	v_cmp_eq_u32_e32 vcc_lo, 4, v124
	s_delay_alu instid0(VALU_DEP_2) | instskip(SKIP_1) | instid1(VALU_DEP_2)
	v_cndmask_b32_e32 v65, v65, v38, vcc_lo
	v_cmp_eq_u32_e32 vcc_lo, 5, v124
	;; [unrolled: 5-line block ×13, first 2 shown]
	v_cndmask_b32_e32 v65, v65, v61, vcc_lo
	v_cmp_eq_u32_e32 vcc_lo, 28, v124
	v_add_nc_u64_e32 v[124:125], 1, v[124:125]
	s_delay_alu instid0(VALU_DEP_3) | instskip(SKIP_2) | instid1(VALU_DEP_2)
	v_cndmask_b32_e32 v65, v65, v62, vcc_lo
	v_cmp_eq_u32_e32 vcc_lo, 0, v63
	s_wait_dscnt 0x0
	v_fmac_f32_e32 v128, v65, v126
	s_or_b32 s2, vcc_lo, s2
	s_delay_alu instid0(SALU_CYCLE_1)
	s_and_not1_b32 exec_lo, exec_lo, s2
	s_cbranch_execnz .LBB28_301
; %bb.302:
	s_or_b32 exec_lo, exec_lo, s2
.LBB28_303:
	s_delay_alu instid0(SALU_CYCLE_1)
	s_or_b32 exec_lo, exec_lo, s1
.LBB28_304:
	s_delay_alu instid0(SALU_CYCLE_1)
	s_or_b32 exec_lo, exec_lo, s5
	v_mov_b32_e32 v42, 0
	ds_load_b32 v42, v42 offset:32
	s_wait_dscnt 0x0
	v_mul_f32_e32 v42, v128, v42
.LBB28_305:
	s_or_b32 exec_lo, exec_lo, s4
	v_cmp_lt_u32_e64 s1, 7, v0
	ds_store_b32 v127, v41
	s_wait_dscnt 0x0
	s_barrier_signal -1
	s_barrier_wait -1
	s_and_saveexec_b32 s4, s1
	s_cbranch_execz .LBB28_321
; %bb.306:
	s_and_not1_b32 vcc_lo, exec_lo, s29
	s_cbranch_vccnz .LBB28_308
; %bb.307:
	v_cmp_eq_u32_e32 vcc_lo, 1, v0
	ds_load_b32 v125, v127
	v_cndmask_b32_e32 v124, v34, v35, vcc_lo
	v_cmp_eq_u32_e32 vcc_lo, 2, v0
	s_delay_alu instid0(VALU_DEP_2) | instskip(SKIP_1) | instid1(VALU_DEP_2)
	v_cndmask_b32_e32 v124, v124, v36, vcc_lo
	v_cmp_eq_u32_e32 vcc_lo, 3, v0
	v_cndmask_b32_e32 v124, v124, v37, vcc_lo
	v_cmp_eq_u32_e32 vcc_lo, 4, v0
	s_delay_alu instid0(VALU_DEP_2) | instskip(SKIP_1) | instid1(VALU_DEP_2)
	v_cndmask_b32_e32 v124, v124, v38, vcc_lo
	v_cmp_eq_u32_e32 vcc_lo, 5, v0
	;; [unrolled: 5-line block ×13, first 2 shown]
	v_cndmask_b32_e32 v124, v124, v61, vcc_lo
	v_cmp_eq_u32_e32 vcc_lo, 28, v0
	s_delay_alu instid0(VALU_DEP_2) | instskip(SKIP_1) | instid1(VALU_DEP_1)
	v_cndmask_b32_e32 v124, v124, v62, vcc_lo
	s_wait_dscnt 0x0
	v_mul_f32_e32 v128, v124, v125
	s_cbranch_execz .LBB28_309
	s_branch .LBB28_310
.LBB28_308:
                                        ; implicit-def: $vgpr128
.LBB28_309:
	ds_load_b32 v128, v127
.LBB28_310:
	s_and_saveexec_b32 s5, s0
	s_cbranch_execz .LBB28_320
; %bb.311:
	v_add_nc_u32_e32 v124, -9, v0
	s_delay_alu instid0(VALU_DEP_1)
	v_cmp_lt_u32_e32 vcc_lo, 6, v124
	v_mov_b32_e32 v124, 8
	s_and_saveexec_b32 s0, vcc_lo
	s_cbranch_execz .LBB28_315
; %bb.312:
	v_and_b32_e32 v124, 24, v0
	s_mov_b32 s6, 0
	s_mov_b64 s[2:3], 15
	s_movk_i32 s7, 0xa0
	s_delay_alu instid0(VALU_DEP_1)
	v_sub_nc_u32_e32 v126, 0, v124
.LBB28_313:                             ; =>This Inner Loop Header: Depth=1
	s_add_co_i32 m0, s2, -7
	v_movrels_b32_e32 v125, v34
	v_mov_b32_e32 v124, s7
	s_add_co_i32 m0, s2, -6
	s_add_co_i32 s7, s7, 32
	v_movrels_b32_e32 v129, v34
	s_add_co_i32 m0, s2, -5
	ds_load_b128 v[130:133], v124
	ds_load_b128 v[134:137], v124 offset:16
	v_movrels_b32_e32 v124, v34
	s_add_co_i32 m0, s2, -4
	s_wait_dscnt 0x1
	v_fmac_f32_e32 v128, v125, v130
	v_movrels_b32_e32 v125, v34
	s_add_co_i32 m0, s2, -3
	s_delay_alu instid0(VALU_DEP_2) | instskip(NEXT) | instid1(VALU_DEP_1)
	v_fmac_f32_e32 v128, v129, v131
	v_fmac_f32_e32 v128, v124, v132
	v_movrels_b32_e32 v124, v34
	s_add_co_i32 m0, s2, -2
	s_delay_alu instid0(VALU_DEP_2) | instskip(SKIP_3) | instid1(VALU_DEP_2)
	v_fmac_f32_e32 v128, v125, v133
	v_movrels_b32_e32 v125, v34
	s_add_co_i32 m0, s2, -1
	s_wait_dscnt 0x0
	v_fmac_f32_e32 v128, v124, v134
	v_movrels_b32_e32 v124, v34
	s_mov_b32 m0, s2
	s_add_nc_u64 s[2:3], s[2:3], 8
	v_movrels_b32_e32 v129, v34
	v_dual_fmac_f32 v128, v125, v135 :: v_dual_add_nc_u32 v125, s2, v126
	s_add_co_i32 s8, s2, -7
	s_delay_alu instid0(VALU_DEP_1) | instskip(NEXT) | instid1(VALU_DEP_2)
	v_fmac_f32_e32 v128, v124, v136
	v_cmp_eq_u32_e32 vcc_lo, 7, v125
	s_delay_alu instid0(VALU_DEP_2) | instskip(SKIP_1) | instid1(SALU_CYCLE_1)
	v_dual_mov_b32 v124, s8 :: v_dual_fmac_f32 v128, v129, v137
	s_or_b32 s6, vcc_lo, s6
	s_and_not1_b32 exec_lo, exec_lo, s6
	s_cbranch_execnz .LBB28_313
; %bb.314:
	s_or_b32 exec_lo, exec_lo, s6
.LBB28_315:
	s_delay_alu instid0(SALU_CYCLE_1) | instskip(SKIP_3) | instid1(VALU_DEP_1)
	s_or_b32 exec_lo, exec_lo, s0
	v_and_b32_e32 v63, 7, v0
	s_mov_b32 s2, 0
	s_mov_b32 s0, exec_lo
	v_cmpx_ne_u32_e32 0, v63
	s_cbranch_execz .LBB28_319
; %bb.316:
	v_lshl_add_u32 v64, v124, 2, 0x80
	v_mov_b32_e32 v125, 0
.LBB28_317:                             ; =>This Inner Loop Header: Depth=1
	v_cmp_eq_u32_e32 vcc_lo, 1, v124
	ds_load_b32 v126, v64
	v_dual_add_nc_u32 v64, 4, v64 :: v_dual_add_nc_u32 v63, -1, v63
	v_cndmask_b32_e32 v65, v34, v35, vcc_lo
	v_cmp_eq_u32_e32 vcc_lo, 2, v124
	s_delay_alu instid0(VALU_DEP_2) | instskip(SKIP_1) | instid1(VALU_DEP_2)
	v_cndmask_b32_e32 v65, v65, v36, vcc_lo
	v_cmp_eq_u32_e32 vcc_lo, 3, v124
	v_cndmask_b32_e32 v65, v65, v37, vcc_lo
	v_cmp_eq_u32_e32 vcc_lo, 4, v124
	s_delay_alu instid0(VALU_DEP_2) | instskip(SKIP_1) | instid1(VALU_DEP_2)
	v_cndmask_b32_e32 v65, v65, v38, vcc_lo
	v_cmp_eq_u32_e32 vcc_lo, 5, v124
	;; [unrolled: 5-line block ×13, first 2 shown]
	v_cndmask_b32_e32 v65, v65, v61, vcc_lo
	v_cmp_eq_u32_e32 vcc_lo, 28, v124
	v_add_nc_u64_e32 v[124:125], 1, v[124:125]
	s_delay_alu instid0(VALU_DEP_3) | instskip(SKIP_2) | instid1(VALU_DEP_2)
	v_cndmask_b32_e32 v65, v65, v62, vcc_lo
	v_cmp_eq_u32_e32 vcc_lo, 0, v63
	s_wait_dscnt 0x0
	v_fmac_f32_e32 v128, v65, v126
	s_or_b32 s2, vcc_lo, s2
	s_delay_alu instid0(SALU_CYCLE_1)
	s_and_not1_b32 exec_lo, exec_lo, s2
	s_cbranch_execnz .LBB28_317
; %bb.318:
	s_or_b32 exec_lo, exec_lo, s2
.LBB28_319:
	s_delay_alu instid0(SALU_CYCLE_1)
	s_or_b32 exec_lo, exec_lo, s0
.LBB28_320:
	s_delay_alu instid0(SALU_CYCLE_1)
	s_or_b32 exec_lo, exec_lo, s5
	v_mov_b32_e32 v41, 0
	ds_load_b32 v41, v41 offset:28
	s_wait_dscnt 0x0
	v_mul_f32_e32 v41, v128, v41
.LBB28_321:
	s_or_b32 exec_lo, exec_lo, s4
	v_cmp_lt_u32_e64 s0, 6, v0
	ds_store_b32 v127, v40
	s_wait_dscnt 0x0
	s_barrier_signal -1
	s_barrier_wait -1
	s_and_saveexec_b32 s4, s0
	s_cbranch_execz .LBB28_337
; %bb.322:
	s_and_not1_b32 vcc_lo, exec_lo, s29
	s_cbranch_vccnz .LBB28_324
; %bb.323:
	v_cmp_eq_u32_e32 vcc_lo, 1, v0
	ds_load_b32 v125, v127
	v_cndmask_b32_e32 v124, v34, v35, vcc_lo
	v_cmp_eq_u32_e32 vcc_lo, 2, v0
	s_delay_alu instid0(VALU_DEP_2) | instskip(SKIP_1) | instid1(VALU_DEP_2)
	v_cndmask_b32_e32 v124, v124, v36, vcc_lo
	v_cmp_eq_u32_e32 vcc_lo, 3, v0
	v_cndmask_b32_e32 v124, v124, v37, vcc_lo
	v_cmp_eq_u32_e32 vcc_lo, 4, v0
	s_delay_alu instid0(VALU_DEP_2) | instskip(SKIP_1) | instid1(VALU_DEP_2)
	v_cndmask_b32_e32 v124, v124, v38, vcc_lo
	v_cmp_eq_u32_e32 vcc_lo, 5, v0
	;; [unrolled: 5-line block ×13, first 2 shown]
	v_cndmask_b32_e32 v124, v124, v61, vcc_lo
	v_cmp_eq_u32_e32 vcc_lo, 28, v0
	s_delay_alu instid0(VALU_DEP_2) | instskip(SKIP_1) | instid1(VALU_DEP_1)
	v_cndmask_b32_e32 v124, v124, v62, vcc_lo
	s_wait_dscnt 0x0
	v_mul_f32_e32 v128, v124, v125
	s_cbranch_execz .LBB28_325
	s_branch .LBB28_326
.LBB28_324:
                                        ; implicit-def: $vgpr128
.LBB28_325:
	ds_load_b32 v128, v127
.LBB28_326:
	s_and_saveexec_b32 s5, s1
	s_cbranch_execz .LBB28_336
; %bb.327:
	v_dual_add_nc_u32 v124, -8, v0 :: v_dual_add_nc_u32 v125, -7, v0
	s_delay_alu instid0(VALU_DEP_1)
	v_cmp_lt_u32_e32 vcc_lo, 6, v124
	v_mov_b32_e32 v124, 7
	s_and_saveexec_b32 s1, vcc_lo
	s_cbranch_execz .LBB28_331
; %bb.328:
	v_and_b32_e32 v124, -8, v125
	s_mov_b32 s6, 0
	s_mov_b64 s[2:3], 14
	s_movk_i32 s7, 0x9c
	s_delay_alu instid0(VALU_DEP_1)
	v_sub_nc_u32_e32 v126, 0, v124
.LBB28_329:                             ; =>This Inner Loop Header: Depth=1
	s_add_co_i32 m0, s2, -7
	v_movrels_b32_e32 v129, v34
	v_mov_b32_e32 v124, s7
	s_add_co_i32 m0, s2, -6
	s_add_co_i32 s7, s7, 32
	v_movrels_b32_e32 v138, v34
	ds_load_2addr_b32 v[130:131], v124 offset1:1
	ds_load_2addr_b32 v[132:133], v124 offset0:2 offset1:3
	s_add_co_i32 m0, s2, -5
	s_wait_dscnt 0x1
	v_fmac_f32_e32 v128, v129, v130
	ds_load_2addr_b32 v[134:135], v124 offset0:4 offset1:5
	ds_load_2addr_b32 v[136:137], v124 offset0:6 offset1:7
	v_movrels_b32_e32 v124, v34
	s_add_co_i32 m0, s2, -4
	v_fmac_f32_e32 v128, v138, v131
	v_movrels_b32_e32 v129, v34
	s_add_co_i32 m0, s2, -3
	s_wait_dscnt 0x2
	s_delay_alu instid0(VALU_DEP_2) | instskip(SKIP_2) | instid1(VALU_DEP_2)
	v_fmac_f32_e32 v128, v124, v132
	v_movrels_b32_e32 v124, v34
	s_add_co_i32 m0, s2, -2
	v_fmac_f32_e32 v128, v129, v133
	v_movrels_b32_e32 v129, v34
	s_add_co_i32 m0, s2, -1
	s_wait_dscnt 0x1
	s_delay_alu instid0(VALU_DEP_2)
	v_fmac_f32_e32 v128, v124, v134
	v_movrels_b32_e32 v124, v34
	s_mov_b32 m0, s2
	s_add_nc_u64 s[2:3], s[2:3], 8
	v_movrels_b32_e32 v130, v34
	v_dual_fmac_f32 v128, v129, v135 :: v_dual_add_nc_u32 v129, s2, v126
	s_add_co_i32 s8, s2, -7
	s_wait_dscnt 0x0
	s_delay_alu instid0(VALU_DEP_1) | instskip(NEXT) | instid1(VALU_DEP_2)
	v_fmac_f32_e32 v128, v124, v136
	v_cmp_eq_u32_e32 vcc_lo, 14, v129
	s_delay_alu instid0(VALU_DEP_2) | instskip(SKIP_1) | instid1(SALU_CYCLE_1)
	v_dual_mov_b32 v124, s8 :: v_dual_fmac_f32 v128, v130, v137
	s_or_b32 s6, vcc_lo, s6
	s_and_not1_b32 exec_lo, exec_lo, s6
	s_cbranch_execnz .LBB28_329
; %bb.330:
	s_or_b32 exec_lo, exec_lo, s6
.LBB28_331:
	s_delay_alu instid0(SALU_CYCLE_1) | instskip(SKIP_3) | instid1(VALU_DEP_1)
	s_or_b32 exec_lo, exec_lo, s1
	v_and_b32_e32 v63, 7, v125
	s_mov_b32 s2, 0
	s_mov_b32 s1, exec_lo
	v_cmpx_ne_u32_e32 0, v63
	s_cbranch_execz .LBB28_335
; %bb.332:
	v_lshl_add_u32 v64, v124, 2, 0x80
	v_mov_b32_e32 v125, 0
.LBB28_333:                             ; =>This Inner Loop Header: Depth=1
	v_cmp_eq_u32_e32 vcc_lo, 1, v124
	ds_load_b32 v126, v64
	v_dual_add_nc_u32 v64, 4, v64 :: v_dual_add_nc_u32 v63, -1, v63
	v_cndmask_b32_e32 v65, v34, v35, vcc_lo
	v_cmp_eq_u32_e32 vcc_lo, 2, v124
	s_delay_alu instid0(VALU_DEP_2) | instskip(SKIP_1) | instid1(VALU_DEP_2)
	v_cndmask_b32_e32 v65, v65, v36, vcc_lo
	v_cmp_eq_u32_e32 vcc_lo, 3, v124
	v_cndmask_b32_e32 v65, v65, v37, vcc_lo
	v_cmp_eq_u32_e32 vcc_lo, 4, v124
	s_delay_alu instid0(VALU_DEP_2) | instskip(SKIP_1) | instid1(VALU_DEP_2)
	v_cndmask_b32_e32 v65, v65, v38, vcc_lo
	v_cmp_eq_u32_e32 vcc_lo, 5, v124
	v_cndmask_b32_e32 v65, v65, v39, vcc_lo
	v_cmp_eq_u32_e32 vcc_lo, 6, v124
	s_delay_alu instid0(VALU_DEP_2) | instskip(SKIP_1) | instid1(VALU_DEP_2)
	v_cndmask_b32_e32 v65, v65, v40, vcc_lo
	v_cmp_eq_u32_e32 vcc_lo, 7, v124
	v_cndmask_b32_e32 v65, v65, v41, vcc_lo
	v_cmp_eq_u32_e32 vcc_lo, 8, v124
	s_delay_alu instid0(VALU_DEP_2) | instskip(SKIP_1) | instid1(VALU_DEP_2)
	v_cndmask_b32_e32 v65, v65, v42, vcc_lo
	v_cmp_eq_u32_e32 vcc_lo, 9, v124
	v_cndmask_b32_e32 v65, v65, v43, vcc_lo
	v_cmp_eq_u32_e32 vcc_lo, 10, v124
	s_delay_alu instid0(VALU_DEP_2) | instskip(SKIP_1) | instid1(VALU_DEP_2)
	v_cndmask_b32_e32 v65, v65, v44, vcc_lo
	v_cmp_eq_u32_e32 vcc_lo, 11, v124
	v_cndmask_b32_e32 v65, v65, v45, vcc_lo
	v_cmp_eq_u32_e32 vcc_lo, 12, v124
	s_delay_alu instid0(VALU_DEP_2) | instskip(SKIP_1) | instid1(VALU_DEP_2)
	v_cndmask_b32_e32 v65, v65, v46, vcc_lo
	v_cmp_eq_u32_e32 vcc_lo, 13, v124
	v_cndmask_b32_e32 v65, v65, v47, vcc_lo
	v_cmp_eq_u32_e32 vcc_lo, 14, v124
	s_delay_alu instid0(VALU_DEP_2) | instskip(SKIP_1) | instid1(VALU_DEP_2)
	v_cndmask_b32_e32 v65, v65, v48, vcc_lo
	v_cmp_eq_u32_e32 vcc_lo, 15, v124
	v_cndmask_b32_e32 v65, v65, v49, vcc_lo
	v_cmp_eq_u32_e32 vcc_lo, 16, v124
	s_delay_alu instid0(VALU_DEP_2) | instskip(SKIP_1) | instid1(VALU_DEP_2)
	v_cndmask_b32_e32 v65, v65, v50, vcc_lo
	v_cmp_eq_u32_e32 vcc_lo, 17, v124
	v_cndmask_b32_e32 v65, v65, v51, vcc_lo
	v_cmp_eq_u32_e32 vcc_lo, 18, v124
	s_delay_alu instid0(VALU_DEP_2) | instskip(SKIP_1) | instid1(VALU_DEP_2)
	v_cndmask_b32_e32 v65, v65, v52, vcc_lo
	v_cmp_eq_u32_e32 vcc_lo, 19, v124
	v_cndmask_b32_e32 v65, v65, v53, vcc_lo
	v_cmp_eq_u32_e32 vcc_lo, 20, v124
	s_delay_alu instid0(VALU_DEP_2) | instskip(SKIP_1) | instid1(VALU_DEP_2)
	v_cndmask_b32_e32 v65, v65, v54, vcc_lo
	v_cmp_eq_u32_e32 vcc_lo, 21, v124
	v_cndmask_b32_e32 v65, v65, v55, vcc_lo
	v_cmp_eq_u32_e32 vcc_lo, 22, v124
	s_delay_alu instid0(VALU_DEP_2) | instskip(SKIP_1) | instid1(VALU_DEP_2)
	v_cndmask_b32_e32 v65, v65, v56, vcc_lo
	v_cmp_eq_u32_e32 vcc_lo, 23, v124
	v_cndmask_b32_e32 v65, v65, v57, vcc_lo
	v_cmp_eq_u32_e32 vcc_lo, 24, v124
	s_delay_alu instid0(VALU_DEP_2) | instskip(SKIP_1) | instid1(VALU_DEP_2)
	v_cndmask_b32_e32 v65, v65, v58, vcc_lo
	v_cmp_eq_u32_e32 vcc_lo, 25, v124
	v_cndmask_b32_e32 v65, v65, v59, vcc_lo
	v_cmp_eq_u32_e32 vcc_lo, 26, v124
	s_delay_alu instid0(VALU_DEP_2) | instskip(SKIP_1) | instid1(VALU_DEP_2)
	v_cndmask_b32_e32 v65, v65, v60, vcc_lo
	v_cmp_eq_u32_e32 vcc_lo, 27, v124
	v_cndmask_b32_e32 v65, v65, v61, vcc_lo
	v_cmp_eq_u32_e32 vcc_lo, 28, v124
	v_add_nc_u64_e32 v[124:125], 1, v[124:125]
	s_delay_alu instid0(VALU_DEP_3) | instskip(SKIP_2) | instid1(VALU_DEP_2)
	v_cndmask_b32_e32 v65, v65, v62, vcc_lo
	v_cmp_eq_u32_e32 vcc_lo, 0, v63
	s_wait_dscnt 0x0
	v_fmac_f32_e32 v128, v65, v126
	s_or_b32 s2, vcc_lo, s2
	s_delay_alu instid0(SALU_CYCLE_1)
	s_and_not1_b32 exec_lo, exec_lo, s2
	s_cbranch_execnz .LBB28_333
; %bb.334:
	s_or_b32 exec_lo, exec_lo, s2
.LBB28_335:
	s_delay_alu instid0(SALU_CYCLE_1)
	s_or_b32 exec_lo, exec_lo, s1
.LBB28_336:
	s_delay_alu instid0(SALU_CYCLE_1)
	s_or_b32 exec_lo, exec_lo, s5
	v_mov_b32_e32 v40, 0
	ds_load_b32 v40, v40 offset:24
	s_wait_dscnt 0x0
	v_mul_f32_e32 v40, v128, v40
.LBB28_337:
	s_or_b32 exec_lo, exec_lo, s4
	v_cmp_lt_u32_e64 s1, 5, v0
	ds_store_b32 v127, v39
	s_wait_dscnt 0x0
	s_barrier_signal -1
	s_barrier_wait -1
	s_and_saveexec_b32 s4, s1
	s_cbranch_execz .LBB28_353
; %bb.338:
	s_and_not1_b32 vcc_lo, exec_lo, s29
	s_cbranch_vccnz .LBB28_340
; %bb.339:
	v_cmp_eq_u32_e32 vcc_lo, 1, v0
	ds_load_b32 v125, v127
	v_cndmask_b32_e32 v124, v34, v35, vcc_lo
	v_cmp_eq_u32_e32 vcc_lo, 2, v0
	s_delay_alu instid0(VALU_DEP_2) | instskip(SKIP_1) | instid1(VALU_DEP_2)
	v_cndmask_b32_e32 v124, v124, v36, vcc_lo
	v_cmp_eq_u32_e32 vcc_lo, 3, v0
	v_cndmask_b32_e32 v124, v124, v37, vcc_lo
	v_cmp_eq_u32_e32 vcc_lo, 4, v0
	s_delay_alu instid0(VALU_DEP_2) | instskip(SKIP_1) | instid1(VALU_DEP_2)
	v_cndmask_b32_e32 v124, v124, v38, vcc_lo
	v_cmp_eq_u32_e32 vcc_lo, 5, v0
	;; [unrolled: 5-line block ×13, first 2 shown]
	v_cndmask_b32_e32 v124, v124, v61, vcc_lo
	v_cmp_eq_u32_e32 vcc_lo, 28, v0
	s_delay_alu instid0(VALU_DEP_2) | instskip(SKIP_1) | instid1(VALU_DEP_1)
	v_cndmask_b32_e32 v124, v124, v62, vcc_lo
	s_wait_dscnt 0x0
	v_mul_f32_e32 v128, v124, v125
	s_cbranch_execz .LBB28_341
	s_branch .LBB28_342
.LBB28_340:
                                        ; implicit-def: $vgpr128
.LBB28_341:
	ds_load_b32 v128, v127
.LBB28_342:
	s_and_saveexec_b32 s5, s0
	s_cbranch_execz .LBB28_352
; %bb.343:
	v_dual_add_nc_u32 v126, -7, v0 :: v_dual_add_nc_u32 v125, -6, v0
	v_mov_b32_e32 v124, 6
	s_mov_b32 s0, exec_lo
	s_delay_alu instid0(VALU_DEP_2)
	v_cmpx_lt_u32_e32 6, v126
	s_cbranch_execz .LBB28_347
; %bb.344:
	v_and_b32_e32 v124, -8, v125
	s_mov_b32 s6, 0
	s_mov_b64 s[2:3], 13
	s_movk_i32 s7, 0x98
	s_delay_alu instid0(VALU_DEP_1)
	v_sub_nc_u32_e32 v126, 0, v124
.LBB28_345:                             ; =>This Inner Loop Header: Depth=1
	s_add_co_i32 m0, s2, -7
	v_movrels_b32_e32 v129, v34
	v_mov_b32_e32 v124, s7
	s_add_co_i32 m0, s2, -6
	s_add_co_i32 s7, s7, 32
	v_movrels_b32_e32 v138, v34
	s_add_co_i32 m0, s2, -5
	ds_load_2addr_b64 v[130:133], v124 offset1:1
	ds_load_2addr_b64 v[134:137], v124 offset0:2 offset1:3
	v_movrels_b32_e32 v124, v34
	s_add_co_i32 m0, s2, -4
	s_wait_dscnt 0x1
	v_fmac_f32_e32 v128, v129, v130
	v_movrels_b32_e32 v129, v34
	s_add_co_i32 m0, s2, -3
	s_delay_alu instid0(VALU_DEP_2) | instskip(NEXT) | instid1(VALU_DEP_1)
	v_fmac_f32_e32 v128, v138, v131
	v_fmac_f32_e32 v128, v124, v132
	v_movrels_b32_e32 v124, v34
	s_add_co_i32 m0, s2, -2
	s_delay_alu instid0(VALU_DEP_2) | instskip(SKIP_3) | instid1(VALU_DEP_2)
	v_fmac_f32_e32 v128, v129, v133
	v_movrels_b32_e32 v129, v34
	s_add_co_i32 m0, s2, -1
	s_wait_dscnt 0x0
	v_fmac_f32_e32 v128, v124, v134
	v_movrels_b32_e32 v124, v34
	s_mov_b32 m0, s2
	s_add_nc_u64 s[2:3], s[2:3], 8
	v_movrels_b32_e32 v130, v34
	v_dual_fmac_f32 v128, v129, v135 :: v_dual_add_nc_u32 v129, s2, v126
	s_add_co_i32 s8, s2, -7
	s_delay_alu instid0(VALU_DEP_1) | instskip(NEXT) | instid1(VALU_DEP_2)
	v_fmac_f32_e32 v128, v124, v136
	v_cmp_eq_u32_e32 vcc_lo, 13, v129
	s_delay_alu instid0(VALU_DEP_2) | instskip(SKIP_1) | instid1(SALU_CYCLE_1)
	v_dual_mov_b32 v124, s8 :: v_dual_fmac_f32 v128, v130, v137
	s_or_b32 s6, vcc_lo, s6
	s_and_not1_b32 exec_lo, exec_lo, s6
	s_cbranch_execnz .LBB28_345
; %bb.346:
	s_or_b32 exec_lo, exec_lo, s6
.LBB28_347:
	s_delay_alu instid0(SALU_CYCLE_1) | instskip(SKIP_3) | instid1(VALU_DEP_1)
	s_or_b32 exec_lo, exec_lo, s0
	v_and_b32_e32 v63, 7, v125
	s_mov_b32 s2, 0
	s_mov_b32 s0, exec_lo
	v_cmpx_ne_u32_e32 0, v63
	s_cbranch_execz .LBB28_351
; %bb.348:
	v_lshl_add_u32 v64, v124, 2, 0x80
	v_mov_b32_e32 v125, 0
.LBB28_349:                             ; =>This Inner Loop Header: Depth=1
	v_cmp_eq_u32_e32 vcc_lo, 1, v124
	ds_load_b32 v126, v64
	v_dual_add_nc_u32 v64, 4, v64 :: v_dual_add_nc_u32 v63, -1, v63
	v_cndmask_b32_e32 v65, v34, v35, vcc_lo
	v_cmp_eq_u32_e32 vcc_lo, 2, v124
	s_delay_alu instid0(VALU_DEP_2) | instskip(SKIP_1) | instid1(VALU_DEP_2)
	v_cndmask_b32_e32 v65, v65, v36, vcc_lo
	v_cmp_eq_u32_e32 vcc_lo, 3, v124
	v_cndmask_b32_e32 v65, v65, v37, vcc_lo
	v_cmp_eq_u32_e32 vcc_lo, 4, v124
	s_delay_alu instid0(VALU_DEP_2) | instskip(SKIP_1) | instid1(VALU_DEP_2)
	v_cndmask_b32_e32 v65, v65, v38, vcc_lo
	v_cmp_eq_u32_e32 vcc_lo, 5, v124
	v_cndmask_b32_e32 v65, v65, v39, vcc_lo
	v_cmp_eq_u32_e32 vcc_lo, 6, v124
	s_delay_alu instid0(VALU_DEP_2) | instskip(SKIP_1) | instid1(VALU_DEP_2)
	v_cndmask_b32_e32 v65, v65, v40, vcc_lo
	v_cmp_eq_u32_e32 vcc_lo, 7, v124
	v_cndmask_b32_e32 v65, v65, v41, vcc_lo
	v_cmp_eq_u32_e32 vcc_lo, 8, v124
	s_delay_alu instid0(VALU_DEP_2) | instskip(SKIP_1) | instid1(VALU_DEP_2)
	v_cndmask_b32_e32 v65, v65, v42, vcc_lo
	v_cmp_eq_u32_e32 vcc_lo, 9, v124
	v_cndmask_b32_e32 v65, v65, v43, vcc_lo
	v_cmp_eq_u32_e32 vcc_lo, 10, v124
	s_delay_alu instid0(VALU_DEP_2) | instskip(SKIP_1) | instid1(VALU_DEP_2)
	v_cndmask_b32_e32 v65, v65, v44, vcc_lo
	v_cmp_eq_u32_e32 vcc_lo, 11, v124
	v_cndmask_b32_e32 v65, v65, v45, vcc_lo
	v_cmp_eq_u32_e32 vcc_lo, 12, v124
	s_delay_alu instid0(VALU_DEP_2) | instskip(SKIP_1) | instid1(VALU_DEP_2)
	v_cndmask_b32_e32 v65, v65, v46, vcc_lo
	v_cmp_eq_u32_e32 vcc_lo, 13, v124
	v_cndmask_b32_e32 v65, v65, v47, vcc_lo
	v_cmp_eq_u32_e32 vcc_lo, 14, v124
	s_delay_alu instid0(VALU_DEP_2) | instskip(SKIP_1) | instid1(VALU_DEP_2)
	v_cndmask_b32_e32 v65, v65, v48, vcc_lo
	v_cmp_eq_u32_e32 vcc_lo, 15, v124
	v_cndmask_b32_e32 v65, v65, v49, vcc_lo
	v_cmp_eq_u32_e32 vcc_lo, 16, v124
	s_delay_alu instid0(VALU_DEP_2) | instskip(SKIP_1) | instid1(VALU_DEP_2)
	v_cndmask_b32_e32 v65, v65, v50, vcc_lo
	v_cmp_eq_u32_e32 vcc_lo, 17, v124
	v_cndmask_b32_e32 v65, v65, v51, vcc_lo
	v_cmp_eq_u32_e32 vcc_lo, 18, v124
	s_delay_alu instid0(VALU_DEP_2) | instskip(SKIP_1) | instid1(VALU_DEP_2)
	v_cndmask_b32_e32 v65, v65, v52, vcc_lo
	v_cmp_eq_u32_e32 vcc_lo, 19, v124
	v_cndmask_b32_e32 v65, v65, v53, vcc_lo
	v_cmp_eq_u32_e32 vcc_lo, 20, v124
	s_delay_alu instid0(VALU_DEP_2) | instskip(SKIP_1) | instid1(VALU_DEP_2)
	v_cndmask_b32_e32 v65, v65, v54, vcc_lo
	v_cmp_eq_u32_e32 vcc_lo, 21, v124
	v_cndmask_b32_e32 v65, v65, v55, vcc_lo
	v_cmp_eq_u32_e32 vcc_lo, 22, v124
	s_delay_alu instid0(VALU_DEP_2) | instskip(SKIP_1) | instid1(VALU_DEP_2)
	v_cndmask_b32_e32 v65, v65, v56, vcc_lo
	v_cmp_eq_u32_e32 vcc_lo, 23, v124
	v_cndmask_b32_e32 v65, v65, v57, vcc_lo
	v_cmp_eq_u32_e32 vcc_lo, 24, v124
	s_delay_alu instid0(VALU_DEP_2) | instskip(SKIP_1) | instid1(VALU_DEP_2)
	v_cndmask_b32_e32 v65, v65, v58, vcc_lo
	v_cmp_eq_u32_e32 vcc_lo, 25, v124
	v_cndmask_b32_e32 v65, v65, v59, vcc_lo
	v_cmp_eq_u32_e32 vcc_lo, 26, v124
	s_delay_alu instid0(VALU_DEP_2) | instskip(SKIP_1) | instid1(VALU_DEP_2)
	v_cndmask_b32_e32 v65, v65, v60, vcc_lo
	v_cmp_eq_u32_e32 vcc_lo, 27, v124
	v_cndmask_b32_e32 v65, v65, v61, vcc_lo
	v_cmp_eq_u32_e32 vcc_lo, 28, v124
	v_add_nc_u64_e32 v[124:125], 1, v[124:125]
	s_delay_alu instid0(VALU_DEP_3) | instskip(SKIP_2) | instid1(VALU_DEP_2)
	v_cndmask_b32_e32 v65, v65, v62, vcc_lo
	v_cmp_eq_u32_e32 vcc_lo, 0, v63
	s_wait_dscnt 0x0
	v_fmac_f32_e32 v128, v65, v126
	s_or_b32 s2, vcc_lo, s2
	s_delay_alu instid0(SALU_CYCLE_1)
	s_and_not1_b32 exec_lo, exec_lo, s2
	s_cbranch_execnz .LBB28_349
; %bb.350:
	s_or_b32 exec_lo, exec_lo, s2
.LBB28_351:
	s_delay_alu instid0(SALU_CYCLE_1)
	s_or_b32 exec_lo, exec_lo, s0
.LBB28_352:
	s_delay_alu instid0(SALU_CYCLE_1)
	s_or_b32 exec_lo, exec_lo, s5
	v_mov_b32_e32 v39, 0
	ds_load_b32 v39, v39 offset:20
	s_wait_dscnt 0x0
	v_mul_f32_e32 v39, v128, v39
.LBB28_353:
	s_or_b32 exec_lo, exec_lo, s4
	v_cmp_lt_u32_e64 s0, 4, v0
	ds_store_b32 v127, v38
	s_wait_dscnt 0x0
	s_barrier_signal -1
	s_barrier_wait -1
	s_and_saveexec_b32 s4, s0
	s_cbranch_execz .LBB28_369
; %bb.354:
	s_and_not1_b32 vcc_lo, exec_lo, s29
	s_cbranch_vccnz .LBB28_356
; %bb.355:
	v_cmp_eq_u32_e32 vcc_lo, 1, v0
	ds_load_b32 v125, v127
	v_cndmask_b32_e32 v124, v34, v35, vcc_lo
	v_cmp_eq_u32_e32 vcc_lo, 2, v0
	s_delay_alu instid0(VALU_DEP_2) | instskip(SKIP_1) | instid1(VALU_DEP_2)
	v_cndmask_b32_e32 v124, v124, v36, vcc_lo
	v_cmp_eq_u32_e32 vcc_lo, 3, v0
	v_cndmask_b32_e32 v124, v124, v37, vcc_lo
	v_cmp_eq_u32_e32 vcc_lo, 4, v0
	s_delay_alu instid0(VALU_DEP_2) | instskip(SKIP_1) | instid1(VALU_DEP_2)
	v_cndmask_b32_e32 v124, v124, v38, vcc_lo
	v_cmp_eq_u32_e32 vcc_lo, 5, v0
	;; [unrolled: 5-line block ×13, first 2 shown]
	v_cndmask_b32_e32 v124, v124, v61, vcc_lo
	v_cmp_eq_u32_e32 vcc_lo, 28, v0
	s_delay_alu instid0(VALU_DEP_2) | instskip(SKIP_1) | instid1(VALU_DEP_1)
	v_cndmask_b32_e32 v124, v124, v62, vcc_lo
	s_wait_dscnt 0x0
	v_mul_f32_e32 v128, v124, v125
	s_cbranch_execz .LBB28_357
	s_branch .LBB28_358
.LBB28_356:
                                        ; implicit-def: $vgpr128
.LBB28_357:
	ds_load_b32 v128, v127
.LBB28_358:
	s_and_saveexec_b32 s5, s1
	s_cbranch_execz .LBB28_368
; %bb.359:
	v_dual_add_nc_u32 v124, -6, v0 :: v_dual_add_nc_u32 v125, -5, v0
	s_delay_alu instid0(VALU_DEP_1)
	v_cmp_lt_u32_e32 vcc_lo, 6, v124
	v_mov_b32_e32 v124, 5
	s_and_saveexec_b32 s1, vcc_lo
	s_cbranch_execz .LBB28_363
; %bb.360:
	v_and_b32_e32 v124, -8, v125
	s_mov_b32 s6, 0
	s_mov_b64 s[2:3], 12
	s_movk_i32 s7, 0x94
	s_delay_alu instid0(VALU_DEP_1)
	v_sub_nc_u32_e32 v126, 0, v124
.LBB28_361:                             ; =>This Inner Loop Header: Depth=1
	s_add_co_i32 m0, s2, -7
	v_movrels_b32_e32 v129, v34
	v_mov_b32_e32 v124, s7
	s_add_co_i32 m0, s2, -6
	s_add_co_i32 s7, s7, 32
	v_movrels_b32_e32 v138, v34
	ds_load_2addr_b32 v[130:131], v124 offset1:1
	ds_load_2addr_b32 v[132:133], v124 offset0:2 offset1:3
	s_add_co_i32 m0, s2, -5
	s_wait_dscnt 0x1
	v_fmac_f32_e32 v128, v129, v130
	ds_load_2addr_b32 v[134:135], v124 offset0:4 offset1:5
	ds_load_2addr_b32 v[136:137], v124 offset0:6 offset1:7
	v_movrels_b32_e32 v124, v34
	s_add_co_i32 m0, s2, -4
	v_fmac_f32_e32 v128, v138, v131
	v_movrels_b32_e32 v129, v34
	s_add_co_i32 m0, s2, -3
	s_wait_dscnt 0x2
	s_delay_alu instid0(VALU_DEP_2) | instskip(SKIP_2) | instid1(VALU_DEP_2)
	v_fmac_f32_e32 v128, v124, v132
	v_movrels_b32_e32 v124, v34
	s_add_co_i32 m0, s2, -2
	v_fmac_f32_e32 v128, v129, v133
	v_movrels_b32_e32 v129, v34
	s_add_co_i32 m0, s2, -1
	s_wait_dscnt 0x1
	s_delay_alu instid0(VALU_DEP_2)
	v_fmac_f32_e32 v128, v124, v134
	v_movrels_b32_e32 v124, v34
	s_mov_b32 m0, s2
	s_add_nc_u64 s[2:3], s[2:3], 8
	v_movrels_b32_e32 v130, v34
	v_dual_fmac_f32 v128, v129, v135 :: v_dual_add_nc_u32 v129, s2, v126
	s_add_co_i32 s8, s2, -7
	s_wait_dscnt 0x0
	s_delay_alu instid0(VALU_DEP_1) | instskip(NEXT) | instid1(VALU_DEP_2)
	v_fmac_f32_e32 v128, v124, v136
	v_cmp_eq_u32_e32 vcc_lo, 12, v129
	s_delay_alu instid0(VALU_DEP_2) | instskip(SKIP_1) | instid1(SALU_CYCLE_1)
	v_dual_mov_b32 v124, s8 :: v_dual_fmac_f32 v128, v130, v137
	s_or_b32 s6, vcc_lo, s6
	s_and_not1_b32 exec_lo, exec_lo, s6
	s_cbranch_execnz .LBB28_361
; %bb.362:
	s_or_b32 exec_lo, exec_lo, s6
.LBB28_363:
	s_delay_alu instid0(SALU_CYCLE_1) | instskip(SKIP_3) | instid1(VALU_DEP_1)
	s_or_b32 exec_lo, exec_lo, s1
	v_and_b32_e32 v63, 7, v125
	s_mov_b32 s2, 0
	s_mov_b32 s1, exec_lo
	v_cmpx_ne_u32_e32 0, v63
	s_cbranch_execz .LBB28_367
; %bb.364:
	v_lshl_add_u32 v64, v124, 2, 0x80
	v_mov_b32_e32 v125, 0
.LBB28_365:                             ; =>This Inner Loop Header: Depth=1
	v_cmp_eq_u32_e32 vcc_lo, 1, v124
	ds_load_b32 v126, v64
	v_dual_add_nc_u32 v64, 4, v64 :: v_dual_add_nc_u32 v63, -1, v63
	v_cndmask_b32_e32 v65, v34, v35, vcc_lo
	v_cmp_eq_u32_e32 vcc_lo, 2, v124
	s_delay_alu instid0(VALU_DEP_2) | instskip(SKIP_1) | instid1(VALU_DEP_2)
	v_cndmask_b32_e32 v65, v65, v36, vcc_lo
	v_cmp_eq_u32_e32 vcc_lo, 3, v124
	v_cndmask_b32_e32 v65, v65, v37, vcc_lo
	v_cmp_eq_u32_e32 vcc_lo, 4, v124
	s_delay_alu instid0(VALU_DEP_2) | instskip(SKIP_1) | instid1(VALU_DEP_2)
	v_cndmask_b32_e32 v65, v65, v38, vcc_lo
	v_cmp_eq_u32_e32 vcc_lo, 5, v124
	;; [unrolled: 5-line block ×13, first 2 shown]
	v_cndmask_b32_e32 v65, v65, v61, vcc_lo
	v_cmp_eq_u32_e32 vcc_lo, 28, v124
	v_add_nc_u64_e32 v[124:125], 1, v[124:125]
	s_delay_alu instid0(VALU_DEP_3) | instskip(SKIP_2) | instid1(VALU_DEP_2)
	v_cndmask_b32_e32 v65, v65, v62, vcc_lo
	v_cmp_eq_u32_e32 vcc_lo, 0, v63
	s_wait_dscnt 0x0
	v_fmac_f32_e32 v128, v65, v126
	s_or_b32 s2, vcc_lo, s2
	s_delay_alu instid0(SALU_CYCLE_1)
	s_and_not1_b32 exec_lo, exec_lo, s2
	s_cbranch_execnz .LBB28_365
; %bb.366:
	s_or_b32 exec_lo, exec_lo, s2
.LBB28_367:
	s_delay_alu instid0(SALU_CYCLE_1)
	s_or_b32 exec_lo, exec_lo, s1
.LBB28_368:
	s_delay_alu instid0(SALU_CYCLE_1)
	s_or_b32 exec_lo, exec_lo, s5
	v_mov_b32_e32 v38, 0
	ds_load_b32 v38, v38 offset:16
	s_wait_dscnt 0x0
	v_mul_f32_e32 v38, v128, v38
.LBB28_369:
	s_or_b32 exec_lo, exec_lo, s4
	v_cmp_lt_u32_e64 s1, 3, v0
	ds_store_b32 v127, v37
	s_wait_dscnt 0x0
	s_barrier_signal -1
	s_barrier_wait -1
	s_and_saveexec_b32 s4, s1
	s_cbranch_execz .LBB28_385
; %bb.370:
	s_and_not1_b32 vcc_lo, exec_lo, s29
	s_cbranch_vccnz .LBB28_372
; %bb.371:
	v_cmp_eq_u32_e32 vcc_lo, 1, v0
	ds_load_b32 v125, v127
	v_cndmask_b32_e32 v124, v34, v35, vcc_lo
	v_cmp_eq_u32_e32 vcc_lo, 2, v0
	s_delay_alu instid0(VALU_DEP_2) | instskip(SKIP_1) | instid1(VALU_DEP_2)
	v_cndmask_b32_e32 v124, v124, v36, vcc_lo
	v_cmp_eq_u32_e32 vcc_lo, 3, v0
	v_cndmask_b32_e32 v124, v124, v37, vcc_lo
	v_cmp_eq_u32_e32 vcc_lo, 4, v0
	s_delay_alu instid0(VALU_DEP_2) | instskip(SKIP_1) | instid1(VALU_DEP_2)
	v_cndmask_b32_e32 v124, v124, v38, vcc_lo
	v_cmp_eq_u32_e32 vcc_lo, 5, v0
	;; [unrolled: 5-line block ×13, first 2 shown]
	v_cndmask_b32_e32 v124, v124, v61, vcc_lo
	v_cmp_eq_u32_e32 vcc_lo, 28, v0
	s_delay_alu instid0(VALU_DEP_2) | instskip(SKIP_1) | instid1(VALU_DEP_1)
	v_cndmask_b32_e32 v124, v124, v62, vcc_lo
	s_wait_dscnt 0x0
	v_mul_f32_e32 v128, v124, v125
	s_cbranch_execz .LBB28_373
	s_branch .LBB28_374
.LBB28_372:
                                        ; implicit-def: $vgpr128
.LBB28_373:
	ds_load_b32 v128, v127
.LBB28_374:
	s_and_saveexec_b32 s5, s0
	s_cbranch_execz .LBB28_384
; %bb.375:
	v_dual_add_nc_u32 v124, -5, v0 :: v_dual_add_nc_u32 v125, -4, v0
	s_delay_alu instid0(VALU_DEP_1)
	v_cmp_lt_u32_e32 vcc_lo, 6, v124
	v_mov_b32_e32 v124, 4
	s_and_saveexec_b32 s0, vcc_lo
	s_cbranch_execz .LBB28_379
; %bb.376:
	v_and_b32_e32 v124, -8, v125
	s_mov_b32 s6, 0
	s_mov_b64 s[2:3], 5
	s_movk_i32 s7, 0x90
	s_delay_alu instid0(VALU_DEP_1)
	v_sub_nc_u32_e32 v126, 0, v124
.LBB28_377:                             ; =>This Inner Loop Header: Depth=1
	s_add_co_i32 m0, s2, -1
	v_movrels_b32_e32 v129, v34
	v_mov_b32_e32 v124, s7
	s_mov_b32 m0, s2
	s_add_co_i32 s7, s7, 32
	v_movrels_b32_e32 v138, v34
	s_add_co_i32 m0, s2, 1
	ds_load_b128 v[130:133], v124
	ds_load_b128 v[134:137], v124 offset:16
	v_movrels_b32_e32 v124, v34
	s_add_co_i32 m0, s2, 2
	s_wait_dscnt 0x1
	v_fmac_f32_e32 v128, v129, v130
	v_movrels_b32_e32 v129, v34
	s_add_co_i32 m0, s2, 3
	s_delay_alu instid0(VALU_DEP_2) | instskip(NEXT) | instid1(VALU_DEP_1)
	v_fmac_f32_e32 v128, v138, v131
	v_fmac_f32_e32 v128, v124, v132
	v_movrels_b32_e32 v124, v34
	s_add_co_i32 m0, s2, 4
	s_delay_alu instid0(VALU_DEP_2) | instskip(SKIP_3) | instid1(VALU_DEP_2)
	v_fmac_f32_e32 v128, v129, v133
	v_movrels_b32_e32 v129, v34
	s_add_co_i32 m0, s2, 5
	s_wait_dscnt 0x0
	v_fmac_f32_e32 v128, v124, v134
	v_movrels_b32_e32 v124, v34
	s_add_co_i32 m0, s2, 6
	s_add_nc_u64 s[2:3], s[2:3], 8
	v_movrels_b32_e32 v130, v34
	v_dual_fmac_f32 v128, v129, v135 :: v_dual_add_nc_u32 v129, s2, v126
	s_add_co_i32 s8, s2, -1
	s_delay_alu instid0(VALU_DEP_1) | instskip(NEXT) | instid1(VALU_DEP_2)
	v_fmac_f32_e32 v128, v124, v136
	v_cmp_eq_u32_e32 vcc_lo, 5, v129
	s_delay_alu instid0(VALU_DEP_2) | instskip(SKIP_1) | instid1(SALU_CYCLE_1)
	v_dual_mov_b32 v124, s8 :: v_dual_fmac_f32 v128, v130, v137
	s_or_b32 s6, vcc_lo, s6
	s_and_not1_b32 exec_lo, exec_lo, s6
	s_cbranch_execnz .LBB28_377
; %bb.378:
	s_or_b32 exec_lo, exec_lo, s6
.LBB28_379:
	s_delay_alu instid0(SALU_CYCLE_1) | instskip(SKIP_3) | instid1(VALU_DEP_1)
	s_or_b32 exec_lo, exec_lo, s0
	v_and_b32_e32 v63, 7, v125
	s_mov_b32 s2, 0
	s_mov_b32 s0, exec_lo
	v_cmpx_ne_u32_e32 0, v63
	s_cbranch_execz .LBB28_383
; %bb.380:
	v_lshl_add_u32 v64, v124, 2, 0x80
	v_mov_b32_e32 v125, 0
.LBB28_381:                             ; =>This Inner Loop Header: Depth=1
	v_cmp_eq_u32_e32 vcc_lo, 1, v124
	ds_load_b32 v126, v64
	v_dual_add_nc_u32 v64, 4, v64 :: v_dual_add_nc_u32 v63, -1, v63
	v_cndmask_b32_e32 v65, v34, v35, vcc_lo
	v_cmp_eq_u32_e32 vcc_lo, 2, v124
	s_delay_alu instid0(VALU_DEP_2) | instskip(SKIP_1) | instid1(VALU_DEP_2)
	v_cndmask_b32_e32 v65, v65, v36, vcc_lo
	v_cmp_eq_u32_e32 vcc_lo, 3, v124
	v_cndmask_b32_e32 v65, v65, v37, vcc_lo
	v_cmp_eq_u32_e32 vcc_lo, 4, v124
	s_delay_alu instid0(VALU_DEP_2) | instskip(SKIP_1) | instid1(VALU_DEP_2)
	v_cndmask_b32_e32 v65, v65, v38, vcc_lo
	v_cmp_eq_u32_e32 vcc_lo, 5, v124
	;; [unrolled: 5-line block ×13, first 2 shown]
	v_cndmask_b32_e32 v65, v65, v61, vcc_lo
	v_cmp_eq_u32_e32 vcc_lo, 28, v124
	v_add_nc_u64_e32 v[124:125], 1, v[124:125]
	s_delay_alu instid0(VALU_DEP_3) | instskip(SKIP_2) | instid1(VALU_DEP_2)
	v_cndmask_b32_e32 v65, v65, v62, vcc_lo
	v_cmp_eq_u32_e32 vcc_lo, 0, v63
	s_wait_dscnt 0x0
	v_fmac_f32_e32 v128, v65, v126
	s_or_b32 s2, vcc_lo, s2
	s_delay_alu instid0(SALU_CYCLE_1)
	s_and_not1_b32 exec_lo, exec_lo, s2
	s_cbranch_execnz .LBB28_381
; %bb.382:
	s_or_b32 exec_lo, exec_lo, s2
.LBB28_383:
	s_delay_alu instid0(SALU_CYCLE_1)
	s_or_b32 exec_lo, exec_lo, s0
.LBB28_384:
	s_delay_alu instid0(SALU_CYCLE_1)
	s_or_b32 exec_lo, exec_lo, s5
	v_mov_b32_e32 v37, 0
	ds_load_b32 v37, v37 offset:12
	s_wait_dscnt 0x0
	v_mul_f32_e32 v37, v128, v37
.LBB28_385:
	s_or_b32 exec_lo, exec_lo, s4
	v_cmp_lt_u32_e64 s0, 2, v0
	ds_store_b32 v127, v36
	s_wait_dscnt 0x0
	s_barrier_signal -1
	s_barrier_wait -1
	s_and_saveexec_b32 s4, s0
	s_cbranch_execz .LBB28_401
; %bb.386:
	s_and_not1_b32 vcc_lo, exec_lo, s29
	s_cbranch_vccnz .LBB28_388
; %bb.387:
	v_cmp_eq_u32_e32 vcc_lo, 1, v0
	ds_load_b32 v125, v127
	v_cndmask_b32_e32 v124, v34, v35, vcc_lo
	v_cmp_eq_u32_e32 vcc_lo, 2, v0
	s_delay_alu instid0(VALU_DEP_2) | instskip(SKIP_1) | instid1(VALU_DEP_2)
	v_cndmask_b32_e32 v124, v124, v36, vcc_lo
	v_cmp_eq_u32_e32 vcc_lo, 3, v0
	v_cndmask_b32_e32 v124, v124, v37, vcc_lo
	v_cmp_eq_u32_e32 vcc_lo, 4, v0
	s_delay_alu instid0(VALU_DEP_2) | instskip(SKIP_1) | instid1(VALU_DEP_2)
	v_cndmask_b32_e32 v124, v124, v38, vcc_lo
	v_cmp_eq_u32_e32 vcc_lo, 5, v0
	;; [unrolled: 5-line block ×13, first 2 shown]
	v_cndmask_b32_e32 v124, v124, v61, vcc_lo
	v_cmp_eq_u32_e32 vcc_lo, 28, v0
	s_delay_alu instid0(VALU_DEP_2) | instskip(SKIP_1) | instid1(VALU_DEP_1)
	v_cndmask_b32_e32 v124, v124, v62, vcc_lo
	s_wait_dscnt 0x0
	v_mul_f32_e32 v128, v124, v125
	s_cbranch_execz .LBB28_389
	s_branch .LBB28_390
.LBB28_388:
                                        ; implicit-def: $vgpr128
.LBB28_389:
	ds_load_b32 v128, v127
.LBB28_390:
	s_and_saveexec_b32 s5, s1
	s_cbranch_execz .LBB28_400
; %bb.391:
	v_dual_add_nc_u32 v124, -4, v0 :: v_dual_add_nc_u32 v125, -3, v0
	s_delay_alu instid0(VALU_DEP_1)
	v_cmp_lt_u32_e32 vcc_lo, 6, v124
	v_mov_b32_e32 v124, 3
	s_and_saveexec_b32 s1, vcc_lo
	s_cbranch_execz .LBB28_395
; %bb.392:
	v_and_b32_e32 v124, -8, v125
	s_mov_b32 s6, 0
	s_mov_b64 s[2:3], 10
	s_movk_i32 s7, 0x8c
	s_delay_alu instid0(VALU_DEP_1)
	v_sub_nc_u32_e32 v126, 0, v124
.LBB28_393:                             ; =>This Inner Loop Header: Depth=1
	s_add_co_i32 m0, s2, -7
	v_movrels_b32_e32 v129, v34
	v_mov_b32_e32 v124, s7
	s_add_co_i32 m0, s2, -6
	s_add_co_i32 s7, s7, 32
	v_movrels_b32_e32 v138, v34
	ds_load_2addr_b32 v[130:131], v124 offset1:1
	ds_load_2addr_b32 v[132:133], v124 offset0:2 offset1:3
	s_add_co_i32 m0, s2, -5
	s_wait_dscnt 0x1
	v_fmac_f32_e32 v128, v129, v130
	ds_load_2addr_b32 v[134:135], v124 offset0:4 offset1:5
	ds_load_2addr_b32 v[136:137], v124 offset0:6 offset1:7
	v_movrels_b32_e32 v124, v34
	s_add_co_i32 m0, s2, -4
	v_fmac_f32_e32 v128, v138, v131
	v_movrels_b32_e32 v129, v34
	s_add_co_i32 m0, s2, -3
	s_wait_dscnt 0x2
	s_delay_alu instid0(VALU_DEP_2) | instskip(SKIP_2) | instid1(VALU_DEP_2)
	v_fmac_f32_e32 v128, v124, v132
	v_movrels_b32_e32 v124, v34
	s_add_co_i32 m0, s2, -2
	v_fmac_f32_e32 v128, v129, v133
	v_movrels_b32_e32 v129, v34
	s_add_co_i32 m0, s2, -1
	s_wait_dscnt 0x1
	s_delay_alu instid0(VALU_DEP_2)
	v_fmac_f32_e32 v128, v124, v134
	v_movrels_b32_e32 v124, v34
	s_mov_b32 m0, s2
	s_add_nc_u64 s[2:3], s[2:3], 8
	v_movrels_b32_e32 v130, v34
	v_dual_fmac_f32 v128, v129, v135 :: v_dual_add_nc_u32 v129, s2, v126
	s_add_co_i32 s8, s2, -7
	s_wait_dscnt 0x0
	s_delay_alu instid0(VALU_DEP_1) | instskip(NEXT) | instid1(VALU_DEP_2)
	v_fmac_f32_e32 v128, v124, v136
	v_cmp_eq_u32_e32 vcc_lo, 10, v129
	s_delay_alu instid0(VALU_DEP_2) | instskip(SKIP_1) | instid1(SALU_CYCLE_1)
	v_dual_mov_b32 v124, s8 :: v_dual_fmac_f32 v128, v130, v137
	s_or_b32 s6, vcc_lo, s6
	s_and_not1_b32 exec_lo, exec_lo, s6
	s_cbranch_execnz .LBB28_393
; %bb.394:
	s_or_b32 exec_lo, exec_lo, s6
.LBB28_395:
	s_delay_alu instid0(SALU_CYCLE_1) | instskip(SKIP_3) | instid1(VALU_DEP_1)
	s_or_b32 exec_lo, exec_lo, s1
	v_and_b32_e32 v63, 7, v125
	s_mov_b32 s2, 0
	s_mov_b32 s1, exec_lo
	v_cmpx_ne_u32_e32 0, v63
	s_cbranch_execz .LBB28_399
; %bb.396:
	v_lshl_add_u32 v64, v124, 2, 0x80
	v_mov_b32_e32 v125, 0
.LBB28_397:                             ; =>This Inner Loop Header: Depth=1
	v_cmp_eq_u32_e32 vcc_lo, 1, v124
	ds_load_b32 v126, v64
	v_dual_add_nc_u32 v64, 4, v64 :: v_dual_add_nc_u32 v63, -1, v63
	v_cndmask_b32_e32 v65, v34, v35, vcc_lo
	v_cmp_eq_u32_e32 vcc_lo, 2, v124
	s_delay_alu instid0(VALU_DEP_2) | instskip(SKIP_1) | instid1(VALU_DEP_2)
	v_cndmask_b32_e32 v65, v65, v36, vcc_lo
	v_cmp_eq_u32_e32 vcc_lo, 3, v124
	v_cndmask_b32_e32 v65, v65, v37, vcc_lo
	v_cmp_eq_u32_e32 vcc_lo, 4, v124
	s_delay_alu instid0(VALU_DEP_2) | instskip(SKIP_1) | instid1(VALU_DEP_2)
	v_cndmask_b32_e32 v65, v65, v38, vcc_lo
	v_cmp_eq_u32_e32 vcc_lo, 5, v124
	;; [unrolled: 5-line block ×13, first 2 shown]
	v_cndmask_b32_e32 v65, v65, v61, vcc_lo
	v_cmp_eq_u32_e32 vcc_lo, 28, v124
	v_add_nc_u64_e32 v[124:125], 1, v[124:125]
	s_delay_alu instid0(VALU_DEP_3) | instskip(SKIP_2) | instid1(VALU_DEP_2)
	v_cndmask_b32_e32 v65, v65, v62, vcc_lo
	v_cmp_eq_u32_e32 vcc_lo, 0, v63
	s_wait_dscnt 0x0
	v_fmac_f32_e32 v128, v65, v126
	s_or_b32 s2, vcc_lo, s2
	s_delay_alu instid0(SALU_CYCLE_1)
	s_and_not1_b32 exec_lo, exec_lo, s2
	s_cbranch_execnz .LBB28_397
; %bb.398:
	s_or_b32 exec_lo, exec_lo, s2
.LBB28_399:
	s_delay_alu instid0(SALU_CYCLE_1)
	s_or_b32 exec_lo, exec_lo, s1
.LBB28_400:
	s_delay_alu instid0(SALU_CYCLE_1)
	s_or_b32 exec_lo, exec_lo, s5
	v_mov_b32_e32 v36, 0
	ds_load_b32 v36, v36 offset:8
	s_wait_dscnt 0x0
	v_mul_f32_e32 v36, v128, v36
.LBB28_401:
	s_or_b32 exec_lo, exec_lo, s4
	v_cmp_lt_u32_e64 s1, 1, v0
	ds_store_b32 v127, v35
	s_wait_dscnt 0x0
	s_barrier_signal -1
	s_barrier_wait -1
	s_and_saveexec_b32 s4, s1
	s_cbranch_execz .LBB28_417
; %bb.402:
	s_and_not1_b32 vcc_lo, exec_lo, s29
	s_cbranch_vccnz .LBB28_404
; %bb.403:
	v_cmp_eq_u32_e32 vcc_lo, 1, v0
	ds_load_b32 v125, v127
	v_cndmask_b32_e32 v124, v34, v35, vcc_lo
	v_cmp_eq_u32_e32 vcc_lo, 2, v0
	s_delay_alu instid0(VALU_DEP_2) | instskip(SKIP_1) | instid1(VALU_DEP_2)
	v_cndmask_b32_e32 v124, v124, v36, vcc_lo
	v_cmp_eq_u32_e32 vcc_lo, 3, v0
	v_cndmask_b32_e32 v124, v124, v37, vcc_lo
	v_cmp_eq_u32_e32 vcc_lo, 4, v0
	s_delay_alu instid0(VALU_DEP_2) | instskip(SKIP_1) | instid1(VALU_DEP_2)
	v_cndmask_b32_e32 v124, v124, v38, vcc_lo
	v_cmp_eq_u32_e32 vcc_lo, 5, v0
	;; [unrolled: 5-line block ×13, first 2 shown]
	v_cndmask_b32_e32 v124, v124, v61, vcc_lo
	v_cmp_eq_u32_e32 vcc_lo, 28, v0
	s_delay_alu instid0(VALU_DEP_2) | instskip(SKIP_1) | instid1(VALU_DEP_1)
	v_cndmask_b32_e32 v124, v124, v62, vcc_lo
	s_wait_dscnt 0x0
	v_mul_f32_e32 v128, v124, v125
	s_cbranch_execz .LBB28_405
	s_branch .LBB28_406
.LBB28_404:
                                        ; implicit-def: $vgpr128
.LBB28_405:
	ds_load_b32 v128, v127
.LBB28_406:
	s_and_saveexec_b32 s5, s0
	s_cbranch_execz .LBB28_416
; %bb.407:
	v_dual_add_nc_u32 v124, -3, v0 :: v_dual_add_nc_u32 v125, -2, v0
	s_delay_alu instid0(VALU_DEP_1)
	v_cmp_lt_u32_e32 vcc_lo, 6, v124
	v_mov_b32_e32 v124, 2
	s_and_saveexec_b32 s0, vcc_lo
	s_cbranch_execz .LBB28_411
; %bb.408:
	v_and_b32_e32 v124, -8, v125
	s_mov_b32 s6, 0
	s_mov_b64 s[2:3], 9
	s_movk_i32 s7, 0x88
	s_delay_alu instid0(VALU_DEP_1)
	v_sub_nc_u32_e32 v126, 0, v124
.LBB28_409:                             ; =>This Inner Loop Header: Depth=1
	s_add_co_i32 m0, s2, -7
	v_movrels_b32_e32 v129, v34
	v_mov_b32_e32 v124, s7
	s_add_co_i32 m0, s2, -6
	s_add_co_i32 s7, s7, 32
	v_movrels_b32_e32 v138, v34
	s_add_co_i32 m0, s2, -5
	ds_load_2addr_b64 v[130:133], v124 offset1:1
	ds_load_2addr_b64 v[134:137], v124 offset0:2 offset1:3
	v_movrels_b32_e32 v124, v34
	s_add_co_i32 m0, s2, -4
	s_wait_dscnt 0x1
	v_fmac_f32_e32 v128, v129, v130
	v_movrels_b32_e32 v129, v34
	s_add_co_i32 m0, s2, -3
	s_delay_alu instid0(VALU_DEP_2) | instskip(NEXT) | instid1(VALU_DEP_1)
	v_fmac_f32_e32 v128, v138, v131
	v_fmac_f32_e32 v128, v124, v132
	v_movrels_b32_e32 v124, v34
	s_add_co_i32 m0, s2, -2
	s_delay_alu instid0(VALU_DEP_2) | instskip(SKIP_3) | instid1(VALU_DEP_2)
	v_fmac_f32_e32 v128, v129, v133
	v_movrels_b32_e32 v129, v34
	s_add_co_i32 m0, s2, -1
	s_wait_dscnt 0x0
	v_fmac_f32_e32 v128, v124, v134
	v_movrels_b32_e32 v124, v34
	s_mov_b32 m0, s2
	s_add_nc_u64 s[2:3], s[2:3], 8
	v_movrels_b32_e32 v130, v34
	v_dual_fmac_f32 v128, v129, v135 :: v_dual_add_nc_u32 v129, s2, v126
	s_add_co_i32 s8, s2, -7
	s_delay_alu instid0(VALU_DEP_1) | instskip(NEXT) | instid1(VALU_DEP_2)
	v_fmac_f32_e32 v128, v124, v136
	v_cmp_eq_u32_e32 vcc_lo, 9, v129
	s_delay_alu instid0(VALU_DEP_2) | instskip(SKIP_1) | instid1(SALU_CYCLE_1)
	v_dual_mov_b32 v124, s8 :: v_dual_fmac_f32 v128, v130, v137
	s_or_b32 s6, vcc_lo, s6
	s_and_not1_b32 exec_lo, exec_lo, s6
	s_cbranch_execnz .LBB28_409
; %bb.410:
	s_or_b32 exec_lo, exec_lo, s6
.LBB28_411:
	s_delay_alu instid0(SALU_CYCLE_1) | instskip(SKIP_3) | instid1(VALU_DEP_1)
	s_or_b32 exec_lo, exec_lo, s0
	v_and_b32_e32 v63, 7, v125
	s_mov_b32 s2, 0
	s_mov_b32 s0, exec_lo
	v_cmpx_ne_u32_e32 0, v63
	s_cbranch_execz .LBB28_415
; %bb.412:
	v_lshl_add_u32 v64, v124, 2, 0x80
	v_mov_b32_e32 v125, 0
.LBB28_413:                             ; =>This Inner Loop Header: Depth=1
	v_cmp_eq_u32_e32 vcc_lo, 1, v124
	ds_load_b32 v126, v64
	v_dual_add_nc_u32 v64, 4, v64 :: v_dual_add_nc_u32 v63, -1, v63
	v_cndmask_b32_e32 v65, v34, v35, vcc_lo
	v_cmp_eq_u32_e32 vcc_lo, 2, v124
	s_delay_alu instid0(VALU_DEP_2) | instskip(SKIP_1) | instid1(VALU_DEP_2)
	v_cndmask_b32_e32 v65, v65, v36, vcc_lo
	v_cmp_eq_u32_e32 vcc_lo, 3, v124
	v_cndmask_b32_e32 v65, v65, v37, vcc_lo
	v_cmp_eq_u32_e32 vcc_lo, 4, v124
	s_delay_alu instid0(VALU_DEP_2) | instskip(SKIP_1) | instid1(VALU_DEP_2)
	v_cndmask_b32_e32 v65, v65, v38, vcc_lo
	v_cmp_eq_u32_e32 vcc_lo, 5, v124
	;; [unrolled: 5-line block ×13, first 2 shown]
	v_cndmask_b32_e32 v65, v65, v61, vcc_lo
	v_cmp_eq_u32_e32 vcc_lo, 28, v124
	v_add_nc_u64_e32 v[124:125], 1, v[124:125]
	s_delay_alu instid0(VALU_DEP_3) | instskip(SKIP_2) | instid1(VALU_DEP_2)
	v_cndmask_b32_e32 v65, v65, v62, vcc_lo
	v_cmp_eq_u32_e32 vcc_lo, 0, v63
	s_wait_dscnt 0x0
	v_fmac_f32_e32 v128, v65, v126
	s_or_b32 s2, vcc_lo, s2
	s_delay_alu instid0(SALU_CYCLE_1)
	s_and_not1_b32 exec_lo, exec_lo, s2
	s_cbranch_execnz .LBB28_413
; %bb.414:
	s_or_b32 exec_lo, exec_lo, s2
.LBB28_415:
	s_delay_alu instid0(SALU_CYCLE_1)
	s_or_b32 exec_lo, exec_lo, s0
.LBB28_416:
	s_delay_alu instid0(SALU_CYCLE_1)
	s_or_b32 exec_lo, exec_lo, s5
	v_mov_b32_e32 v35, 0
	ds_load_b32 v35, v35 offset:4
	s_wait_dscnt 0x0
	v_mul_f32_e32 v35, v128, v35
.LBB28_417:
	s_or_b32 exec_lo, exec_lo, s4
	s_mov_b32 s2, 0
	s_mov_b32 s3, exec_lo
	ds_store_b32 v127, v34
	s_wait_dscnt 0x0
	s_barrier_signal -1
	s_barrier_wait -1
	v_cmpx_ne_u32_e32 0, v0
	s_cbranch_execz .LBB28_433
; %bb.418:
	s_and_not1_b32 vcc_lo, exec_lo, s29
	s_cbranch_vccnz .LBB28_420
; %bb.419:
	v_cmp_eq_u32_e32 vcc_lo, 1, v0
	ds_load_b32 v125, v127
	v_cndmask_b32_e32 v124, v34, v35, vcc_lo
	v_cmp_eq_u32_e32 vcc_lo, 2, v0
	s_delay_alu instid0(VALU_DEP_2) | instskip(SKIP_1) | instid1(VALU_DEP_2)
	v_cndmask_b32_e32 v124, v124, v36, vcc_lo
	v_cmp_eq_u32_e32 vcc_lo, 3, v0
	v_cndmask_b32_e32 v124, v124, v37, vcc_lo
	v_cmp_eq_u32_e32 vcc_lo, 4, v0
	s_delay_alu instid0(VALU_DEP_2) | instskip(SKIP_1) | instid1(VALU_DEP_2)
	v_cndmask_b32_e32 v124, v124, v38, vcc_lo
	v_cmp_eq_u32_e32 vcc_lo, 5, v0
	;; [unrolled: 5-line block ×13, first 2 shown]
	v_cndmask_b32_e32 v124, v124, v61, vcc_lo
	v_cmp_eq_u32_e32 vcc_lo, 28, v0
	s_delay_alu instid0(VALU_DEP_2) | instskip(SKIP_1) | instid1(VALU_DEP_1)
	v_cndmask_b32_e32 v124, v124, v62, vcc_lo
	s_wait_dscnt 0x0
	v_mul_f32_e32 v128, v124, v125
	s_cbranch_execz .LBB28_421
	s_branch .LBB28_422
.LBB28_420:
                                        ; implicit-def: $vgpr128
.LBB28_421:
	ds_load_b32 v128, v127
.LBB28_422:
	s_and_saveexec_b32 s4, s1
	s_cbranch_execz .LBB28_432
; %bb.423:
	v_dual_add_nc_u32 v124, -2, v0 :: v_dual_add_nc_u32 v125, -1, v0
	s_delay_alu instid0(VALU_DEP_1)
	v_cmp_lt_u32_e32 vcc_lo, 6, v124
	v_mov_b32_e32 v124, 1
	s_and_saveexec_b32 s5, vcc_lo
	s_cbranch_execz .LBB28_427
; %bb.424:
	v_and_b32_e32 v124, -8, v125
	s_mov_b32 s6, 0
	s_mov_b64 s[0:1], 8
	s_movk_i32 s7, 0x84
	s_delay_alu instid0(VALU_DEP_1)
	v_sub_nc_u32_e32 v126, 0, v124
.LBB28_425:                             ; =>This Inner Loop Header: Depth=1
	s_add_co_i32 m0, s0, -7
	v_movrels_b32_e32 v129, v34
	v_mov_b32_e32 v124, s7
	s_add_co_i32 m0, s0, -6
	s_add_co_i32 s7, s7, 32
	v_movrels_b32_e32 v138, v34
	ds_load_2addr_b32 v[130:131], v124 offset1:1
	ds_load_2addr_b32 v[132:133], v124 offset0:2 offset1:3
	s_add_co_i32 m0, s0, -5
	s_wait_dscnt 0x1
	v_fmac_f32_e32 v128, v129, v130
	ds_load_2addr_b32 v[134:135], v124 offset0:4 offset1:5
	ds_load_2addr_b32 v[136:137], v124 offset0:6 offset1:7
	v_movrels_b32_e32 v124, v34
	s_add_co_i32 m0, s0, -4
	v_fmac_f32_e32 v128, v138, v131
	v_movrels_b32_e32 v129, v34
	s_add_co_i32 m0, s0, -3
	s_wait_dscnt 0x2
	s_delay_alu instid0(VALU_DEP_2) | instskip(SKIP_2) | instid1(VALU_DEP_2)
	v_fmac_f32_e32 v128, v124, v132
	v_movrels_b32_e32 v124, v34
	s_add_co_i32 m0, s0, -2
	v_fmac_f32_e32 v128, v129, v133
	v_movrels_b32_e32 v129, v34
	s_add_co_i32 m0, s0, -1
	s_wait_dscnt 0x1
	s_delay_alu instid0(VALU_DEP_2)
	v_fmac_f32_e32 v128, v124, v134
	v_movrels_b32_e32 v124, v34
	s_mov_b32 m0, s0
	s_add_nc_u64 s[0:1], s[0:1], 8
	v_movrels_b32_e32 v130, v34
	v_dual_fmac_f32 v128, v129, v135 :: v_dual_add_nc_u32 v129, s0, v126
	s_add_co_i32 s8, s0, -7
	s_wait_dscnt 0x0
	s_delay_alu instid0(VALU_DEP_1) | instskip(NEXT) | instid1(VALU_DEP_2)
	v_fmac_f32_e32 v128, v124, v136
	v_cmp_eq_u32_e32 vcc_lo, 8, v129
	s_delay_alu instid0(VALU_DEP_2) | instskip(SKIP_1) | instid1(SALU_CYCLE_1)
	v_dual_mov_b32 v124, s8 :: v_dual_fmac_f32 v128, v130, v137
	s_or_b32 s6, vcc_lo, s6
	s_and_not1_b32 exec_lo, exec_lo, s6
	s_cbranch_execnz .LBB28_425
; %bb.426:
	s_or_b32 exec_lo, exec_lo, s6
.LBB28_427:
	s_delay_alu instid0(SALU_CYCLE_1) | instskip(SKIP_3) | instid1(VALU_DEP_1)
	s_or_b32 exec_lo, exec_lo, s5
	v_and_b32_e32 v63, 7, v125
	s_mov_b32 s1, 0
	s_mov_b32 s0, exec_lo
	v_cmpx_ne_u32_e32 0, v63
	s_cbranch_execz .LBB28_431
; %bb.428:
	v_lshl_add_u32 v64, v124, 2, 0x80
	v_mov_b32_e32 v125, 0
.LBB28_429:                             ; =>This Inner Loop Header: Depth=1
	v_cmp_eq_u32_e32 vcc_lo, 1, v124
	ds_load_b32 v126, v64
	v_dual_add_nc_u32 v64, 4, v64 :: v_dual_add_nc_u32 v63, -1, v63
	v_cndmask_b32_e32 v65, v34, v35, vcc_lo
	v_cmp_eq_u32_e32 vcc_lo, 2, v124
	s_delay_alu instid0(VALU_DEP_2) | instskip(SKIP_1) | instid1(VALU_DEP_2)
	v_cndmask_b32_e32 v65, v65, v36, vcc_lo
	v_cmp_eq_u32_e32 vcc_lo, 3, v124
	v_cndmask_b32_e32 v65, v65, v37, vcc_lo
	v_cmp_eq_u32_e32 vcc_lo, 4, v124
	s_delay_alu instid0(VALU_DEP_2) | instskip(SKIP_1) | instid1(VALU_DEP_2)
	v_cndmask_b32_e32 v65, v65, v38, vcc_lo
	v_cmp_eq_u32_e32 vcc_lo, 5, v124
	;; [unrolled: 5-line block ×13, first 2 shown]
	v_cndmask_b32_e32 v65, v65, v61, vcc_lo
	v_cmp_eq_u32_e32 vcc_lo, 28, v124
	v_add_nc_u64_e32 v[124:125], 1, v[124:125]
	s_delay_alu instid0(VALU_DEP_3) | instskip(SKIP_2) | instid1(VALU_DEP_2)
	v_cndmask_b32_e32 v65, v65, v62, vcc_lo
	v_cmp_eq_u32_e32 vcc_lo, 0, v63
	s_wait_dscnt 0x0
	v_fmac_f32_e32 v128, v65, v126
	s_or_b32 s1, vcc_lo, s1
	s_delay_alu instid0(SALU_CYCLE_1)
	s_and_not1_b32 exec_lo, exec_lo, s1
	s_cbranch_execnz .LBB28_429
; %bb.430:
	s_or_b32 exec_lo, exec_lo, s1
.LBB28_431:
	s_delay_alu instid0(SALU_CYCLE_1)
	s_or_b32 exec_lo, exec_lo, s0
.LBB28_432:
	s_delay_alu instid0(SALU_CYCLE_1)
	s_or_b32 exec_lo, exec_lo, s4
	v_mov_b32_e32 v34, 0
	ds_load_b32 v34, v34
	s_wait_dscnt 0x0
	v_mul_f32_e32 v34, v128, v34
.LBB28_433:
	s_or_b32 exec_lo, exec_lo, s3
	s_delay_alu instid0(SALU_CYCLE_1)
	s_and_b32 vcc_lo, exec_lo, s2
	s_cbranch_vccz .LBB28_717
.LBB28_434:
	v_cmp_eq_u32_e64 s0, 0, v0
	s_wait_loadcnt 0x1c
	ds_store_b32 v127, v3
	s_wait_loadcnt_dscnt 0x0
	s_barrier_signal -1
	s_barrier_wait -1
	s_and_saveexec_b32 s1, s0
	s_cbranch_execz .LBB28_440
; %bb.435:
	s_and_b32 vcc_lo, exec_lo, s29
	s_cbranch_vccz .LBB28_437
; %bb.436:
	v_cmp_eq_u32_e32 vcc_lo, 1, v0
	ds_load_b32 v31, v127
	v_cndmask_b32_e32 v3, v2, v3, vcc_lo
	v_cmp_eq_u32_e32 vcc_lo, 2, v0
	s_delay_alu instid0(VALU_DEP_2) | instskip(SKIP_1) | instid1(VALU_DEP_2)
	v_cndmask_b32_e32 v3, v3, v4, vcc_lo
	v_cmp_eq_u32_e32 vcc_lo, 3, v0
	v_cndmask_b32_e32 v3, v3, v5, vcc_lo
	v_cmp_eq_u32_e32 vcc_lo, 4, v0
	s_delay_alu instid0(VALU_DEP_2) | instskip(SKIP_1) | instid1(VALU_DEP_2)
	v_cndmask_b32_e32 v3, v3, v6, vcc_lo
	v_cmp_eq_u32_e32 vcc_lo, 5, v0
	v_cndmask_b32_e32 v3, v3, v7, vcc_lo
	v_cmp_eq_u32_e32 vcc_lo, 6, v0
	s_delay_alu instid0(VALU_DEP_2) | instskip(SKIP_1) | instid1(VALU_DEP_2)
	v_cndmask_b32_e32 v3, v3, v8, vcc_lo
	v_cmp_eq_u32_e32 vcc_lo, 7, v0
	v_cndmask_b32_e32 v3, v3, v9, vcc_lo
	v_cmp_eq_u32_e32 vcc_lo, 8, v0
	s_delay_alu instid0(VALU_DEP_2) | instskip(SKIP_1) | instid1(VALU_DEP_2)
	v_cndmask_b32_e32 v3, v3, v10, vcc_lo
	v_cmp_eq_u32_e32 vcc_lo, 9, v0
	v_cndmask_b32_e32 v3, v3, v11, vcc_lo
	v_cmp_eq_u32_e32 vcc_lo, 10, v0
	s_delay_alu instid0(VALU_DEP_2) | instskip(SKIP_1) | instid1(VALU_DEP_2)
	v_cndmask_b32_e32 v3, v3, v12, vcc_lo
	v_cmp_eq_u32_e32 vcc_lo, 11, v0
	v_cndmask_b32_e32 v3, v3, v13, vcc_lo
	v_cmp_eq_u32_e32 vcc_lo, 12, v0
	s_delay_alu instid0(VALU_DEP_2) | instskip(SKIP_1) | instid1(VALU_DEP_2)
	v_cndmask_b32_e32 v3, v3, v14, vcc_lo
	v_cmp_eq_u32_e32 vcc_lo, 13, v0
	v_cndmask_b32_e32 v3, v3, v15, vcc_lo
	v_cmp_eq_u32_e32 vcc_lo, 14, v0
	s_delay_alu instid0(VALU_DEP_2) | instskip(SKIP_1) | instid1(VALU_DEP_2)
	v_cndmask_b32_e32 v3, v3, v16, vcc_lo
	v_cmp_eq_u32_e32 vcc_lo, 15, v0
	v_cndmask_b32_e32 v3, v3, v17, vcc_lo
	v_cmp_eq_u32_e32 vcc_lo, 16, v0
	s_delay_alu instid0(VALU_DEP_2) | instskip(SKIP_1) | instid1(VALU_DEP_2)
	v_cndmask_b32_e32 v3, v3, v18, vcc_lo
	v_cmp_eq_u32_e32 vcc_lo, 17, v0
	v_cndmask_b32_e32 v3, v3, v19, vcc_lo
	v_cmp_eq_u32_e32 vcc_lo, 18, v0
	s_delay_alu instid0(VALU_DEP_2) | instskip(SKIP_1) | instid1(VALU_DEP_2)
	v_cndmask_b32_e32 v3, v3, v20, vcc_lo
	v_cmp_eq_u32_e32 vcc_lo, 19, v0
	v_cndmask_b32_e32 v3, v3, v21, vcc_lo
	v_cmp_eq_u32_e32 vcc_lo, 20, v0
	s_delay_alu instid0(VALU_DEP_2) | instskip(SKIP_1) | instid1(VALU_DEP_2)
	v_cndmask_b32_e32 v3, v3, v22, vcc_lo
	v_cmp_eq_u32_e32 vcc_lo, 21, v0
	v_cndmask_b32_e32 v3, v3, v23, vcc_lo
	v_cmp_eq_u32_e32 vcc_lo, 22, v0
	s_delay_alu instid0(VALU_DEP_2) | instskip(SKIP_1) | instid1(VALU_DEP_2)
	v_cndmask_b32_e32 v3, v3, v24, vcc_lo
	v_cmp_eq_u32_e32 vcc_lo, 23, v0
	v_cndmask_b32_e32 v3, v3, v25, vcc_lo
	v_cmp_eq_u32_e32 vcc_lo, 24, v0
	s_delay_alu instid0(VALU_DEP_2) | instskip(SKIP_1) | instid1(VALU_DEP_2)
	v_cndmask_b32_e32 v3, v3, v26, vcc_lo
	v_cmp_eq_u32_e32 vcc_lo, 25, v0
	v_cndmask_b32_e32 v3, v3, v27, vcc_lo
	v_cmp_eq_u32_e32 vcc_lo, 26, v0
	s_delay_alu instid0(VALU_DEP_2) | instskip(SKIP_1) | instid1(VALU_DEP_2)
	v_cndmask_b32_e32 v3, v3, v28, vcc_lo
	v_cmp_eq_u32_e32 vcc_lo, 27, v0
	v_cndmask_b32_e32 v3, v3, v29, vcc_lo
	v_cmp_eq_u32_e32 vcc_lo, 28, v0
	s_delay_alu instid0(VALU_DEP_2) | instskip(SKIP_1) | instid1(VALU_DEP_1)
	v_cndmask_b32_e32 v3, v3, v30, vcc_lo
	s_wait_dscnt 0x0
	v_mul_f32_e32 v3, v3, v31
	s_cbranch_execz .LBB28_438
	s_branch .LBB28_439
.LBB28_437:
                                        ; implicit-def: $vgpr3
.LBB28_438:
	ds_load_b32 v3, v127
.LBB28_439:
	v_mov_b32_e32 v31, 0
	ds_load_b32 v31, v31 offset:4
	s_wait_dscnt 0x0
	v_mul_f32_e32 v3, v3, v31
.LBB28_440:
	s_or_b32 exec_lo, exec_lo, s1
	v_cndmask_b32_e64 v34, 0, 1, s29
	s_mov_b32 s1, exec_lo
	ds_store_b32 v127, v4
	s_wait_dscnt 0x0
	s_barrier_signal -1
	s_barrier_wait -1
	v_cmpx_gt_u32_e32 2, v0
	s_cbranch_execz .LBB28_446
; %bb.441:
	s_and_not1_b32 vcc_lo, exec_lo, s29
	s_cbranch_vccnz .LBB28_443
; %bb.442:
	v_cmp_eq_u32_e32 vcc_lo, 1, v0
	v_cndmask_b32_e32 v31, v2, v3, vcc_lo
	v_cmp_eq_u32_e32 vcc_lo, 2, v0
	s_delay_alu instid0(VALU_DEP_2) | instskip(SKIP_4) | instid1(VALU_DEP_2)
	v_cndmask_b32_e32 v4, v31, v4, vcc_lo
	v_cmp_eq_u32_e32 vcc_lo, 3, v0
	ds_load_b32 v31, v127
	v_cndmask_b32_e32 v4, v4, v5, vcc_lo
	v_cmp_eq_u32_e32 vcc_lo, 4, v0
	v_cndmask_b32_e32 v4, v4, v6, vcc_lo
	v_cmp_eq_u32_e32 vcc_lo, 5, v0
	s_delay_alu instid0(VALU_DEP_2) | instskip(SKIP_1) | instid1(VALU_DEP_2)
	v_cndmask_b32_e32 v4, v4, v7, vcc_lo
	v_cmp_eq_u32_e32 vcc_lo, 6, v0
	v_cndmask_b32_e32 v4, v4, v8, vcc_lo
	v_cmp_eq_u32_e32 vcc_lo, 7, v0
	s_delay_alu instid0(VALU_DEP_2) | instskip(SKIP_1) | instid1(VALU_DEP_2)
	;; [unrolled: 5-line block ×12, first 2 shown]
	v_cndmask_b32_e32 v4, v4, v29, vcc_lo
	v_cmp_eq_u32_e32 vcc_lo, 28, v0
	v_cndmask_b32_e32 v4, v4, v30, vcc_lo
	s_wait_dscnt 0x0
	s_delay_alu instid0(VALU_DEP_1)
	v_mul_f32_e32 v4, v4, v31
	s_cbranch_execz .LBB28_444
	s_branch .LBB28_445
.LBB28_443:
                                        ; implicit-def: $vgpr4
.LBB28_444:
	ds_load_b32 v4, v127
.LBB28_445:
	v_mov_b32_e32 v31, 0
	ds_load_2addr_b32 v[32:33], v31 offset0:2 offset1:33
	s_wait_dscnt 0x0
	v_fma_f32 v31, v3, v33, v4
	s_delay_alu instid0(VALU_DEP_1) | instskip(NEXT) | instid1(VALU_DEP_1)
	v_cndmask_b32_e64 v4, v4, v31, s0
	v_mul_f32_e32 v4, v4, v32
.LBB28_446:
	s_or_b32 exec_lo, exec_lo, s1
	v_add_nc_u32_e32 v35, 1, v0
	v_cmp_gt_u32_e64 s1, 3, v0
	ds_store_b32 v127, v5
	s_wait_dscnt 0x0
	s_barrier_signal -1
	s_barrier_wait -1
	s_and_saveexec_b32 s2, s1
	s_cbranch_execz .LBB28_454
; %bb.447:
	v_cmp_ne_u32_e32 vcc_lo, 1, v34
	s_cbranch_vccnz .LBB28_449
; %bb.448:
	v_cmp_eq_u32_e32 vcc_lo, 1, v0
	ds_load_b32 v32, v127
	v_cndmask_b32_e32 v31, v2, v3, vcc_lo
	v_cmp_eq_u32_e32 vcc_lo, 2, v0
	s_delay_alu instid0(VALU_DEP_2) | instskip(SKIP_1) | instid1(VALU_DEP_2)
	v_cndmask_b32_e32 v31, v31, v4, vcc_lo
	v_cmp_eq_u32_e32 vcc_lo, 3, v0
	v_cndmask_b32_e32 v31, v31, v5, vcc_lo
	v_cmp_eq_u32_e32 vcc_lo, 4, v0
	s_delay_alu instid0(VALU_DEP_2) | instskip(SKIP_1) | instid1(VALU_DEP_2)
	v_cndmask_b32_e32 v31, v31, v6, vcc_lo
	v_cmp_eq_u32_e32 vcc_lo, 5, v0
	;; [unrolled: 5-line block ×13, first 2 shown]
	v_cndmask_b32_e32 v31, v31, v29, vcc_lo
	v_cmp_eq_u32_e32 vcc_lo, 28, v0
	s_delay_alu instid0(VALU_DEP_2) | instskip(SKIP_1) | instid1(VALU_DEP_1)
	v_cndmask_b32_e32 v31, v31, v30, vcc_lo
	s_wait_dscnt 0x0
	v_mul_f32_e32 v31, v31, v32
	s_cbranch_execz .LBB28_450
	s_branch .LBB28_451
.LBB28_449:
                                        ; implicit-def: $vgpr31
.LBB28_450:
	ds_load_b32 v31, v127
.LBB28_451:
	s_mov_b32 s3, exec_lo
	v_cmpx_ne_u32_e32 2, v0
	s_cbranch_execz .LBB28_453
; %bb.452:
	v_cmp_eq_u32_e32 vcc_lo, 1, v35
	v_dual_mov_b32 v33, 0 :: v_dual_cndmask_b32 v32, v2, v3
	v_cmp_eq_u32_e32 vcc_lo, 2, v35
	ds_load_b32 v33, v33 offset:136
	v_cndmask_b32_e32 v32, v32, v4, vcc_lo
	v_cmp_eq_u32_e32 vcc_lo, 3, v35
	s_delay_alu instid0(VALU_DEP_2) | instskip(SKIP_4) | instid1(VALU_DEP_2)
	v_cndmask_b32_e32 v5, v32, v5, vcc_lo
	v_cmp_eq_u32_e32 vcc_lo, 4, v35
	ds_load_b32 v32, v127 offset:4
	v_cndmask_b32_e32 v5, v5, v6, vcc_lo
	v_cmp_eq_u32_e32 vcc_lo, 5, v35
	v_cndmask_b32_e32 v5, v5, v7, vcc_lo
	v_cmp_eq_u32_e32 vcc_lo, 6, v35
	s_delay_alu instid0(VALU_DEP_2) | instskip(SKIP_1) | instid1(VALU_DEP_2)
	v_cndmask_b32_e32 v5, v5, v8, vcc_lo
	v_cmp_eq_u32_e32 vcc_lo, 7, v35
	v_cndmask_b32_e32 v5, v5, v9, vcc_lo
	v_cmp_eq_u32_e32 vcc_lo, 8, v35
	s_delay_alu instid0(VALU_DEP_2) | instskip(SKIP_1) | instid1(VALU_DEP_2)
	;; [unrolled: 5-line block ×11, first 2 shown]
	v_cndmask_b32_e32 v5, v5, v28, vcc_lo
	v_cmp_eq_u32_e32 vcc_lo, 27, v35
	v_cndmask_b32_e32 v5, v5, v29, vcc_lo
	v_cmp_eq_u32_e32 vcc_lo, 28, v35
	s_delay_alu instid0(VALU_DEP_2) | instskip(SKIP_1) | instid1(VALU_DEP_1)
	v_cndmask_b32_e32 v5, v5, v30, vcc_lo
	s_wait_dscnt 0x0
	v_fmac_f32_e32 v31, v5, v32
	s_delay_alu instid0(VALU_DEP_1) | instskip(NEXT) | instid1(VALU_DEP_1)
	v_fma_f32 v5, v4, v33, v31
	v_cndmask_b32_e64 v31, v31, v5, s0
.LBB28_453:
	s_or_b32 exec_lo, exec_lo, s3
	v_mov_b32_e32 v5, 0
	ds_load_b32 v5, v5 offset:12
	s_wait_dscnt 0x0
	v_mul_f32_e32 v5, v31, v5
.LBB28_454:
	s_or_b32 exec_lo, exec_lo, s2
	s_delay_alu instid0(SALU_CYCLE_1)
	s_mov_b32 s2, exec_lo
	ds_store_b32 v127, v6
	s_wait_dscnt 0x0
	s_barrier_signal -1
	s_barrier_wait -1
	v_cmpx_gt_u32_e32 4, v0
	s_cbranch_execz .LBB28_464
; %bb.455:
	v_cmp_ne_u32_e32 vcc_lo, 1, v34
	s_cbranch_vccnz .LBB28_457
; %bb.456:
	v_cmp_eq_u32_e32 vcc_lo, 1, v0
	ds_load_b32 v32, v127
	v_cndmask_b32_e32 v31, v2, v3, vcc_lo
	v_cmp_eq_u32_e32 vcc_lo, 2, v0
	s_delay_alu instid0(VALU_DEP_2) | instskip(SKIP_1) | instid1(VALU_DEP_2)
	v_cndmask_b32_e32 v31, v31, v4, vcc_lo
	v_cmp_eq_u32_e32 vcc_lo, 3, v0
	v_cndmask_b32_e32 v31, v31, v5, vcc_lo
	v_cmp_eq_u32_e32 vcc_lo, 4, v0
	s_delay_alu instid0(VALU_DEP_2) | instskip(SKIP_1) | instid1(VALU_DEP_2)
	v_cndmask_b32_e32 v31, v31, v6, vcc_lo
	v_cmp_eq_u32_e32 vcc_lo, 5, v0
	;; [unrolled: 5-line block ×13, first 2 shown]
	v_cndmask_b32_e32 v31, v31, v29, vcc_lo
	v_cmp_eq_u32_e32 vcc_lo, 28, v0
	s_delay_alu instid0(VALU_DEP_2) | instskip(SKIP_1) | instid1(VALU_DEP_1)
	v_cndmask_b32_e32 v31, v31, v30, vcc_lo
	s_wait_dscnt 0x0
	v_mul_f32_e32 v31, v31, v32
	s_cbranch_execz .LBB28_458
	s_branch .LBB28_459
.LBB28_457:
                                        ; implicit-def: $vgpr31
.LBB28_458:
	ds_load_b32 v31, v127
.LBB28_459:
	s_mov_b32 s3, exec_lo
	v_cmpx_ne_u32_e32 3, v0
	s_cbranch_execz .LBB28_463
; %bb.460:
	v_mov_b64_e32 v[32:33], v[0:1]
	v_lshl_add_u32 v36, v0, 2, 0x84
	s_mov_b32 s4, 0
.LBB28_461:                             ; =>This Inner Loop Header: Depth=1
	s_delay_alu instid0(VALU_DEP_2)
	v_add_nc_u64_e32 v[32:33], 1, v[32:33]
	ds_load_b32 v38, v36
	v_add_nc_u32_e32 v36, 4, v36
	v_cmp_eq_u32_e32 vcc_lo, 1, v32
	v_cndmask_b32_e32 v37, v2, v3, vcc_lo
	v_cmp_eq_u32_e32 vcc_lo, 2, v32
	s_delay_alu instid0(VALU_DEP_2) | instskip(SKIP_1) | instid1(VALU_DEP_2)
	v_cndmask_b32_e32 v37, v37, v4, vcc_lo
	v_cmp_eq_u32_e32 vcc_lo, 3, v32
	v_cndmask_b32_e32 v37, v37, v5, vcc_lo
	v_cmp_eq_u32_e32 vcc_lo, 4, v32
	s_delay_alu instid0(VALU_DEP_2) | instskip(SKIP_1) | instid1(VALU_DEP_2)
	v_cndmask_b32_e32 v37, v37, v6, vcc_lo
	;; [unrolled: 5-line block ×13, first 2 shown]
	v_cmp_eq_u32_e32 vcc_lo, 27, v32
	v_cndmask_b32_e32 v37, v37, v29, vcc_lo
	v_cmp_eq_u32_e32 vcc_lo, 28, v32
	s_delay_alu instid0(VALU_DEP_2) | instskip(SKIP_2) | instid1(VALU_DEP_2)
	v_cndmask_b32_e32 v37, v37, v30, vcc_lo
	v_cmp_lt_u32_e32 vcc_lo, 2, v32
	s_wait_dscnt 0x0
	v_fmac_f32_e32 v31, v37, v38
	s_or_b32 s4, vcc_lo, s4
	s_delay_alu instid0(SALU_CYCLE_1)
	s_and_not1_b32 exec_lo, exec_lo, s4
	s_cbranch_execnz .LBB28_461
; %bb.462:
	s_or_b32 exec_lo, exec_lo, s4
.LBB28_463:
	s_delay_alu instid0(SALU_CYCLE_1)
	s_or_b32 exec_lo, exec_lo, s3
	v_mov_b32_e32 v6, 0
	ds_load_b32 v6, v6 offset:16
	s_wait_dscnt 0x0
	v_mul_f32_e32 v6, v31, v6
.LBB28_464:
	s_or_b32 exec_lo, exec_lo, s2
	v_cmp_gt_u32_e64 s2, 5, v0
	ds_store_b32 v127, v7
	s_wait_dscnt 0x0
	s_barrier_signal -1
	s_barrier_wait -1
	s_and_saveexec_b32 s3, s2
	s_cbranch_execz .LBB28_474
; %bb.465:
	v_cmp_ne_u32_e32 vcc_lo, 1, v34
	s_cbranch_vccnz .LBB28_467
; %bb.466:
	v_cmp_eq_u32_e32 vcc_lo, 1, v0
	ds_load_b32 v32, v127
	v_cndmask_b32_e32 v31, v2, v3, vcc_lo
	v_cmp_eq_u32_e32 vcc_lo, 2, v0
	s_delay_alu instid0(VALU_DEP_2) | instskip(SKIP_1) | instid1(VALU_DEP_2)
	v_cndmask_b32_e32 v31, v31, v4, vcc_lo
	v_cmp_eq_u32_e32 vcc_lo, 3, v0
	v_cndmask_b32_e32 v31, v31, v5, vcc_lo
	v_cmp_eq_u32_e32 vcc_lo, 4, v0
	s_delay_alu instid0(VALU_DEP_2) | instskip(SKIP_1) | instid1(VALU_DEP_2)
	v_cndmask_b32_e32 v31, v31, v6, vcc_lo
	v_cmp_eq_u32_e32 vcc_lo, 5, v0
	;; [unrolled: 5-line block ×13, first 2 shown]
	v_cndmask_b32_e32 v31, v31, v29, vcc_lo
	v_cmp_eq_u32_e32 vcc_lo, 28, v0
	s_delay_alu instid0(VALU_DEP_2) | instskip(SKIP_1) | instid1(VALU_DEP_1)
	v_cndmask_b32_e32 v31, v31, v30, vcc_lo
	s_wait_dscnt 0x0
	v_mul_f32_e32 v31, v31, v32
	s_cbranch_execz .LBB28_468
	s_branch .LBB28_469
.LBB28_467:
                                        ; implicit-def: $vgpr31
.LBB28_468:
	ds_load_b32 v31, v127
.LBB28_469:
	s_mov_b32 s4, exec_lo
	v_cmpx_ne_u32_e32 4, v0
	s_cbranch_execz .LBB28_473
; %bb.470:
	v_mov_b64_e32 v[32:33], v[0:1]
	v_lshl_add_u32 v36, v0, 2, 0x84
	s_mov_b32 s5, 0
.LBB28_471:                             ; =>This Inner Loop Header: Depth=1
	s_delay_alu instid0(VALU_DEP_2)
	v_add_nc_u64_e32 v[32:33], 1, v[32:33]
	ds_load_b32 v38, v36
	v_add_nc_u32_e32 v36, 4, v36
	v_cmp_eq_u32_e32 vcc_lo, 1, v32
	v_cndmask_b32_e32 v37, v2, v3, vcc_lo
	v_cmp_eq_u32_e32 vcc_lo, 2, v32
	s_delay_alu instid0(VALU_DEP_2) | instskip(SKIP_1) | instid1(VALU_DEP_2)
	v_cndmask_b32_e32 v37, v37, v4, vcc_lo
	v_cmp_eq_u32_e32 vcc_lo, 3, v32
	v_cndmask_b32_e32 v37, v37, v5, vcc_lo
	v_cmp_eq_u32_e32 vcc_lo, 4, v32
	s_delay_alu instid0(VALU_DEP_2) | instskip(SKIP_1) | instid1(VALU_DEP_2)
	v_cndmask_b32_e32 v37, v37, v6, vcc_lo
	;; [unrolled: 5-line block ×13, first 2 shown]
	v_cmp_eq_u32_e32 vcc_lo, 27, v32
	v_cndmask_b32_e32 v37, v37, v29, vcc_lo
	v_cmp_eq_u32_e32 vcc_lo, 28, v32
	s_delay_alu instid0(VALU_DEP_2) | instskip(SKIP_2) | instid1(VALU_DEP_2)
	v_cndmask_b32_e32 v37, v37, v30, vcc_lo
	v_cmp_lt_u32_e32 vcc_lo, 3, v32
	s_wait_dscnt 0x0
	v_fmac_f32_e32 v31, v37, v38
	s_or_b32 s5, vcc_lo, s5
	s_delay_alu instid0(SALU_CYCLE_1)
	s_and_not1_b32 exec_lo, exec_lo, s5
	s_cbranch_execnz .LBB28_471
; %bb.472:
	s_or_b32 exec_lo, exec_lo, s5
.LBB28_473:
	s_delay_alu instid0(SALU_CYCLE_1)
	s_or_b32 exec_lo, exec_lo, s4
	v_mov_b32_e32 v7, 0
	ds_load_b32 v7, v7 offset:20
	s_wait_dscnt 0x0
	v_mul_f32_e32 v7, v31, v7
.LBB28_474:
	s_or_b32 exec_lo, exec_lo, s3
	s_delay_alu instid0(SALU_CYCLE_1)
	s_mov_b32 s3, exec_lo
	ds_store_b32 v127, v8
	s_wait_dscnt 0x0
	s_barrier_signal -1
	s_barrier_wait -1
	v_cmpx_gt_u32_e32 6, v0
	s_cbranch_execz .LBB28_484
; %bb.475:
	v_cmp_ne_u32_e32 vcc_lo, 1, v34
	s_cbranch_vccnz .LBB28_477
; %bb.476:
	v_cmp_eq_u32_e32 vcc_lo, 1, v0
	ds_load_b32 v32, v127
	v_cndmask_b32_e32 v31, v2, v3, vcc_lo
	v_cmp_eq_u32_e32 vcc_lo, 2, v0
	s_delay_alu instid0(VALU_DEP_2) | instskip(SKIP_1) | instid1(VALU_DEP_2)
	v_cndmask_b32_e32 v31, v31, v4, vcc_lo
	v_cmp_eq_u32_e32 vcc_lo, 3, v0
	v_cndmask_b32_e32 v31, v31, v5, vcc_lo
	v_cmp_eq_u32_e32 vcc_lo, 4, v0
	s_delay_alu instid0(VALU_DEP_2) | instskip(SKIP_1) | instid1(VALU_DEP_2)
	v_cndmask_b32_e32 v31, v31, v6, vcc_lo
	v_cmp_eq_u32_e32 vcc_lo, 5, v0
	;; [unrolled: 5-line block ×13, first 2 shown]
	v_cndmask_b32_e32 v31, v31, v29, vcc_lo
	v_cmp_eq_u32_e32 vcc_lo, 28, v0
	s_delay_alu instid0(VALU_DEP_2) | instskip(SKIP_1) | instid1(VALU_DEP_1)
	v_cndmask_b32_e32 v31, v31, v30, vcc_lo
	s_wait_dscnt 0x0
	v_mul_f32_e32 v31, v31, v32
	s_cbranch_execz .LBB28_478
	s_branch .LBB28_479
.LBB28_477:
                                        ; implicit-def: $vgpr31
.LBB28_478:
	ds_load_b32 v31, v127
.LBB28_479:
	s_mov_b32 s4, exec_lo
	v_cmpx_ne_u32_e32 5, v0
	s_cbranch_execz .LBB28_483
; %bb.480:
	v_mov_b64_e32 v[32:33], v[0:1]
	v_lshl_add_u32 v36, v0, 2, 0x84
	s_mov_b32 s5, 0
.LBB28_481:                             ; =>This Inner Loop Header: Depth=1
	s_delay_alu instid0(VALU_DEP_2)
	v_add_nc_u64_e32 v[32:33], 1, v[32:33]
	ds_load_b32 v38, v36
	v_add_nc_u32_e32 v36, 4, v36
	v_cmp_eq_u32_e32 vcc_lo, 1, v32
	v_cndmask_b32_e32 v37, v2, v3, vcc_lo
	v_cmp_eq_u32_e32 vcc_lo, 2, v32
	s_delay_alu instid0(VALU_DEP_2) | instskip(SKIP_1) | instid1(VALU_DEP_2)
	v_cndmask_b32_e32 v37, v37, v4, vcc_lo
	v_cmp_eq_u32_e32 vcc_lo, 3, v32
	v_cndmask_b32_e32 v37, v37, v5, vcc_lo
	v_cmp_eq_u32_e32 vcc_lo, 4, v32
	s_delay_alu instid0(VALU_DEP_2) | instskip(SKIP_1) | instid1(VALU_DEP_2)
	v_cndmask_b32_e32 v37, v37, v6, vcc_lo
	;; [unrolled: 5-line block ×13, first 2 shown]
	v_cmp_eq_u32_e32 vcc_lo, 27, v32
	v_cndmask_b32_e32 v37, v37, v29, vcc_lo
	v_cmp_eq_u32_e32 vcc_lo, 28, v32
	s_delay_alu instid0(VALU_DEP_2) | instskip(SKIP_2) | instid1(VALU_DEP_2)
	v_cndmask_b32_e32 v37, v37, v30, vcc_lo
	v_cmp_lt_u32_e32 vcc_lo, 4, v32
	s_wait_dscnt 0x0
	v_fmac_f32_e32 v31, v37, v38
	s_or_b32 s5, vcc_lo, s5
	s_delay_alu instid0(SALU_CYCLE_1)
	s_and_not1_b32 exec_lo, exec_lo, s5
	s_cbranch_execnz .LBB28_481
; %bb.482:
	s_or_b32 exec_lo, exec_lo, s5
.LBB28_483:
	s_delay_alu instid0(SALU_CYCLE_1)
	s_or_b32 exec_lo, exec_lo, s4
	v_mov_b32_e32 v8, 0
	ds_load_b32 v8, v8 offset:24
	s_wait_dscnt 0x0
	v_mul_f32_e32 v8, v31, v8
.LBB28_484:
	s_or_b32 exec_lo, exec_lo, s3
	v_cmp_gt_u32_e64 s3, 7, v0
	ds_store_b32 v127, v9
	s_wait_dscnt 0x0
	s_barrier_signal -1
	s_barrier_wait -1
	s_and_saveexec_b32 s4, s3
	s_cbranch_execz .LBB28_494
; %bb.485:
	v_cmp_ne_u32_e32 vcc_lo, 1, v34
	s_cbranch_vccnz .LBB28_487
; %bb.486:
	v_cmp_eq_u32_e32 vcc_lo, 1, v0
	ds_load_b32 v32, v127
	v_cndmask_b32_e32 v31, v2, v3, vcc_lo
	v_cmp_eq_u32_e32 vcc_lo, 2, v0
	s_delay_alu instid0(VALU_DEP_2) | instskip(SKIP_1) | instid1(VALU_DEP_2)
	v_cndmask_b32_e32 v31, v31, v4, vcc_lo
	v_cmp_eq_u32_e32 vcc_lo, 3, v0
	v_cndmask_b32_e32 v31, v31, v5, vcc_lo
	v_cmp_eq_u32_e32 vcc_lo, 4, v0
	s_delay_alu instid0(VALU_DEP_2) | instskip(SKIP_1) | instid1(VALU_DEP_2)
	v_cndmask_b32_e32 v31, v31, v6, vcc_lo
	v_cmp_eq_u32_e32 vcc_lo, 5, v0
	;; [unrolled: 5-line block ×13, first 2 shown]
	v_cndmask_b32_e32 v31, v31, v29, vcc_lo
	v_cmp_eq_u32_e32 vcc_lo, 28, v0
	s_delay_alu instid0(VALU_DEP_2) | instskip(SKIP_1) | instid1(VALU_DEP_1)
	v_cndmask_b32_e32 v31, v31, v30, vcc_lo
	s_wait_dscnt 0x0
	v_mul_f32_e32 v31, v31, v32
	s_cbranch_execz .LBB28_488
	s_branch .LBB28_489
.LBB28_487:
                                        ; implicit-def: $vgpr31
.LBB28_488:
	ds_load_b32 v31, v127
.LBB28_489:
	s_mov_b32 s5, exec_lo
	v_cmpx_ne_u32_e32 6, v0
	s_cbranch_execz .LBB28_493
; %bb.490:
	v_mov_b64_e32 v[32:33], v[0:1]
	v_lshl_add_u32 v36, v0, 2, 0x84
	s_mov_b32 s6, 0
.LBB28_491:                             ; =>This Inner Loop Header: Depth=1
	s_delay_alu instid0(VALU_DEP_2)
	v_add_nc_u64_e32 v[32:33], 1, v[32:33]
	ds_load_b32 v38, v36
	v_add_nc_u32_e32 v36, 4, v36
	v_cmp_eq_u32_e32 vcc_lo, 1, v32
	v_cndmask_b32_e32 v37, v2, v3, vcc_lo
	v_cmp_eq_u32_e32 vcc_lo, 2, v32
	s_delay_alu instid0(VALU_DEP_2) | instskip(SKIP_1) | instid1(VALU_DEP_2)
	v_cndmask_b32_e32 v37, v37, v4, vcc_lo
	v_cmp_eq_u32_e32 vcc_lo, 3, v32
	v_cndmask_b32_e32 v37, v37, v5, vcc_lo
	v_cmp_eq_u32_e32 vcc_lo, 4, v32
	s_delay_alu instid0(VALU_DEP_2) | instskip(SKIP_1) | instid1(VALU_DEP_2)
	v_cndmask_b32_e32 v37, v37, v6, vcc_lo
	;; [unrolled: 5-line block ×13, first 2 shown]
	v_cmp_eq_u32_e32 vcc_lo, 27, v32
	v_cndmask_b32_e32 v37, v37, v29, vcc_lo
	v_cmp_eq_u32_e32 vcc_lo, 28, v32
	s_delay_alu instid0(VALU_DEP_2) | instskip(SKIP_2) | instid1(VALU_DEP_2)
	v_cndmask_b32_e32 v37, v37, v30, vcc_lo
	v_cmp_lt_u32_e32 vcc_lo, 5, v32
	s_wait_dscnt 0x0
	v_fmac_f32_e32 v31, v37, v38
	s_or_b32 s6, vcc_lo, s6
	s_delay_alu instid0(SALU_CYCLE_1)
	s_and_not1_b32 exec_lo, exec_lo, s6
	s_cbranch_execnz .LBB28_491
; %bb.492:
	s_or_b32 exec_lo, exec_lo, s6
.LBB28_493:
	s_delay_alu instid0(SALU_CYCLE_1)
	s_or_b32 exec_lo, exec_lo, s5
	v_mov_b32_e32 v9, 0
	ds_load_b32 v9, v9 offset:28
	s_wait_dscnt 0x0
	v_mul_f32_e32 v9, v31, v9
.LBB28_494:
	s_or_b32 exec_lo, exec_lo, s4
	s_delay_alu instid0(SALU_CYCLE_1)
	s_mov_b32 s4, exec_lo
	ds_store_b32 v127, v10
	s_wait_dscnt 0x0
	s_barrier_signal -1
	s_barrier_wait -1
	v_cmpx_gt_u32_e32 8, v0
	s_cbranch_execz .LBB28_504
; %bb.495:
	v_cmp_ne_u32_e32 vcc_lo, 1, v34
	s_cbranch_vccnz .LBB28_497
; %bb.496:
	v_cmp_eq_u32_e32 vcc_lo, 1, v0
	ds_load_b32 v32, v127
	v_cndmask_b32_e32 v31, v2, v3, vcc_lo
	v_cmp_eq_u32_e32 vcc_lo, 2, v0
	s_delay_alu instid0(VALU_DEP_2) | instskip(SKIP_1) | instid1(VALU_DEP_2)
	v_cndmask_b32_e32 v31, v31, v4, vcc_lo
	v_cmp_eq_u32_e32 vcc_lo, 3, v0
	v_cndmask_b32_e32 v31, v31, v5, vcc_lo
	v_cmp_eq_u32_e32 vcc_lo, 4, v0
	s_delay_alu instid0(VALU_DEP_2) | instskip(SKIP_1) | instid1(VALU_DEP_2)
	v_cndmask_b32_e32 v31, v31, v6, vcc_lo
	v_cmp_eq_u32_e32 vcc_lo, 5, v0
	;; [unrolled: 5-line block ×13, first 2 shown]
	v_cndmask_b32_e32 v31, v31, v29, vcc_lo
	v_cmp_eq_u32_e32 vcc_lo, 28, v0
	s_delay_alu instid0(VALU_DEP_2) | instskip(SKIP_1) | instid1(VALU_DEP_1)
	v_cndmask_b32_e32 v31, v31, v30, vcc_lo
	s_wait_dscnt 0x0
	v_mul_f32_e32 v31, v31, v32
	s_cbranch_execz .LBB28_498
	s_branch .LBB28_499
.LBB28_497:
                                        ; implicit-def: $vgpr31
.LBB28_498:
	ds_load_b32 v31, v127
.LBB28_499:
	s_mov_b32 s5, exec_lo
	v_cmpx_ne_u32_e32 7, v0
	s_cbranch_execz .LBB28_503
; %bb.500:
	v_mov_b64_e32 v[32:33], v[0:1]
	v_lshl_add_u32 v36, v0, 2, 0x84
	s_mov_b32 s6, 0
.LBB28_501:                             ; =>This Inner Loop Header: Depth=1
	s_delay_alu instid0(VALU_DEP_2)
	v_add_nc_u64_e32 v[32:33], 1, v[32:33]
	ds_load_b32 v38, v36
	v_add_nc_u32_e32 v36, 4, v36
	v_cmp_eq_u32_e32 vcc_lo, 1, v32
	v_cndmask_b32_e32 v37, v2, v3, vcc_lo
	v_cmp_eq_u32_e32 vcc_lo, 2, v32
	s_delay_alu instid0(VALU_DEP_2) | instskip(SKIP_1) | instid1(VALU_DEP_2)
	v_cndmask_b32_e32 v37, v37, v4, vcc_lo
	v_cmp_eq_u32_e32 vcc_lo, 3, v32
	v_cndmask_b32_e32 v37, v37, v5, vcc_lo
	v_cmp_eq_u32_e32 vcc_lo, 4, v32
	s_delay_alu instid0(VALU_DEP_2) | instskip(SKIP_1) | instid1(VALU_DEP_2)
	v_cndmask_b32_e32 v37, v37, v6, vcc_lo
	;; [unrolled: 5-line block ×13, first 2 shown]
	v_cmp_eq_u32_e32 vcc_lo, 27, v32
	v_cndmask_b32_e32 v37, v37, v29, vcc_lo
	v_cmp_eq_u32_e32 vcc_lo, 28, v32
	s_delay_alu instid0(VALU_DEP_2) | instskip(SKIP_2) | instid1(VALU_DEP_2)
	v_cndmask_b32_e32 v37, v37, v30, vcc_lo
	v_cmp_lt_u32_e32 vcc_lo, 6, v32
	s_wait_dscnt 0x0
	v_fmac_f32_e32 v31, v37, v38
	s_or_b32 s6, vcc_lo, s6
	s_delay_alu instid0(SALU_CYCLE_1)
	s_and_not1_b32 exec_lo, exec_lo, s6
	s_cbranch_execnz .LBB28_501
; %bb.502:
	s_or_b32 exec_lo, exec_lo, s6
.LBB28_503:
	s_delay_alu instid0(SALU_CYCLE_1)
	s_or_b32 exec_lo, exec_lo, s5
	v_mov_b32_e32 v10, 0
	ds_load_b32 v10, v10 offset:32
	s_wait_dscnt 0x0
	v_mul_f32_e32 v10, v31, v10
.LBB28_504:
	s_or_b32 exec_lo, exec_lo, s4
	s_delay_alu instid0(SALU_CYCLE_1)
	s_mov_b32 s4, exec_lo
	ds_store_b32 v127, v11
	s_wait_dscnt 0x0
	s_barrier_signal -1
	s_barrier_wait -1
	v_cmpx_gt_u32_e32 9, v0
	s_cbranch_execz .LBB28_526
; %bb.505:
	v_cmp_ne_u32_e32 vcc_lo, 1, v34
	s_cbranch_vccnz .LBB28_507
; %bb.506:
	v_cmp_eq_u32_e32 vcc_lo, 1, v0
	ds_load_b32 v32, v127
	v_cndmask_b32_e32 v31, v2, v3, vcc_lo
	v_cmp_eq_u32_e32 vcc_lo, 2, v0
	s_delay_alu instid0(VALU_DEP_2) | instskip(SKIP_1) | instid1(VALU_DEP_2)
	v_cndmask_b32_e32 v31, v31, v4, vcc_lo
	v_cmp_eq_u32_e32 vcc_lo, 3, v0
	v_cndmask_b32_e32 v31, v31, v5, vcc_lo
	v_cmp_eq_u32_e32 vcc_lo, 4, v0
	s_delay_alu instid0(VALU_DEP_2) | instskip(SKIP_1) | instid1(VALU_DEP_2)
	v_cndmask_b32_e32 v31, v31, v6, vcc_lo
	v_cmp_eq_u32_e32 vcc_lo, 5, v0
	;; [unrolled: 5-line block ×13, first 2 shown]
	v_cndmask_b32_e32 v31, v31, v29, vcc_lo
	v_cmp_eq_u32_e32 vcc_lo, 28, v0
	s_delay_alu instid0(VALU_DEP_2) | instskip(SKIP_1) | instid1(VALU_DEP_1)
	v_cndmask_b32_e32 v31, v31, v30, vcc_lo
	s_wait_dscnt 0x0
	v_mul_f32_e32 v31, v31, v32
	s_cbranch_execz .LBB28_508
	s_branch .LBB28_509
.LBB28_507:
                                        ; implicit-def: $vgpr31
.LBB28_508:
	ds_load_b32 v31, v127
.LBB28_509:
	s_mov_b32 s5, exec_lo
	v_cmpx_ne_u32_e32 8, v0
	s_cbranch_execz .LBB28_525
; %bb.510:
	v_cmp_eq_u32_e32 vcc_lo, 1, v35
	ds_load_b32 v33, v127 offset:4
	v_cndmask_b32_e32 v32, v2, v3, vcc_lo
	v_cmp_eq_u32_e32 vcc_lo, 2, v35
	s_delay_alu instid0(VALU_DEP_2) | instskip(SKIP_1) | instid1(VALU_DEP_2)
	v_cndmask_b32_e32 v32, v32, v4, vcc_lo
	v_cmp_eq_u32_e32 vcc_lo, 3, v35
	v_cndmask_b32_e32 v32, v32, v5, vcc_lo
	v_cmp_eq_u32_e32 vcc_lo, 4, v35
	s_delay_alu instid0(VALU_DEP_2) | instskip(SKIP_1) | instid1(VALU_DEP_2)
	v_cndmask_b32_e32 v32, v32, v6, vcc_lo
	v_cmp_eq_u32_e32 vcc_lo, 5, v35
	;; [unrolled: 5-line block ×13, first 2 shown]
	v_cndmask_b32_e32 v32, v32, v29, vcc_lo
	v_cmp_eq_u32_e32 vcc_lo, 28, v35
	s_delay_alu instid0(VALU_DEP_2) | instskip(SKIP_1) | instid1(VALU_DEP_1)
	v_cndmask_b32_e32 v32, v32, v30, vcc_lo
	s_wait_dscnt 0x0
	v_fmac_f32_e32 v31, v32, v33
	s_and_saveexec_b32 s6, s3
	s_cbranch_execz .LBB28_524
; %bb.511:
	v_add_nc_u32_e32 v32, 2, v0
	ds_load_b32 v35, v127 offset:8
	s_mov_b32 s3, exec_lo
	v_cmp_eq_u32_e32 vcc_lo, 1, v32
	v_cndmask_b32_e32 v33, v2, v3, vcc_lo
	v_cmp_eq_u32_e32 vcc_lo, 2, v32
	s_delay_alu instid0(VALU_DEP_2) | instskip(SKIP_1) | instid1(VALU_DEP_2)
	v_cndmask_b32_e32 v33, v33, v4, vcc_lo
	v_cmp_eq_u32_e32 vcc_lo, 3, v32
	v_cndmask_b32_e32 v33, v33, v5, vcc_lo
	v_cmp_eq_u32_e32 vcc_lo, 4, v32
	s_delay_alu instid0(VALU_DEP_2) | instskip(SKIP_1) | instid1(VALU_DEP_2)
	v_cndmask_b32_e32 v33, v33, v6, vcc_lo
	v_cmp_eq_u32_e32 vcc_lo, 5, v32
	v_cndmask_b32_e32 v33, v33, v7, vcc_lo
	v_cmp_eq_u32_e32 vcc_lo, 6, v32
	s_delay_alu instid0(VALU_DEP_2) | instskip(SKIP_1) | instid1(VALU_DEP_2)
	v_cndmask_b32_e32 v33, v33, v8, vcc_lo
	v_cmp_eq_u32_e32 vcc_lo, 7, v32
	v_cndmask_b32_e32 v33, v33, v9, vcc_lo
	v_cmp_eq_u32_e32 vcc_lo, 8, v32
	s_delay_alu instid0(VALU_DEP_2) | instskip(SKIP_1) | instid1(VALU_DEP_2)
	v_cndmask_b32_e32 v33, v33, v10, vcc_lo
	v_cmp_eq_u32_e32 vcc_lo, 9, v32
	v_cndmask_b32_e32 v33, v33, v11, vcc_lo
	v_cmp_eq_u32_e32 vcc_lo, 10, v32
	s_delay_alu instid0(VALU_DEP_2) | instskip(SKIP_1) | instid1(VALU_DEP_2)
	v_cndmask_b32_e32 v33, v33, v12, vcc_lo
	v_cmp_eq_u32_e32 vcc_lo, 11, v32
	v_cndmask_b32_e32 v33, v33, v13, vcc_lo
	v_cmp_eq_u32_e32 vcc_lo, 12, v32
	s_delay_alu instid0(VALU_DEP_2) | instskip(SKIP_1) | instid1(VALU_DEP_2)
	v_cndmask_b32_e32 v33, v33, v14, vcc_lo
	v_cmp_eq_u32_e32 vcc_lo, 13, v32
	v_cndmask_b32_e32 v33, v33, v15, vcc_lo
	v_cmp_eq_u32_e32 vcc_lo, 14, v32
	s_delay_alu instid0(VALU_DEP_2) | instskip(SKIP_1) | instid1(VALU_DEP_2)
	v_cndmask_b32_e32 v33, v33, v16, vcc_lo
	v_cmp_eq_u32_e32 vcc_lo, 15, v32
	v_cndmask_b32_e32 v33, v33, v17, vcc_lo
	v_cmp_eq_u32_e32 vcc_lo, 16, v32
	s_delay_alu instid0(VALU_DEP_2) | instskip(SKIP_1) | instid1(VALU_DEP_2)
	v_cndmask_b32_e32 v33, v33, v18, vcc_lo
	v_cmp_eq_u32_e32 vcc_lo, 17, v32
	v_cndmask_b32_e32 v33, v33, v19, vcc_lo
	v_cmp_eq_u32_e32 vcc_lo, 18, v32
	s_delay_alu instid0(VALU_DEP_2) | instskip(SKIP_1) | instid1(VALU_DEP_2)
	v_cndmask_b32_e32 v33, v33, v20, vcc_lo
	v_cmp_eq_u32_e32 vcc_lo, 19, v32
	v_cndmask_b32_e32 v33, v33, v21, vcc_lo
	v_cmp_eq_u32_e32 vcc_lo, 20, v32
	s_delay_alu instid0(VALU_DEP_2) | instskip(SKIP_1) | instid1(VALU_DEP_2)
	v_cndmask_b32_e32 v33, v33, v22, vcc_lo
	v_cmp_eq_u32_e32 vcc_lo, 21, v32
	v_cndmask_b32_e32 v33, v33, v23, vcc_lo
	v_cmp_eq_u32_e32 vcc_lo, 22, v32
	s_delay_alu instid0(VALU_DEP_2) | instskip(SKIP_1) | instid1(VALU_DEP_2)
	v_cndmask_b32_e32 v33, v33, v24, vcc_lo
	v_cmp_eq_u32_e32 vcc_lo, 23, v32
	v_cndmask_b32_e32 v33, v33, v25, vcc_lo
	v_cmp_eq_u32_e32 vcc_lo, 24, v32
	s_delay_alu instid0(VALU_DEP_2) | instskip(SKIP_1) | instid1(VALU_DEP_2)
	v_cndmask_b32_e32 v33, v33, v26, vcc_lo
	v_cmp_eq_u32_e32 vcc_lo, 25, v32
	v_cndmask_b32_e32 v33, v33, v27, vcc_lo
	v_cmp_eq_u32_e32 vcc_lo, 26, v32
	s_delay_alu instid0(VALU_DEP_2) | instskip(SKIP_1) | instid1(VALU_DEP_2)
	v_cndmask_b32_e32 v33, v33, v28, vcc_lo
	v_cmp_eq_u32_e32 vcc_lo, 27, v32
	v_cndmask_b32_e32 v33, v33, v29, vcc_lo
	v_cmp_eq_u32_e32 vcc_lo, 28, v32
	s_delay_alu instid0(VALU_DEP_2) | instskip(SKIP_1) | instid1(VALU_DEP_1)
	v_cndmask_b32_e32 v32, v33, v30, vcc_lo
	s_wait_dscnt 0x0
	v_fmac_f32_e32 v31, v32, v35
	v_cmpx_ne_u32_e32 6, v0
	s_cbranch_execz .LBB28_523
; %bb.512:
	v_add_nc_u32_e32 v32, 3, v0
	ds_load_b32 v35, v127 offset:12
	v_cmp_eq_u32_e32 vcc_lo, 1, v32
	v_cndmask_b32_e32 v33, v2, v3, vcc_lo
	v_cmp_eq_u32_e32 vcc_lo, 2, v32
	s_delay_alu instid0(VALU_DEP_2) | instskip(SKIP_1) | instid1(VALU_DEP_2)
	v_cndmask_b32_e32 v33, v33, v4, vcc_lo
	v_cmp_eq_u32_e32 vcc_lo, 3, v32
	v_cndmask_b32_e32 v33, v33, v5, vcc_lo
	v_cmp_eq_u32_e32 vcc_lo, 4, v32
	s_delay_alu instid0(VALU_DEP_2) | instskip(SKIP_1) | instid1(VALU_DEP_2)
	v_cndmask_b32_e32 v33, v33, v6, vcc_lo
	;; [unrolled: 5-line block ×13, first 2 shown]
	v_cmp_eq_u32_e32 vcc_lo, 27, v32
	v_cndmask_b32_e32 v33, v33, v29, vcc_lo
	v_cmp_eq_u32_e32 vcc_lo, 28, v32
	s_delay_alu instid0(VALU_DEP_2) | instskip(SKIP_1) | instid1(VALU_DEP_1)
	v_cndmask_b32_e32 v32, v33, v30, vcc_lo
	s_wait_dscnt 0x0
	v_fmac_f32_e32 v31, v32, v35
	s_and_saveexec_b32 s7, s2
	s_cbranch_execz .LBB28_522
; %bb.513:
	v_add_nc_u32_e32 v32, 4, v0
	ds_load_b32 v35, v127 offset:16
	s_mov_b32 s2, exec_lo
	v_cmp_eq_u32_e32 vcc_lo, 1, v32
	v_cndmask_b32_e32 v33, v2, v3, vcc_lo
	v_cmp_eq_u32_e32 vcc_lo, 2, v32
	s_delay_alu instid0(VALU_DEP_2) | instskip(SKIP_1) | instid1(VALU_DEP_2)
	v_cndmask_b32_e32 v33, v33, v4, vcc_lo
	v_cmp_eq_u32_e32 vcc_lo, 3, v32
	v_cndmask_b32_e32 v33, v33, v5, vcc_lo
	v_cmp_eq_u32_e32 vcc_lo, 4, v32
	s_delay_alu instid0(VALU_DEP_2) | instskip(SKIP_1) | instid1(VALU_DEP_2)
	v_cndmask_b32_e32 v33, v33, v6, vcc_lo
	;; [unrolled: 5-line block ×13, first 2 shown]
	v_cmp_eq_u32_e32 vcc_lo, 27, v32
	v_cndmask_b32_e32 v33, v33, v29, vcc_lo
	v_cmp_eq_u32_e32 vcc_lo, 28, v32
	s_delay_alu instid0(VALU_DEP_2) | instskip(SKIP_1) | instid1(VALU_DEP_1)
	v_cndmask_b32_e32 v32, v33, v30, vcc_lo
	s_wait_dscnt 0x0
	v_fmac_f32_e32 v31, v32, v35
	v_cmpx_ne_u32_e32 4, v0
	s_cbranch_execz .LBB28_521
; %bb.514:
	v_add_nc_u32_e32 v32, 5, v0
	ds_load_b32 v35, v127 offset:20
	v_cmp_eq_u32_e32 vcc_lo, 1, v32
	v_cndmask_b32_e32 v33, v2, v3, vcc_lo
	v_cmp_eq_u32_e32 vcc_lo, 2, v32
	s_delay_alu instid0(VALU_DEP_2) | instskip(SKIP_1) | instid1(VALU_DEP_2)
	v_cndmask_b32_e32 v33, v33, v4, vcc_lo
	v_cmp_eq_u32_e32 vcc_lo, 3, v32
	v_cndmask_b32_e32 v33, v33, v5, vcc_lo
	v_cmp_eq_u32_e32 vcc_lo, 4, v32
	s_delay_alu instid0(VALU_DEP_2) | instskip(SKIP_1) | instid1(VALU_DEP_2)
	v_cndmask_b32_e32 v33, v33, v6, vcc_lo
	;; [unrolled: 5-line block ×13, first 2 shown]
	v_cmp_eq_u32_e32 vcc_lo, 27, v32
	v_cndmask_b32_e32 v33, v33, v29, vcc_lo
	v_cmp_eq_u32_e32 vcc_lo, 28, v32
	s_delay_alu instid0(VALU_DEP_2) | instskip(SKIP_1) | instid1(VALU_DEP_1)
	v_cndmask_b32_e32 v32, v33, v30, vcc_lo
	s_wait_dscnt 0x0
	v_fmac_f32_e32 v31, v32, v35
	s_and_saveexec_b32 s8, s1
	s_cbranch_execz .LBB28_520
; %bb.515:
	v_add_nc_u32_e32 v32, 6, v0
	ds_load_b32 v35, v127 offset:24
	s_mov_b32 s1, exec_lo
	v_cmp_eq_u32_e32 vcc_lo, 1, v32
	v_cndmask_b32_e32 v33, v2, v3, vcc_lo
	v_cmp_eq_u32_e32 vcc_lo, 2, v32
	s_delay_alu instid0(VALU_DEP_2) | instskip(SKIP_1) | instid1(VALU_DEP_2)
	v_cndmask_b32_e32 v33, v33, v4, vcc_lo
	v_cmp_eq_u32_e32 vcc_lo, 3, v32
	v_cndmask_b32_e32 v33, v33, v5, vcc_lo
	v_cmp_eq_u32_e32 vcc_lo, 4, v32
	s_delay_alu instid0(VALU_DEP_2) | instskip(SKIP_1) | instid1(VALU_DEP_2)
	v_cndmask_b32_e32 v33, v33, v6, vcc_lo
	;; [unrolled: 5-line block ×13, first 2 shown]
	v_cmp_eq_u32_e32 vcc_lo, 27, v32
	v_cndmask_b32_e32 v33, v33, v29, vcc_lo
	v_cmp_eq_u32_e32 vcc_lo, 28, v32
	s_delay_alu instid0(VALU_DEP_2) | instskip(SKIP_1) | instid1(VALU_DEP_1)
	v_cndmask_b32_e32 v32, v33, v30, vcc_lo
	s_wait_dscnt 0x0
	v_fmac_f32_e32 v31, v32, v35
	v_cmpx_ne_u32_e32 2, v0
	s_cbranch_execz .LBB28_519
; %bb.516:
	v_add_nc_u32_e32 v32, 7, v0
	s_delay_alu instid0(VALU_DEP_1) | instskip(SKIP_2) | instid1(VALU_DEP_2)
	v_cmp_eq_u32_e32 vcc_lo, 1, v32
	v_cndmask_b32_e32 v33, v2, v3, vcc_lo
	v_cmp_eq_u32_e32 vcc_lo, 2, v32
	v_cndmask_b32_e32 v33, v33, v4, vcc_lo
	v_cmp_eq_u32_e32 vcc_lo, 3, v32
	s_delay_alu instid0(VALU_DEP_2) | instskip(SKIP_1) | instid1(VALU_DEP_2)
	v_cndmask_b32_e32 v33, v33, v5, vcc_lo
	v_cmp_eq_u32_e32 vcc_lo, 4, v32
	v_cndmask_b32_e32 v33, v33, v6, vcc_lo
	v_cmp_eq_u32_e32 vcc_lo, 5, v32
	s_delay_alu instid0(VALU_DEP_2) | instskip(SKIP_1) | instid1(VALU_DEP_2)
	;; [unrolled: 5-line block ×3, first 2 shown]
	v_cndmask_b32_e32 v33, v33, v9, vcc_lo
	v_cmp_eq_u32_e32 vcc_lo, 8, v32
	v_cndmask_b32_e32 v33, v33, v10, vcc_lo
	v_cmp_eq_u32_e32 vcc_lo, 9, v32
	s_delay_alu instid0(VALU_DEP_2) | instskip(SKIP_4) | instid1(VALU_DEP_2)
	v_cndmask_b32_e32 v11, v33, v11, vcc_lo
	v_cmp_eq_u32_e32 vcc_lo, 10, v32
	ds_load_b32 v33, v127 offset:28
	v_cndmask_b32_e32 v11, v11, v12, vcc_lo
	v_cmp_eq_u32_e32 vcc_lo, 11, v32
	v_cndmask_b32_e32 v11, v11, v13, vcc_lo
	v_cmp_eq_u32_e32 vcc_lo, 12, v32
	s_delay_alu instid0(VALU_DEP_2) | instskip(SKIP_1) | instid1(VALU_DEP_2)
	v_cndmask_b32_e32 v11, v11, v14, vcc_lo
	v_cmp_eq_u32_e32 vcc_lo, 13, v32
	v_cndmask_b32_e32 v11, v11, v15, vcc_lo
	v_cmp_eq_u32_e32 vcc_lo, 14, v32
	s_delay_alu instid0(VALU_DEP_2) | instskip(SKIP_1) | instid1(VALU_DEP_2)
	;; [unrolled: 5-line block ×8, first 2 shown]
	v_cndmask_b32_e32 v11, v11, v28, vcc_lo
	v_cmp_eq_u32_e32 vcc_lo, 27, v32
	v_cndmask_b32_e32 v11, v11, v29, vcc_lo
	v_cmp_eq_u32_e32 vcc_lo, 28, v32
	s_delay_alu instid0(VALU_DEP_2) | instskip(SKIP_1) | instid1(VALU_DEP_1)
	v_cndmask_b32_e32 v11, v11, v30, vcc_lo
	s_wait_dscnt 0x0
	v_fmac_f32_e32 v31, v11, v33
	s_and_saveexec_b32 s9, s0
	s_cbranch_execz .LBB28_518
; %bb.517:
	ds_load_b32 v11, v127 offset:32
	s_wait_dscnt 0x0
	v_fmac_f32_e32 v31, v10, v11
.LBB28_518:
	s_or_b32 exec_lo, exec_lo, s9
.LBB28_519:
	s_delay_alu instid0(SALU_CYCLE_1)
	s_or_b32 exec_lo, exec_lo, s1
.LBB28_520:
	s_delay_alu instid0(SALU_CYCLE_1)
	s_or_b32 exec_lo, exec_lo, s8
.LBB28_521:
	s_delay_alu instid0(SALU_CYCLE_1)
	s_or_b32 exec_lo, exec_lo, s2
.LBB28_522:
	s_delay_alu instid0(SALU_CYCLE_1)
	s_or_b32 exec_lo, exec_lo, s7
.LBB28_523:
	s_delay_alu instid0(SALU_CYCLE_1)
	s_or_b32 exec_lo, exec_lo, s3
.LBB28_524:
	s_delay_alu instid0(SALU_CYCLE_1)
	s_or_b32 exec_lo, exec_lo, s6
.LBB28_525:
	s_delay_alu instid0(SALU_CYCLE_1)
	s_or_b32 exec_lo, exec_lo, s5
	v_mov_b32_e32 v11, 0
	ds_load_b32 v11, v11 offset:36
	s_wait_dscnt 0x0
	v_mul_f32_e32 v11, v31, v11
.LBB28_526:
	s_or_b32 exec_lo, exec_lo, s4
	s_delay_alu instid0(SALU_CYCLE_1)
	s_mov_b32 s0, exec_lo
	ds_store_b32 v127, v12
	s_wait_dscnt 0x0
	s_barrier_signal -1
	s_barrier_wait -1
	v_cmpx_gt_u32_e32 10, v0
	s_cbranch_execz .LBB28_536
; %bb.527:
	v_cmp_ne_u32_e32 vcc_lo, 1, v34
	s_cbranch_vccnz .LBB28_529
; %bb.528:
	v_cmp_eq_u32_e32 vcc_lo, 1, v0
	ds_load_b32 v32, v127
	v_cndmask_b32_e32 v31, v2, v3, vcc_lo
	v_cmp_eq_u32_e32 vcc_lo, 2, v0
	s_delay_alu instid0(VALU_DEP_2) | instskip(SKIP_1) | instid1(VALU_DEP_2)
	v_cndmask_b32_e32 v31, v31, v4, vcc_lo
	v_cmp_eq_u32_e32 vcc_lo, 3, v0
	v_cndmask_b32_e32 v31, v31, v5, vcc_lo
	v_cmp_eq_u32_e32 vcc_lo, 4, v0
	s_delay_alu instid0(VALU_DEP_2) | instskip(SKIP_1) | instid1(VALU_DEP_2)
	v_cndmask_b32_e32 v31, v31, v6, vcc_lo
	v_cmp_eq_u32_e32 vcc_lo, 5, v0
	;; [unrolled: 5-line block ×13, first 2 shown]
	v_cndmask_b32_e32 v31, v31, v29, vcc_lo
	v_cmp_eq_u32_e32 vcc_lo, 28, v0
	s_delay_alu instid0(VALU_DEP_2) | instskip(SKIP_1) | instid1(VALU_DEP_1)
	v_cndmask_b32_e32 v31, v31, v30, vcc_lo
	s_wait_dscnt 0x0
	v_mul_f32_e32 v31, v31, v32
	s_cbranch_execz .LBB28_530
	s_branch .LBB28_531
.LBB28_529:
                                        ; implicit-def: $vgpr31
.LBB28_530:
	ds_load_b32 v31, v127
.LBB28_531:
	s_mov_b32 s1, exec_lo
	v_cmpx_ne_u32_e32 9, v0
	s_cbranch_execz .LBB28_535
; %bb.532:
	v_mov_b64_e32 v[32:33], v[0:1]
	v_lshl_add_u32 v35, v0, 2, 0x84
	s_mov_b32 s2, 0
.LBB28_533:                             ; =>This Inner Loop Header: Depth=1
	s_delay_alu instid0(VALU_DEP_2)
	v_add_nc_u64_e32 v[32:33], 1, v[32:33]
	ds_load_b32 v37, v35
	v_add_nc_u32_e32 v35, 4, v35
	v_cmp_eq_u32_e32 vcc_lo, 1, v32
	v_cndmask_b32_e32 v36, v2, v3, vcc_lo
	v_cmp_eq_u32_e32 vcc_lo, 2, v32
	s_delay_alu instid0(VALU_DEP_2) | instskip(SKIP_1) | instid1(VALU_DEP_2)
	v_cndmask_b32_e32 v36, v36, v4, vcc_lo
	v_cmp_eq_u32_e32 vcc_lo, 3, v32
	v_cndmask_b32_e32 v36, v36, v5, vcc_lo
	v_cmp_eq_u32_e32 vcc_lo, 4, v32
	s_delay_alu instid0(VALU_DEP_2) | instskip(SKIP_1) | instid1(VALU_DEP_2)
	v_cndmask_b32_e32 v36, v36, v6, vcc_lo
	;; [unrolled: 5-line block ×13, first 2 shown]
	v_cmp_eq_u32_e32 vcc_lo, 27, v32
	v_cndmask_b32_e32 v36, v36, v29, vcc_lo
	v_cmp_eq_u32_e32 vcc_lo, 28, v32
	s_delay_alu instid0(VALU_DEP_2) | instskip(SKIP_2) | instid1(VALU_DEP_2)
	v_cndmask_b32_e32 v36, v36, v30, vcc_lo
	v_cmp_lt_u32_e32 vcc_lo, 8, v32
	s_wait_dscnt 0x0
	v_fmac_f32_e32 v31, v36, v37
	s_or_b32 s2, vcc_lo, s2
	s_delay_alu instid0(SALU_CYCLE_1)
	s_and_not1_b32 exec_lo, exec_lo, s2
	s_cbranch_execnz .LBB28_533
; %bb.534:
	s_or_b32 exec_lo, exec_lo, s2
.LBB28_535:
	s_delay_alu instid0(SALU_CYCLE_1)
	s_or_b32 exec_lo, exec_lo, s1
	v_mov_b32_e32 v12, 0
	ds_load_b32 v12, v12 offset:40
	s_wait_dscnt 0x0
	v_mul_f32_e32 v12, v31, v12
.LBB28_536:
	s_or_b32 exec_lo, exec_lo, s0
	s_delay_alu instid0(SALU_CYCLE_1)
	s_mov_b32 s0, exec_lo
	ds_store_b32 v127, v13
	s_wait_dscnt 0x0
	s_barrier_signal -1
	s_barrier_wait -1
	v_cmpx_gt_u32_e32 11, v0
	s_cbranch_execz .LBB28_546
; %bb.537:
	v_cmp_ne_u32_e32 vcc_lo, 1, v34
	s_cbranch_vccnz .LBB28_539
; %bb.538:
	v_cmp_eq_u32_e32 vcc_lo, 1, v0
	ds_load_b32 v32, v127
	v_cndmask_b32_e32 v31, v2, v3, vcc_lo
	v_cmp_eq_u32_e32 vcc_lo, 2, v0
	s_delay_alu instid0(VALU_DEP_2) | instskip(SKIP_1) | instid1(VALU_DEP_2)
	v_cndmask_b32_e32 v31, v31, v4, vcc_lo
	v_cmp_eq_u32_e32 vcc_lo, 3, v0
	v_cndmask_b32_e32 v31, v31, v5, vcc_lo
	v_cmp_eq_u32_e32 vcc_lo, 4, v0
	s_delay_alu instid0(VALU_DEP_2) | instskip(SKIP_1) | instid1(VALU_DEP_2)
	v_cndmask_b32_e32 v31, v31, v6, vcc_lo
	v_cmp_eq_u32_e32 vcc_lo, 5, v0
	;; [unrolled: 5-line block ×13, first 2 shown]
	v_cndmask_b32_e32 v31, v31, v29, vcc_lo
	v_cmp_eq_u32_e32 vcc_lo, 28, v0
	s_delay_alu instid0(VALU_DEP_2) | instskip(SKIP_1) | instid1(VALU_DEP_1)
	v_cndmask_b32_e32 v31, v31, v30, vcc_lo
	s_wait_dscnt 0x0
	v_mul_f32_e32 v31, v31, v32
	s_cbranch_execz .LBB28_540
	s_branch .LBB28_541
.LBB28_539:
                                        ; implicit-def: $vgpr31
.LBB28_540:
	ds_load_b32 v31, v127
.LBB28_541:
	s_mov_b32 s1, exec_lo
	v_cmpx_ne_u32_e32 10, v0
	s_cbranch_execz .LBB28_545
; %bb.542:
	v_mov_b64_e32 v[32:33], v[0:1]
	v_lshl_add_u32 v35, v0, 2, 0x84
	s_mov_b32 s2, 0
.LBB28_543:                             ; =>This Inner Loop Header: Depth=1
	s_delay_alu instid0(VALU_DEP_2)
	v_add_nc_u64_e32 v[32:33], 1, v[32:33]
	ds_load_b32 v37, v35
	v_add_nc_u32_e32 v35, 4, v35
	v_cmp_eq_u32_e32 vcc_lo, 1, v32
	v_cndmask_b32_e32 v36, v2, v3, vcc_lo
	v_cmp_eq_u32_e32 vcc_lo, 2, v32
	s_delay_alu instid0(VALU_DEP_2) | instskip(SKIP_1) | instid1(VALU_DEP_2)
	v_cndmask_b32_e32 v36, v36, v4, vcc_lo
	v_cmp_eq_u32_e32 vcc_lo, 3, v32
	v_cndmask_b32_e32 v36, v36, v5, vcc_lo
	v_cmp_eq_u32_e32 vcc_lo, 4, v32
	s_delay_alu instid0(VALU_DEP_2) | instskip(SKIP_1) | instid1(VALU_DEP_2)
	v_cndmask_b32_e32 v36, v36, v6, vcc_lo
	;; [unrolled: 5-line block ×13, first 2 shown]
	v_cmp_eq_u32_e32 vcc_lo, 27, v32
	v_cndmask_b32_e32 v36, v36, v29, vcc_lo
	v_cmp_eq_u32_e32 vcc_lo, 28, v32
	s_delay_alu instid0(VALU_DEP_2) | instskip(SKIP_2) | instid1(VALU_DEP_2)
	v_cndmask_b32_e32 v36, v36, v30, vcc_lo
	v_cmp_lt_u32_e32 vcc_lo, 9, v32
	s_wait_dscnt 0x0
	v_fmac_f32_e32 v31, v36, v37
	s_or_b32 s2, vcc_lo, s2
	s_delay_alu instid0(SALU_CYCLE_1)
	s_and_not1_b32 exec_lo, exec_lo, s2
	s_cbranch_execnz .LBB28_543
; %bb.544:
	s_or_b32 exec_lo, exec_lo, s2
.LBB28_545:
	s_delay_alu instid0(SALU_CYCLE_1)
	s_or_b32 exec_lo, exec_lo, s1
	v_mov_b32_e32 v13, 0
	ds_load_b32 v13, v13 offset:44
	s_wait_dscnt 0x0
	v_mul_f32_e32 v13, v31, v13
.LBB28_546:
	s_or_b32 exec_lo, exec_lo, s0
	s_delay_alu instid0(SALU_CYCLE_1)
	s_mov_b32 s0, exec_lo
	ds_store_b32 v127, v14
	s_wait_dscnt 0x0
	s_barrier_signal -1
	s_barrier_wait -1
	v_cmpx_gt_u32_e32 12, v0
	s_cbranch_execz .LBB28_556
; %bb.547:
	v_cmp_ne_u32_e32 vcc_lo, 1, v34
	s_cbranch_vccnz .LBB28_549
; %bb.548:
	v_cmp_eq_u32_e32 vcc_lo, 1, v0
	ds_load_b32 v32, v127
	v_cndmask_b32_e32 v31, v2, v3, vcc_lo
	v_cmp_eq_u32_e32 vcc_lo, 2, v0
	s_delay_alu instid0(VALU_DEP_2) | instskip(SKIP_1) | instid1(VALU_DEP_2)
	v_cndmask_b32_e32 v31, v31, v4, vcc_lo
	v_cmp_eq_u32_e32 vcc_lo, 3, v0
	v_cndmask_b32_e32 v31, v31, v5, vcc_lo
	v_cmp_eq_u32_e32 vcc_lo, 4, v0
	s_delay_alu instid0(VALU_DEP_2) | instskip(SKIP_1) | instid1(VALU_DEP_2)
	v_cndmask_b32_e32 v31, v31, v6, vcc_lo
	v_cmp_eq_u32_e32 vcc_lo, 5, v0
	;; [unrolled: 5-line block ×13, first 2 shown]
	v_cndmask_b32_e32 v31, v31, v29, vcc_lo
	v_cmp_eq_u32_e32 vcc_lo, 28, v0
	s_delay_alu instid0(VALU_DEP_2) | instskip(SKIP_1) | instid1(VALU_DEP_1)
	v_cndmask_b32_e32 v31, v31, v30, vcc_lo
	s_wait_dscnt 0x0
	v_mul_f32_e32 v31, v31, v32
	s_cbranch_execz .LBB28_550
	s_branch .LBB28_551
.LBB28_549:
                                        ; implicit-def: $vgpr31
.LBB28_550:
	ds_load_b32 v31, v127
.LBB28_551:
	s_mov_b32 s1, exec_lo
	v_cmpx_ne_u32_e32 11, v0
	s_cbranch_execz .LBB28_555
; %bb.552:
	v_mov_b64_e32 v[32:33], v[0:1]
	v_lshl_add_u32 v35, v0, 2, 0x84
	s_mov_b32 s2, 0
.LBB28_553:                             ; =>This Inner Loop Header: Depth=1
	s_delay_alu instid0(VALU_DEP_2)
	v_add_nc_u64_e32 v[32:33], 1, v[32:33]
	ds_load_b32 v37, v35
	v_add_nc_u32_e32 v35, 4, v35
	v_cmp_eq_u32_e32 vcc_lo, 1, v32
	v_cndmask_b32_e32 v36, v2, v3, vcc_lo
	v_cmp_eq_u32_e32 vcc_lo, 2, v32
	s_delay_alu instid0(VALU_DEP_2) | instskip(SKIP_1) | instid1(VALU_DEP_2)
	v_cndmask_b32_e32 v36, v36, v4, vcc_lo
	v_cmp_eq_u32_e32 vcc_lo, 3, v32
	v_cndmask_b32_e32 v36, v36, v5, vcc_lo
	v_cmp_eq_u32_e32 vcc_lo, 4, v32
	s_delay_alu instid0(VALU_DEP_2) | instskip(SKIP_1) | instid1(VALU_DEP_2)
	v_cndmask_b32_e32 v36, v36, v6, vcc_lo
	;; [unrolled: 5-line block ×13, first 2 shown]
	v_cmp_eq_u32_e32 vcc_lo, 27, v32
	v_cndmask_b32_e32 v36, v36, v29, vcc_lo
	v_cmp_eq_u32_e32 vcc_lo, 28, v32
	s_delay_alu instid0(VALU_DEP_2) | instskip(SKIP_2) | instid1(VALU_DEP_2)
	v_cndmask_b32_e32 v36, v36, v30, vcc_lo
	v_cmp_lt_u32_e32 vcc_lo, 10, v32
	s_wait_dscnt 0x0
	v_fmac_f32_e32 v31, v36, v37
	s_or_b32 s2, vcc_lo, s2
	s_delay_alu instid0(SALU_CYCLE_1)
	s_and_not1_b32 exec_lo, exec_lo, s2
	s_cbranch_execnz .LBB28_553
; %bb.554:
	s_or_b32 exec_lo, exec_lo, s2
.LBB28_555:
	s_delay_alu instid0(SALU_CYCLE_1)
	s_or_b32 exec_lo, exec_lo, s1
	v_mov_b32_e32 v14, 0
	ds_load_b32 v14, v14 offset:48
	s_wait_dscnt 0x0
	v_mul_f32_e32 v14, v31, v14
.LBB28_556:
	s_or_b32 exec_lo, exec_lo, s0
	s_delay_alu instid0(SALU_CYCLE_1)
	s_mov_b32 s0, exec_lo
	ds_store_b32 v127, v15
	s_wait_dscnt 0x0
	s_barrier_signal -1
	s_barrier_wait -1
	v_cmpx_gt_u32_e32 13, v0
	s_cbranch_execz .LBB28_566
; %bb.557:
	v_cmp_ne_u32_e32 vcc_lo, 1, v34
	s_cbranch_vccnz .LBB28_559
; %bb.558:
	v_cmp_eq_u32_e32 vcc_lo, 1, v0
	ds_load_b32 v32, v127
	v_cndmask_b32_e32 v31, v2, v3, vcc_lo
	v_cmp_eq_u32_e32 vcc_lo, 2, v0
	s_delay_alu instid0(VALU_DEP_2) | instskip(SKIP_1) | instid1(VALU_DEP_2)
	v_cndmask_b32_e32 v31, v31, v4, vcc_lo
	v_cmp_eq_u32_e32 vcc_lo, 3, v0
	v_cndmask_b32_e32 v31, v31, v5, vcc_lo
	v_cmp_eq_u32_e32 vcc_lo, 4, v0
	s_delay_alu instid0(VALU_DEP_2) | instskip(SKIP_1) | instid1(VALU_DEP_2)
	v_cndmask_b32_e32 v31, v31, v6, vcc_lo
	v_cmp_eq_u32_e32 vcc_lo, 5, v0
	;; [unrolled: 5-line block ×13, first 2 shown]
	v_cndmask_b32_e32 v31, v31, v29, vcc_lo
	v_cmp_eq_u32_e32 vcc_lo, 28, v0
	s_delay_alu instid0(VALU_DEP_2) | instskip(SKIP_1) | instid1(VALU_DEP_1)
	v_cndmask_b32_e32 v31, v31, v30, vcc_lo
	s_wait_dscnt 0x0
	v_mul_f32_e32 v31, v31, v32
	s_cbranch_execz .LBB28_560
	s_branch .LBB28_561
.LBB28_559:
                                        ; implicit-def: $vgpr31
.LBB28_560:
	ds_load_b32 v31, v127
.LBB28_561:
	s_mov_b32 s1, exec_lo
	v_cmpx_ne_u32_e32 12, v0
	s_cbranch_execz .LBB28_565
; %bb.562:
	v_mov_b64_e32 v[32:33], v[0:1]
	v_lshl_add_u32 v35, v0, 2, 0x84
	s_mov_b32 s2, 0
.LBB28_563:                             ; =>This Inner Loop Header: Depth=1
	s_delay_alu instid0(VALU_DEP_2)
	v_add_nc_u64_e32 v[32:33], 1, v[32:33]
	ds_load_b32 v37, v35
	v_add_nc_u32_e32 v35, 4, v35
	v_cmp_eq_u32_e32 vcc_lo, 1, v32
	v_cndmask_b32_e32 v36, v2, v3, vcc_lo
	v_cmp_eq_u32_e32 vcc_lo, 2, v32
	s_delay_alu instid0(VALU_DEP_2) | instskip(SKIP_1) | instid1(VALU_DEP_2)
	v_cndmask_b32_e32 v36, v36, v4, vcc_lo
	v_cmp_eq_u32_e32 vcc_lo, 3, v32
	v_cndmask_b32_e32 v36, v36, v5, vcc_lo
	v_cmp_eq_u32_e32 vcc_lo, 4, v32
	s_delay_alu instid0(VALU_DEP_2) | instskip(SKIP_1) | instid1(VALU_DEP_2)
	v_cndmask_b32_e32 v36, v36, v6, vcc_lo
	;; [unrolled: 5-line block ×13, first 2 shown]
	v_cmp_eq_u32_e32 vcc_lo, 27, v32
	v_cndmask_b32_e32 v36, v36, v29, vcc_lo
	v_cmp_eq_u32_e32 vcc_lo, 28, v32
	s_delay_alu instid0(VALU_DEP_2) | instskip(SKIP_2) | instid1(VALU_DEP_2)
	v_cndmask_b32_e32 v36, v36, v30, vcc_lo
	v_cmp_lt_u32_e32 vcc_lo, 11, v32
	s_wait_dscnt 0x0
	v_fmac_f32_e32 v31, v36, v37
	s_or_b32 s2, vcc_lo, s2
	s_delay_alu instid0(SALU_CYCLE_1)
	s_and_not1_b32 exec_lo, exec_lo, s2
	s_cbranch_execnz .LBB28_563
; %bb.564:
	s_or_b32 exec_lo, exec_lo, s2
.LBB28_565:
	s_delay_alu instid0(SALU_CYCLE_1)
	s_or_b32 exec_lo, exec_lo, s1
	v_mov_b32_e32 v15, 0
	ds_load_b32 v15, v15 offset:52
	s_wait_dscnt 0x0
	v_mul_f32_e32 v15, v31, v15
.LBB28_566:
	s_or_b32 exec_lo, exec_lo, s0
	s_delay_alu instid0(SALU_CYCLE_1)
	s_mov_b32 s0, exec_lo
	ds_store_b32 v127, v16
	s_wait_dscnt 0x0
	s_barrier_signal -1
	s_barrier_wait -1
	v_cmpx_gt_u32_e32 14, v0
	s_cbranch_execz .LBB28_576
; %bb.567:
	v_cmp_ne_u32_e32 vcc_lo, 1, v34
	s_cbranch_vccnz .LBB28_569
; %bb.568:
	v_cmp_eq_u32_e32 vcc_lo, 1, v0
	ds_load_b32 v32, v127
	v_cndmask_b32_e32 v31, v2, v3, vcc_lo
	v_cmp_eq_u32_e32 vcc_lo, 2, v0
	s_delay_alu instid0(VALU_DEP_2) | instskip(SKIP_1) | instid1(VALU_DEP_2)
	v_cndmask_b32_e32 v31, v31, v4, vcc_lo
	v_cmp_eq_u32_e32 vcc_lo, 3, v0
	v_cndmask_b32_e32 v31, v31, v5, vcc_lo
	v_cmp_eq_u32_e32 vcc_lo, 4, v0
	s_delay_alu instid0(VALU_DEP_2) | instskip(SKIP_1) | instid1(VALU_DEP_2)
	v_cndmask_b32_e32 v31, v31, v6, vcc_lo
	v_cmp_eq_u32_e32 vcc_lo, 5, v0
	;; [unrolled: 5-line block ×13, first 2 shown]
	v_cndmask_b32_e32 v31, v31, v29, vcc_lo
	v_cmp_eq_u32_e32 vcc_lo, 28, v0
	s_delay_alu instid0(VALU_DEP_2) | instskip(SKIP_1) | instid1(VALU_DEP_1)
	v_cndmask_b32_e32 v31, v31, v30, vcc_lo
	s_wait_dscnt 0x0
	v_mul_f32_e32 v31, v31, v32
	s_cbranch_execz .LBB28_570
	s_branch .LBB28_571
.LBB28_569:
                                        ; implicit-def: $vgpr31
.LBB28_570:
	ds_load_b32 v31, v127
.LBB28_571:
	s_mov_b32 s1, exec_lo
	v_cmpx_ne_u32_e32 13, v0
	s_cbranch_execz .LBB28_575
; %bb.572:
	v_mov_b64_e32 v[32:33], v[0:1]
	v_lshl_add_u32 v35, v0, 2, 0x84
	s_mov_b32 s2, 0
.LBB28_573:                             ; =>This Inner Loop Header: Depth=1
	s_delay_alu instid0(VALU_DEP_2)
	v_add_nc_u64_e32 v[32:33], 1, v[32:33]
	ds_load_b32 v37, v35
	v_add_nc_u32_e32 v35, 4, v35
	v_cmp_eq_u32_e32 vcc_lo, 1, v32
	v_cndmask_b32_e32 v36, v2, v3, vcc_lo
	v_cmp_eq_u32_e32 vcc_lo, 2, v32
	s_delay_alu instid0(VALU_DEP_2) | instskip(SKIP_1) | instid1(VALU_DEP_2)
	v_cndmask_b32_e32 v36, v36, v4, vcc_lo
	v_cmp_eq_u32_e32 vcc_lo, 3, v32
	v_cndmask_b32_e32 v36, v36, v5, vcc_lo
	v_cmp_eq_u32_e32 vcc_lo, 4, v32
	s_delay_alu instid0(VALU_DEP_2) | instskip(SKIP_1) | instid1(VALU_DEP_2)
	v_cndmask_b32_e32 v36, v36, v6, vcc_lo
	;; [unrolled: 5-line block ×13, first 2 shown]
	v_cmp_eq_u32_e32 vcc_lo, 27, v32
	v_cndmask_b32_e32 v36, v36, v29, vcc_lo
	v_cmp_eq_u32_e32 vcc_lo, 28, v32
	s_delay_alu instid0(VALU_DEP_2) | instskip(SKIP_2) | instid1(VALU_DEP_2)
	v_cndmask_b32_e32 v36, v36, v30, vcc_lo
	v_cmp_lt_u32_e32 vcc_lo, 12, v32
	s_wait_dscnt 0x0
	v_fmac_f32_e32 v31, v36, v37
	s_or_b32 s2, vcc_lo, s2
	s_delay_alu instid0(SALU_CYCLE_1)
	s_and_not1_b32 exec_lo, exec_lo, s2
	s_cbranch_execnz .LBB28_573
; %bb.574:
	s_or_b32 exec_lo, exec_lo, s2
.LBB28_575:
	s_delay_alu instid0(SALU_CYCLE_1)
	s_or_b32 exec_lo, exec_lo, s1
	v_mov_b32_e32 v16, 0
	ds_load_b32 v16, v16 offset:56
	s_wait_dscnt 0x0
	v_mul_f32_e32 v16, v31, v16
.LBB28_576:
	s_or_b32 exec_lo, exec_lo, s0
	s_delay_alu instid0(SALU_CYCLE_1)
	s_mov_b32 s0, exec_lo
	ds_store_b32 v127, v17
	s_wait_dscnt 0x0
	s_barrier_signal -1
	s_barrier_wait -1
	v_cmpx_gt_u32_e32 15, v0
	s_cbranch_execz .LBB28_586
; %bb.577:
	v_cmp_ne_u32_e32 vcc_lo, 1, v34
	s_cbranch_vccnz .LBB28_579
; %bb.578:
	v_cmp_eq_u32_e32 vcc_lo, 1, v0
	ds_load_b32 v32, v127
	v_cndmask_b32_e32 v31, v2, v3, vcc_lo
	v_cmp_eq_u32_e32 vcc_lo, 2, v0
	s_delay_alu instid0(VALU_DEP_2) | instskip(SKIP_1) | instid1(VALU_DEP_2)
	v_cndmask_b32_e32 v31, v31, v4, vcc_lo
	v_cmp_eq_u32_e32 vcc_lo, 3, v0
	v_cndmask_b32_e32 v31, v31, v5, vcc_lo
	v_cmp_eq_u32_e32 vcc_lo, 4, v0
	s_delay_alu instid0(VALU_DEP_2) | instskip(SKIP_1) | instid1(VALU_DEP_2)
	v_cndmask_b32_e32 v31, v31, v6, vcc_lo
	v_cmp_eq_u32_e32 vcc_lo, 5, v0
	;; [unrolled: 5-line block ×13, first 2 shown]
	v_cndmask_b32_e32 v31, v31, v29, vcc_lo
	v_cmp_eq_u32_e32 vcc_lo, 28, v0
	s_delay_alu instid0(VALU_DEP_2) | instskip(SKIP_1) | instid1(VALU_DEP_1)
	v_cndmask_b32_e32 v31, v31, v30, vcc_lo
	s_wait_dscnt 0x0
	v_mul_f32_e32 v31, v31, v32
	s_cbranch_execz .LBB28_580
	s_branch .LBB28_581
.LBB28_579:
                                        ; implicit-def: $vgpr31
.LBB28_580:
	ds_load_b32 v31, v127
.LBB28_581:
	s_mov_b32 s1, exec_lo
	v_cmpx_ne_u32_e32 14, v0
	s_cbranch_execz .LBB28_585
; %bb.582:
	v_mov_b64_e32 v[32:33], v[0:1]
	v_lshl_add_u32 v35, v0, 2, 0x84
	s_mov_b32 s2, 0
.LBB28_583:                             ; =>This Inner Loop Header: Depth=1
	s_delay_alu instid0(VALU_DEP_2)
	v_add_nc_u64_e32 v[32:33], 1, v[32:33]
	ds_load_b32 v37, v35
	v_add_nc_u32_e32 v35, 4, v35
	v_cmp_eq_u32_e32 vcc_lo, 1, v32
	v_cndmask_b32_e32 v36, v2, v3, vcc_lo
	v_cmp_eq_u32_e32 vcc_lo, 2, v32
	s_delay_alu instid0(VALU_DEP_2) | instskip(SKIP_1) | instid1(VALU_DEP_2)
	v_cndmask_b32_e32 v36, v36, v4, vcc_lo
	v_cmp_eq_u32_e32 vcc_lo, 3, v32
	v_cndmask_b32_e32 v36, v36, v5, vcc_lo
	v_cmp_eq_u32_e32 vcc_lo, 4, v32
	s_delay_alu instid0(VALU_DEP_2) | instskip(SKIP_1) | instid1(VALU_DEP_2)
	v_cndmask_b32_e32 v36, v36, v6, vcc_lo
	;; [unrolled: 5-line block ×13, first 2 shown]
	v_cmp_eq_u32_e32 vcc_lo, 27, v32
	v_cndmask_b32_e32 v36, v36, v29, vcc_lo
	v_cmp_eq_u32_e32 vcc_lo, 28, v32
	s_delay_alu instid0(VALU_DEP_2) | instskip(SKIP_2) | instid1(VALU_DEP_2)
	v_cndmask_b32_e32 v36, v36, v30, vcc_lo
	v_cmp_lt_u32_e32 vcc_lo, 13, v32
	s_wait_dscnt 0x0
	v_fmac_f32_e32 v31, v36, v37
	s_or_b32 s2, vcc_lo, s2
	s_delay_alu instid0(SALU_CYCLE_1)
	s_and_not1_b32 exec_lo, exec_lo, s2
	s_cbranch_execnz .LBB28_583
; %bb.584:
	s_or_b32 exec_lo, exec_lo, s2
.LBB28_585:
	s_delay_alu instid0(SALU_CYCLE_1)
	s_or_b32 exec_lo, exec_lo, s1
	v_mov_b32_e32 v17, 0
	ds_load_b32 v17, v17 offset:60
	s_wait_dscnt 0x0
	v_mul_f32_e32 v17, v31, v17
.LBB28_586:
	s_or_b32 exec_lo, exec_lo, s0
	s_delay_alu instid0(SALU_CYCLE_1)
	s_mov_b32 s0, exec_lo
	ds_store_b32 v127, v18
	s_wait_dscnt 0x0
	s_barrier_signal -1
	s_barrier_wait -1
	v_cmpx_gt_u32_e32 16, v0
	s_cbranch_execz .LBB28_596
; %bb.587:
	v_cmp_ne_u32_e32 vcc_lo, 1, v34
	s_cbranch_vccnz .LBB28_589
; %bb.588:
	v_cmp_eq_u32_e32 vcc_lo, 1, v0
	ds_load_b32 v32, v127
	v_cndmask_b32_e32 v31, v2, v3, vcc_lo
	v_cmp_eq_u32_e32 vcc_lo, 2, v0
	s_delay_alu instid0(VALU_DEP_2) | instskip(SKIP_1) | instid1(VALU_DEP_2)
	v_cndmask_b32_e32 v31, v31, v4, vcc_lo
	v_cmp_eq_u32_e32 vcc_lo, 3, v0
	v_cndmask_b32_e32 v31, v31, v5, vcc_lo
	v_cmp_eq_u32_e32 vcc_lo, 4, v0
	s_delay_alu instid0(VALU_DEP_2) | instskip(SKIP_1) | instid1(VALU_DEP_2)
	v_cndmask_b32_e32 v31, v31, v6, vcc_lo
	v_cmp_eq_u32_e32 vcc_lo, 5, v0
	;; [unrolled: 5-line block ×13, first 2 shown]
	v_cndmask_b32_e32 v31, v31, v29, vcc_lo
	v_cmp_eq_u32_e32 vcc_lo, 28, v0
	s_delay_alu instid0(VALU_DEP_2) | instskip(SKIP_1) | instid1(VALU_DEP_1)
	v_cndmask_b32_e32 v31, v31, v30, vcc_lo
	s_wait_dscnt 0x0
	v_mul_f32_e32 v31, v31, v32
	s_cbranch_execz .LBB28_590
	s_branch .LBB28_591
.LBB28_589:
                                        ; implicit-def: $vgpr31
.LBB28_590:
	ds_load_b32 v31, v127
.LBB28_591:
	s_mov_b32 s1, exec_lo
	v_cmpx_ne_u32_e32 15, v0
	s_cbranch_execz .LBB28_595
; %bb.592:
	v_mov_b64_e32 v[32:33], v[0:1]
	v_lshl_add_u32 v35, v0, 2, 0x84
	s_mov_b32 s2, 0
.LBB28_593:                             ; =>This Inner Loop Header: Depth=1
	s_delay_alu instid0(VALU_DEP_2)
	v_add_nc_u64_e32 v[32:33], 1, v[32:33]
	ds_load_b32 v37, v35
	v_add_nc_u32_e32 v35, 4, v35
	v_cmp_eq_u32_e32 vcc_lo, 1, v32
	v_cndmask_b32_e32 v36, v2, v3, vcc_lo
	v_cmp_eq_u32_e32 vcc_lo, 2, v32
	s_delay_alu instid0(VALU_DEP_2) | instskip(SKIP_1) | instid1(VALU_DEP_2)
	v_cndmask_b32_e32 v36, v36, v4, vcc_lo
	v_cmp_eq_u32_e32 vcc_lo, 3, v32
	v_cndmask_b32_e32 v36, v36, v5, vcc_lo
	v_cmp_eq_u32_e32 vcc_lo, 4, v32
	s_delay_alu instid0(VALU_DEP_2) | instskip(SKIP_1) | instid1(VALU_DEP_2)
	v_cndmask_b32_e32 v36, v36, v6, vcc_lo
	;; [unrolled: 5-line block ×13, first 2 shown]
	v_cmp_eq_u32_e32 vcc_lo, 27, v32
	v_cndmask_b32_e32 v36, v36, v29, vcc_lo
	v_cmp_eq_u32_e32 vcc_lo, 28, v32
	s_delay_alu instid0(VALU_DEP_2) | instskip(SKIP_2) | instid1(VALU_DEP_2)
	v_cndmask_b32_e32 v36, v36, v30, vcc_lo
	v_cmp_lt_u32_e32 vcc_lo, 14, v32
	s_wait_dscnt 0x0
	v_fmac_f32_e32 v31, v36, v37
	s_or_b32 s2, vcc_lo, s2
	s_delay_alu instid0(SALU_CYCLE_1)
	s_and_not1_b32 exec_lo, exec_lo, s2
	s_cbranch_execnz .LBB28_593
; %bb.594:
	s_or_b32 exec_lo, exec_lo, s2
.LBB28_595:
	s_delay_alu instid0(SALU_CYCLE_1)
	s_or_b32 exec_lo, exec_lo, s1
	v_mov_b32_e32 v18, 0
	ds_load_b32 v18, v18 offset:64
	s_wait_dscnt 0x0
	v_mul_f32_e32 v18, v31, v18
.LBB28_596:
	s_or_b32 exec_lo, exec_lo, s0
	s_delay_alu instid0(SALU_CYCLE_1)
	s_mov_b32 s0, exec_lo
	ds_store_b32 v127, v19
	s_wait_dscnt 0x0
	s_barrier_signal -1
	s_barrier_wait -1
	v_cmpx_gt_u32_e32 17, v0
	s_cbranch_execz .LBB28_606
; %bb.597:
	v_cmp_ne_u32_e32 vcc_lo, 1, v34
	s_cbranch_vccnz .LBB28_599
; %bb.598:
	v_cmp_eq_u32_e32 vcc_lo, 1, v0
	ds_load_b32 v32, v127
	v_cndmask_b32_e32 v31, v2, v3, vcc_lo
	v_cmp_eq_u32_e32 vcc_lo, 2, v0
	s_delay_alu instid0(VALU_DEP_2) | instskip(SKIP_1) | instid1(VALU_DEP_2)
	v_cndmask_b32_e32 v31, v31, v4, vcc_lo
	v_cmp_eq_u32_e32 vcc_lo, 3, v0
	v_cndmask_b32_e32 v31, v31, v5, vcc_lo
	v_cmp_eq_u32_e32 vcc_lo, 4, v0
	s_delay_alu instid0(VALU_DEP_2) | instskip(SKIP_1) | instid1(VALU_DEP_2)
	v_cndmask_b32_e32 v31, v31, v6, vcc_lo
	v_cmp_eq_u32_e32 vcc_lo, 5, v0
	;; [unrolled: 5-line block ×13, first 2 shown]
	v_cndmask_b32_e32 v31, v31, v29, vcc_lo
	v_cmp_eq_u32_e32 vcc_lo, 28, v0
	s_delay_alu instid0(VALU_DEP_2) | instskip(SKIP_1) | instid1(VALU_DEP_1)
	v_cndmask_b32_e32 v31, v31, v30, vcc_lo
	s_wait_dscnt 0x0
	v_mul_f32_e32 v31, v31, v32
	s_cbranch_execz .LBB28_600
	s_branch .LBB28_601
.LBB28_599:
                                        ; implicit-def: $vgpr31
.LBB28_600:
	ds_load_b32 v31, v127
.LBB28_601:
	s_mov_b32 s1, exec_lo
	v_cmpx_ne_u32_e32 16, v0
	s_cbranch_execz .LBB28_605
; %bb.602:
	v_mov_b64_e32 v[32:33], v[0:1]
	v_lshl_add_u32 v35, v0, 2, 0x84
	s_mov_b32 s2, 0
.LBB28_603:                             ; =>This Inner Loop Header: Depth=1
	s_delay_alu instid0(VALU_DEP_2)
	v_add_nc_u64_e32 v[32:33], 1, v[32:33]
	ds_load_b32 v37, v35
	v_add_nc_u32_e32 v35, 4, v35
	v_cmp_eq_u32_e32 vcc_lo, 1, v32
	v_cndmask_b32_e32 v36, v2, v3, vcc_lo
	v_cmp_eq_u32_e32 vcc_lo, 2, v32
	s_delay_alu instid0(VALU_DEP_2) | instskip(SKIP_1) | instid1(VALU_DEP_2)
	v_cndmask_b32_e32 v36, v36, v4, vcc_lo
	v_cmp_eq_u32_e32 vcc_lo, 3, v32
	v_cndmask_b32_e32 v36, v36, v5, vcc_lo
	v_cmp_eq_u32_e32 vcc_lo, 4, v32
	s_delay_alu instid0(VALU_DEP_2) | instskip(SKIP_1) | instid1(VALU_DEP_2)
	v_cndmask_b32_e32 v36, v36, v6, vcc_lo
	;; [unrolled: 5-line block ×13, first 2 shown]
	v_cmp_eq_u32_e32 vcc_lo, 27, v32
	v_cndmask_b32_e32 v36, v36, v29, vcc_lo
	v_cmp_eq_u32_e32 vcc_lo, 28, v32
	s_delay_alu instid0(VALU_DEP_2) | instskip(SKIP_2) | instid1(VALU_DEP_2)
	v_cndmask_b32_e32 v36, v36, v30, vcc_lo
	v_cmp_lt_u32_e32 vcc_lo, 15, v32
	s_wait_dscnt 0x0
	v_fmac_f32_e32 v31, v36, v37
	s_or_b32 s2, vcc_lo, s2
	s_delay_alu instid0(SALU_CYCLE_1)
	s_and_not1_b32 exec_lo, exec_lo, s2
	s_cbranch_execnz .LBB28_603
; %bb.604:
	s_or_b32 exec_lo, exec_lo, s2
.LBB28_605:
	s_delay_alu instid0(SALU_CYCLE_1)
	s_or_b32 exec_lo, exec_lo, s1
	v_mov_b32_e32 v19, 0
	ds_load_b32 v19, v19 offset:68
	s_wait_dscnt 0x0
	v_mul_f32_e32 v19, v31, v19
.LBB28_606:
	s_or_b32 exec_lo, exec_lo, s0
	s_delay_alu instid0(SALU_CYCLE_1)
	s_mov_b32 s0, exec_lo
	ds_store_b32 v127, v20
	s_wait_dscnt 0x0
	s_barrier_signal -1
	s_barrier_wait -1
	v_cmpx_gt_u32_e32 18, v0
	s_cbranch_execz .LBB28_616
; %bb.607:
	v_cmp_ne_u32_e32 vcc_lo, 1, v34
	s_cbranch_vccnz .LBB28_609
; %bb.608:
	v_cmp_eq_u32_e32 vcc_lo, 1, v0
	ds_load_b32 v32, v127
	v_cndmask_b32_e32 v31, v2, v3, vcc_lo
	v_cmp_eq_u32_e32 vcc_lo, 2, v0
	s_delay_alu instid0(VALU_DEP_2) | instskip(SKIP_1) | instid1(VALU_DEP_2)
	v_cndmask_b32_e32 v31, v31, v4, vcc_lo
	v_cmp_eq_u32_e32 vcc_lo, 3, v0
	v_cndmask_b32_e32 v31, v31, v5, vcc_lo
	v_cmp_eq_u32_e32 vcc_lo, 4, v0
	s_delay_alu instid0(VALU_DEP_2) | instskip(SKIP_1) | instid1(VALU_DEP_2)
	v_cndmask_b32_e32 v31, v31, v6, vcc_lo
	v_cmp_eq_u32_e32 vcc_lo, 5, v0
	;; [unrolled: 5-line block ×13, first 2 shown]
	v_cndmask_b32_e32 v31, v31, v29, vcc_lo
	v_cmp_eq_u32_e32 vcc_lo, 28, v0
	s_delay_alu instid0(VALU_DEP_2) | instskip(SKIP_1) | instid1(VALU_DEP_1)
	v_cndmask_b32_e32 v31, v31, v30, vcc_lo
	s_wait_dscnt 0x0
	v_mul_f32_e32 v31, v31, v32
	s_cbranch_execz .LBB28_610
	s_branch .LBB28_611
.LBB28_609:
                                        ; implicit-def: $vgpr31
.LBB28_610:
	ds_load_b32 v31, v127
.LBB28_611:
	s_mov_b32 s1, exec_lo
	v_cmpx_ne_u32_e32 17, v0
	s_cbranch_execz .LBB28_615
; %bb.612:
	v_mov_b64_e32 v[32:33], v[0:1]
	v_lshl_add_u32 v35, v0, 2, 0x84
	s_mov_b32 s2, 0
.LBB28_613:                             ; =>This Inner Loop Header: Depth=1
	s_delay_alu instid0(VALU_DEP_2)
	v_add_nc_u64_e32 v[32:33], 1, v[32:33]
	ds_load_b32 v37, v35
	v_add_nc_u32_e32 v35, 4, v35
	v_cmp_eq_u32_e32 vcc_lo, 1, v32
	v_cndmask_b32_e32 v36, v2, v3, vcc_lo
	v_cmp_eq_u32_e32 vcc_lo, 2, v32
	s_delay_alu instid0(VALU_DEP_2) | instskip(SKIP_1) | instid1(VALU_DEP_2)
	v_cndmask_b32_e32 v36, v36, v4, vcc_lo
	v_cmp_eq_u32_e32 vcc_lo, 3, v32
	v_cndmask_b32_e32 v36, v36, v5, vcc_lo
	v_cmp_eq_u32_e32 vcc_lo, 4, v32
	s_delay_alu instid0(VALU_DEP_2) | instskip(SKIP_1) | instid1(VALU_DEP_2)
	v_cndmask_b32_e32 v36, v36, v6, vcc_lo
	;; [unrolled: 5-line block ×13, first 2 shown]
	v_cmp_eq_u32_e32 vcc_lo, 27, v32
	v_cndmask_b32_e32 v36, v36, v29, vcc_lo
	v_cmp_eq_u32_e32 vcc_lo, 28, v32
	s_delay_alu instid0(VALU_DEP_2) | instskip(SKIP_2) | instid1(VALU_DEP_2)
	v_cndmask_b32_e32 v36, v36, v30, vcc_lo
	v_cmp_lt_u32_e32 vcc_lo, 16, v32
	s_wait_dscnt 0x0
	v_fmac_f32_e32 v31, v36, v37
	s_or_b32 s2, vcc_lo, s2
	s_delay_alu instid0(SALU_CYCLE_1)
	s_and_not1_b32 exec_lo, exec_lo, s2
	s_cbranch_execnz .LBB28_613
; %bb.614:
	s_or_b32 exec_lo, exec_lo, s2
.LBB28_615:
	s_delay_alu instid0(SALU_CYCLE_1)
	s_or_b32 exec_lo, exec_lo, s1
	v_mov_b32_e32 v20, 0
	ds_load_b32 v20, v20 offset:72
	s_wait_dscnt 0x0
	v_mul_f32_e32 v20, v31, v20
.LBB28_616:
	s_or_b32 exec_lo, exec_lo, s0
	s_delay_alu instid0(SALU_CYCLE_1)
	s_mov_b32 s0, exec_lo
	ds_store_b32 v127, v21
	s_wait_dscnt 0x0
	s_barrier_signal -1
	s_barrier_wait -1
	v_cmpx_gt_u32_e32 19, v0
	s_cbranch_execz .LBB28_626
; %bb.617:
	v_cmp_ne_u32_e32 vcc_lo, 1, v34
	s_cbranch_vccnz .LBB28_619
; %bb.618:
	v_cmp_eq_u32_e32 vcc_lo, 1, v0
	ds_load_b32 v32, v127
	v_cndmask_b32_e32 v31, v2, v3, vcc_lo
	v_cmp_eq_u32_e32 vcc_lo, 2, v0
	s_delay_alu instid0(VALU_DEP_2) | instskip(SKIP_1) | instid1(VALU_DEP_2)
	v_cndmask_b32_e32 v31, v31, v4, vcc_lo
	v_cmp_eq_u32_e32 vcc_lo, 3, v0
	v_cndmask_b32_e32 v31, v31, v5, vcc_lo
	v_cmp_eq_u32_e32 vcc_lo, 4, v0
	s_delay_alu instid0(VALU_DEP_2) | instskip(SKIP_1) | instid1(VALU_DEP_2)
	v_cndmask_b32_e32 v31, v31, v6, vcc_lo
	v_cmp_eq_u32_e32 vcc_lo, 5, v0
	;; [unrolled: 5-line block ×13, first 2 shown]
	v_cndmask_b32_e32 v31, v31, v29, vcc_lo
	v_cmp_eq_u32_e32 vcc_lo, 28, v0
	s_delay_alu instid0(VALU_DEP_2) | instskip(SKIP_1) | instid1(VALU_DEP_1)
	v_cndmask_b32_e32 v31, v31, v30, vcc_lo
	s_wait_dscnt 0x0
	v_mul_f32_e32 v31, v31, v32
	s_cbranch_execz .LBB28_620
	s_branch .LBB28_621
.LBB28_619:
                                        ; implicit-def: $vgpr31
.LBB28_620:
	ds_load_b32 v31, v127
.LBB28_621:
	s_mov_b32 s1, exec_lo
	v_cmpx_ne_u32_e32 18, v0
	s_cbranch_execz .LBB28_625
; %bb.622:
	v_mov_b64_e32 v[32:33], v[0:1]
	v_lshl_add_u32 v35, v0, 2, 0x84
	s_mov_b32 s2, 0
.LBB28_623:                             ; =>This Inner Loop Header: Depth=1
	s_delay_alu instid0(VALU_DEP_2)
	v_add_nc_u64_e32 v[32:33], 1, v[32:33]
	ds_load_b32 v37, v35
	v_add_nc_u32_e32 v35, 4, v35
	v_cmp_eq_u32_e32 vcc_lo, 1, v32
	v_cndmask_b32_e32 v36, v2, v3, vcc_lo
	v_cmp_eq_u32_e32 vcc_lo, 2, v32
	s_delay_alu instid0(VALU_DEP_2) | instskip(SKIP_1) | instid1(VALU_DEP_2)
	v_cndmask_b32_e32 v36, v36, v4, vcc_lo
	v_cmp_eq_u32_e32 vcc_lo, 3, v32
	v_cndmask_b32_e32 v36, v36, v5, vcc_lo
	v_cmp_eq_u32_e32 vcc_lo, 4, v32
	s_delay_alu instid0(VALU_DEP_2) | instskip(SKIP_1) | instid1(VALU_DEP_2)
	v_cndmask_b32_e32 v36, v36, v6, vcc_lo
	;; [unrolled: 5-line block ×13, first 2 shown]
	v_cmp_eq_u32_e32 vcc_lo, 27, v32
	v_cndmask_b32_e32 v36, v36, v29, vcc_lo
	v_cmp_eq_u32_e32 vcc_lo, 28, v32
	s_delay_alu instid0(VALU_DEP_2) | instskip(SKIP_2) | instid1(VALU_DEP_2)
	v_cndmask_b32_e32 v36, v36, v30, vcc_lo
	v_cmp_lt_u32_e32 vcc_lo, 17, v32
	s_wait_dscnt 0x0
	v_fmac_f32_e32 v31, v36, v37
	s_or_b32 s2, vcc_lo, s2
	s_delay_alu instid0(SALU_CYCLE_1)
	s_and_not1_b32 exec_lo, exec_lo, s2
	s_cbranch_execnz .LBB28_623
; %bb.624:
	s_or_b32 exec_lo, exec_lo, s2
.LBB28_625:
	s_delay_alu instid0(SALU_CYCLE_1)
	s_or_b32 exec_lo, exec_lo, s1
	v_mov_b32_e32 v21, 0
	ds_load_b32 v21, v21 offset:76
	s_wait_dscnt 0x0
	v_mul_f32_e32 v21, v31, v21
.LBB28_626:
	s_or_b32 exec_lo, exec_lo, s0
	s_delay_alu instid0(SALU_CYCLE_1)
	s_mov_b32 s0, exec_lo
	ds_store_b32 v127, v22
	s_wait_dscnt 0x0
	s_barrier_signal -1
	s_barrier_wait -1
	v_cmpx_gt_u32_e32 20, v0
	s_cbranch_execz .LBB28_636
; %bb.627:
	v_cmp_ne_u32_e32 vcc_lo, 1, v34
	s_cbranch_vccnz .LBB28_629
; %bb.628:
	v_cmp_eq_u32_e32 vcc_lo, 1, v0
	ds_load_b32 v32, v127
	v_cndmask_b32_e32 v31, v2, v3, vcc_lo
	v_cmp_eq_u32_e32 vcc_lo, 2, v0
	s_delay_alu instid0(VALU_DEP_2) | instskip(SKIP_1) | instid1(VALU_DEP_2)
	v_cndmask_b32_e32 v31, v31, v4, vcc_lo
	v_cmp_eq_u32_e32 vcc_lo, 3, v0
	v_cndmask_b32_e32 v31, v31, v5, vcc_lo
	v_cmp_eq_u32_e32 vcc_lo, 4, v0
	s_delay_alu instid0(VALU_DEP_2) | instskip(SKIP_1) | instid1(VALU_DEP_2)
	v_cndmask_b32_e32 v31, v31, v6, vcc_lo
	v_cmp_eq_u32_e32 vcc_lo, 5, v0
	;; [unrolled: 5-line block ×13, first 2 shown]
	v_cndmask_b32_e32 v31, v31, v29, vcc_lo
	v_cmp_eq_u32_e32 vcc_lo, 28, v0
	s_delay_alu instid0(VALU_DEP_2) | instskip(SKIP_1) | instid1(VALU_DEP_1)
	v_cndmask_b32_e32 v31, v31, v30, vcc_lo
	s_wait_dscnt 0x0
	v_mul_f32_e32 v31, v31, v32
	s_cbranch_execz .LBB28_630
	s_branch .LBB28_631
.LBB28_629:
                                        ; implicit-def: $vgpr31
.LBB28_630:
	ds_load_b32 v31, v127
.LBB28_631:
	s_mov_b32 s1, exec_lo
	v_cmpx_ne_u32_e32 19, v0
	s_cbranch_execz .LBB28_635
; %bb.632:
	v_mov_b64_e32 v[32:33], v[0:1]
	v_lshl_add_u32 v35, v0, 2, 0x84
	s_mov_b32 s2, 0
.LBB28_633:                             ; =>This Inner Loop Header: Depth=1
	s_delay_alu instid0(VALU_DEP_2)
	v_add_nc_u64_e32 v[32:33], 1, v[32:33]
	ds_load_b32 v37, v35
	v_add_nc_u32_e32 v35, 4, v35
	v_cmp_eq_u32_e32 vcc_lo, 1, v32
	v_cndmask_b32_e32 v36, v2, v3, vcc_lo
	v_cmp_eq_u32_e32 vcc_lo, 2, v32
	s_delay_alu instid0(VALU_DEP_2) | instskip(SKIP_1) | instid1(VALU_DEP_2)
	v_cndmask_b32_e32 v36, v36, v4, vcc_lo
	v_cmp_eq_u32_e32 vcc_lo, 3, v32
	v_cndmask_b32_e32 v36, v36, v5, vcc_lo
	v_cmp_eq_u32_e32 vcc_lo, 4, v32
	s_delay_alu instid0(VALU_DEP_2) | instskip(SKIP_1) | instid1(VALU_DEP_2)
	v_cndmask_b32_e32 v36, v36, v6, vcc_lo
	;; [unrolled: 5-line block ×13, first 2 shown]
	v_cmp_eq_u32_e32 vcc_lo, 27, v32
	v_cndmask_b32_e32 v36, v36, v29, vcc_lo
	v_cmp_eq_u32_e32 vcc_lo, 28, v32
	s_delay_alu instid0(VALU_DEP_2) | instskip(SKIP_2) | instid1(VALU_DEP_2)
	v_cndmask_b32_e32 v36, v36, v30, vcc_lo
	v_cmp_lt_u32_e32 vcc_lo, 18, v32
	s_wait_dscnt 0x0
	v_fmac_f32_e32 v31, v36, v37
	s_or_b32 s2, vcc_lo, s2
	s_delay_alu instid0(SALU_CYCLE_1)
	s_and_not1_b32 exec_lo, exec_lo, s2
	s_cbranch_execnz .LBB28_633
; %bb.634:
	s_or_b32 exec_lo, exec_lo, s2
.LBB28_635:
	s_delay_alu instid0(SALU_CYCLE_1)
	s_or_b32 exec_lo, exec_lo, s1
	v_mov_b32_e32 v22, 0
	ds_load_b32 v22, v22 offset:80
	s_wait_dscnt 0x0
	v_mul_f32_e32 v22, v31, v22
.LBB28_636:
	s_or_b32 exec_lo, exec_lo, s0
	s_delay_alu instid0(SALU_CYCLE_1)
	s_mov_b32 s0, exec_lo
	ds_store_b32 v127, v23
	s_wait_dscnt 0x0
	s_barrier_signal -1
	s_barrier_wait -1
	v_cmpx_gt_u32_e32 21, v0
	s_cbranch_execz .LBB28_646
; %bb.637:
	v_cmp_ne_u32_e32 vcc_lo, 1, v34
	s_cbranch_vccnz .LBB28_639
; %bb.638:
	v_cmp_eq_u32_e32 vcc_lo, 1, v0
	ds_load_b32 v32, v127
	v_cndmask_b32_e32 v31, v2, v3, vcc_lo
	v_cmp_eq_u32_e32 vcc_lo, 2, v0
	s_delay_alu instid0(VALU_DEP_2) | instskip(SKIP_1) | instid1(VALU_DEP_2)
	v_cndmask_b32_e32 v31, v31, v4, vcc_lo
	v_cmp_eq_u32_e32 vcc_lo, 3, v0
	v_cndmask_b32_e32 v31, v31, v5, vcc_lo
	v_cmp_eq_u32_e32 vcc_lo, 4, v0
	s_delay_alu instid0(VALU_DEP_2) | instskip(SKIP_1) | instid1(VALU_DEP_2)
	v_cndmask_b32_e32 v31, v31, v6, vcc_lo
	v_cmp_eq_u32_e32 vcc_lo, 5, v0
	;; [unrolled: 5-line block ×13, first 2 shown]
	v_cndmask_b32_e32 v31, v31, v29, vcc_lo
	v_cmp_eq_u32_e32 vcc_lo, 28, v0
	s_delay_alu instid0(VALU_DEP_2) | instskip(SKIP_1) | instid1(VALU_DEP_1)
	v_cndmask_b32_e32 v31, v31, v30, vcc_lo
	s_wait_dscnt 0x0
	v_mul_f32_e32 v31, v31, v32
	s_cbranch_execz .LBB28_640
	s_branch .LBB28_641
.LBB28_639:
                                        ; implicit-def: $vgpr31
.LBB28_640:
	ds_load_b32 v31, v127
.LBB28_641:
	s_mov_b32 s1, exec_lo
	v_cmpx_ne_u32_e32 20, v0
	s_cbranch_execz .LBB28_645
; %bb.642:
	v_mov_b64_e32 v[32:33], v[0:1]
	v_lshl_add_u32 v35, v0, 2, 0x84
	s_mov_b32 s2, 0
.LBB28_643:                             ; =>This Inner Loop Header: Depth=1
	s_delay_alu instid0(VALU_DEP_2)
	v_add_nc_u64_e32 v[32:33], 1, v[32:33]
	ds_load_b32 v37, v35
	v_add_nc_u32_e32 v35, 4, v35
	v_cmp_eq_u32_e32 vcc_lo, 1, v32
	v_cndmask_b32_e32 v36, v2, v3, vcc_lo
	v_cmp_eq_u32_e32 vcc_lo, 2, v32
	s_delay_alu instid0(VALU_DEP_2) | instskip(SKIP_1) | instid1(VALU_DEP_2)
	v_cndmask_b32_e32 v36, v36, v4, vcc_lo
	v_cmp_eq_u32_e32 vcc_lo, 3, v32
	v_cndmask_b32_e32 v36, v36, v5, vcc_lo
	v_cmp_eq_u32_e32 vcc_lo, 4, v32
	s_delay_alu instid0(VALU_DEP_2) | instskip(SKIP_1) | instid1(VALU_DEP_2)
	v_cndmask_b32_e32 v36, v36, v6, vcc_lo
	;; [unrolled: 5-line block ×13, first 2 shown]
	v_cmp_eq_u32_e32 vcc_lo, 27, v32
	v_cndmask_b32_e32 v36, v36, v29, vcc_lo
	v_cmp_eq_u32_e32 vcc_lo, 28, v32
	s_delay_alu instid0(VALU_DEP_2) | instskip(SKIP_2) | instid1(VALU_DEP_2)
	v_cndmask_b32_e32 v36, v36, v30, vcc_lo
	v_cmp_lt_u32_e32 vcc_lo, 19, v32
	s_wait_dscnt 0x0
	v_fmac_f32_e32 v31, v36, v37
	s_or_b32 s2, vcc_lo, s2
	s_delay_alu instid0(SALU_CYCLE_1)
	s_and_not1_b32 exec_lo, exec_lo, s2
	s_cbranch_execnz .LBB28_643
; %bb.644:
	s_or_b32 exec_lo, exec_lo, s2
.LBB28_645:
	s_delay_alu instid0(SALU_CYCLE_1)
	s_or_b32 exec_lo, exec_lo, s1
	v_mov_b32_e32 v23, 0
	ds_load_b32 v23, v23 offset:84
	s_wait_dscnt 0x0
	v_mul_f32_e32 v23, v31, v23
.LBB28_646:
	s_or_b32 exec_lo, exec_lo, s0
	s_delay_alu instid0(SALU_CYCLE_1)
	s_mov_b32 s0, exec_lo
	ds_store_b32 v127, v24
	s_wait_dscnt 0x0
	s_barrier_signal -1
	s_barrier_wait -1
	v_cmpx_gt_u32_e32 22, v0
	s_cbranch_execz .LBB28_656
; %bb.647:
	v_cmp_ne_u32_e32 vcc_lo, 1, v34
	s_cbranch_vccnz .LBB28_649
; %bb.648:
	v_cmp_eq_u32_e32 vcc_lo, 1, v0
	ds_load_b32 v32, v127
	v_cndmask_b32_e32 v31, v2, v3, vcc_lo
	v_cmp_eq_u32_e32 vcc_lo, 2, v0
	s_delay_alu instid0(VALU_DEP_2) | instskip(SKIP_1) | instid1(VALU_DEP_2)
	v_cndmask_b32_e32 v31, v31, v4, vcc_lo
	v_cmp_eq_u32_e32 vcc_lo, 3, v0
	v_cndmask_b32_e32 v31, v31, v5, vcc_lo
	v_cmp_eq_u32_e32 vcc_lo, 4, v0
	s_delay_alu instid0(VALU_DEP_2) | instskip(SKIP_1) | instid1(VALU_DEP_2)
	v_cndmask_b32_e32 v31, v31, v6, vcc_lo
	v_cmp_eq_u32_e32 vcc_lo, 5, v0
	;; [unrolled: 5-line block ×13, first 2 shown]
	v_cndmask_b32_e32 v31, v31, v29, vcc_lo
	v_cmp_eq_u32_e32 vcc_lo, 28, v0
	s_delay_alu instid0(VALU_DEP_2) | instskip(SKIP_1) | instid1(VALU_DEP_1)
	v_cndmask_b32_e32 v31, v31, v30, vcc_lo
	s_wait_dscnt 0x0
	v_mul_f32_e32 v31, v31, v32
	s_cbranch_execz .LBB28_650
	s_branch .LBB28_651
.LBB28_649:
                                        ; implicit-def: $vgpr31
.LBB28_650:
	ds_load_b32 v31, v127
.LBB28_651:
	s_mov_b32 s1, exec_lo
	v_cmpx_ne_u32_e32 21, v0
	s_cbranch_execz .LBB28_655
; %bb.652:
	v_mov_b64_e32 v[32:33], v[0:1]
	v_lshl_add_u32 v35, v0, 2, 0x84
	s_mov_b32 s2, 0
.LBB28_653:                             ; =>This Inner Loop Header: Depth=1
	s_delay_alu instid0(VALU_DEP_2)
	v_add_nc_u64_e32 v[32:33], 1, v[32:33]
	ds_load_b32 v37, v35
	v_add_nc_u32_e32 v35, 4, v35
	v_cmp_eq_u32_e32 vcc_lo, 1, v32
	v_cndmask_b32_e32 v36, v2, v3, vcc_lo
	v_cmp_eq_u32_e32 vcc_lo, 2, v32
	s_delay_alu instid0(VALU_DEP_2) | instskip(SKIP_1) | instid1(VALU_DEP_2)
	v_cndmask_b32_e32 v36, v36, v4, vcc_lo
	v_cmp_eq_u32_e32 vcc_lo, 3, v32
	v_cndmask_b32_e32 v36, v36, v5, vcc_lo
	v_cmp_eq_u32_e32 vcc_lo, 4, v32
	s_delay_alu instid0(VALU_DEP_2) | instskip(SKIP_1) | instid1(VALU_DEP_2)
	v_cndmask_b32_e32 v36, v36, v6, vcc_lo
	;; [unrolled: 5-line block ×13, first 2 shown]
	v_cmp_eq_u32_e32 vcc_lo, 27, v32
	v_cndmask_b32_e32 v36, v36, v29, vcc_lo
	v_cmp_eq_u32_e32 vcc_lo, 28, v32
	s_delay_alu instid0(VALU_DEP_2) | instskip(SKIP_2) | instid1(VALU_DEP_2)
	v_cndmask_b32_e32 v36, v36, v30, vcc_lo
	v_cmp_lt_u32_e32 vcc_lo, 20, v32
	s_wait_dscnt 0x0
	v_fmac_f32_e32 v31, v36, v37
	s_or_b32 s2, vcc_lo, s2
	s_delay_alu instid0(SALU_CYCLE_1)
	s_and_not1_b32 exec_lo, exec_lo, s2
	s_cbranch_execnz .LBB28_653
; %bb.654:
	s_or_b32 exec_lo, exec_lo, s2
.LBB28_655:
	s_delay_alu instid0(SALU_CYCLE_1)
	s_or_b32 exec_lo, exec_lo, s1
	v_mov_b32_e32 v24, 0
	ds_load_b32 v24, v24 offset:88
	s_wait_dscnt 0x0
	v_mul_f32_e32 v24, v31, v24
.LBB28_656:
	s_or_b32 exec_lo, exec_lo, s0
	s_delay_alu instid0(SALU_CYCLE_1)
	s_mov_b32 s0, exec_lo
	ds_store_b32 v127, v25
	s_wait_dscnt 0x0
	s_barrier_signal -1
	s_barrier_wait -1
	v_cmpx_gt_u32_e32 23, v0
	s_cbranch_execz .LBB28_666
; %bb.657:
	v_cmp_ne_u32_e32 vcc_lo, 1, v34
	s_cbranch_vccnz .LBB28_659
; %bb.658:
	v_cmp_eq_u32_e32 vcc_lo, 1, v0
	ds_load_b32 v32, v127
	v_cndmask_b32_e32 v31, v2, v3, vcc_lo
	v_cmp_eq_u32_e32 vcc_lo, 2, v0
	s_delay_alu instid0(VALU_DEP_2) | instskip(SKIP_1) | instid1(VALU_DEP_2)
	v_cndmask_b32_e32 v31, v31, v4, vcc_lo
	v_cmp_eq_u32_e32 vcc_lo, 3, v0
	v_cndmask_b32_e32 v31, v31, v5, vcc_lo
	v_cmp_eq_u32_e32 vcc_lo, 4, v0
	s_delay_alu instid0(VALU_DEP_2) | instskip(SKIP_1) | instid1(VALU_DEP_2)
	v_cndmask_b32_e32 v31, v31, v6, vcc_lo
	v_cmp_eq_u32_e32 vcc_lo, 5, v0
	v_cndmask_b32_e32 v31, v31, v7, vcc_lo
	v_cmp_eq_u32_e32 vcc_lo, 6, v0
	s_delay_alu instid0(VALU_DEP_2) | instskip(SKIP_1) | instid1(VALU_DEP_2)
	v_cndmask_b32_e32 v31, v31, v8, vcc_lo
	v_cmp_eq_u32_e32 vcc_lo, 7, v0
	v_cndmask_b32_e32 v31, v31, v9, vcc_lo
	v_cmp_eq_u32_e32 vcc_lo, 8, v0
	s_delay_alu instid0(VALU_DEP_2) | instskip(SKIP_1) | instid1(VALU_DEP_2)
	v_cndmask_b32_e32 v31, v31, v10, vcc_lo
	v_cmp_eq_u32_e32 vcc_lo, 9, v0
	v_cndmask_b32_e32 v31, v31, v11, vcc_lo
	v_cmp_eq_u32_e32 vcc_lo, 10, v0
	s_delay_alu instid0(VALU_DEP_2) | instskip(SKIP_1) | instid1(VALU_DEP_2)
	v_cndmask_b32_e32 v31, v31, v12, vcc_lo
	v_cmp_eq_u32_e32 vcc_lo, 11, v0
	v_cndmask_b32_e32 v31, v31, v13, vcc_lo
	v_cmp_eq_u32_e32 vcc_lo, 12, v0
	s_delay_alu instid0(VALU_DEP_2) | instskip(SKIP_1) | instid1(VALU_DEP_2)
	v_cndmask_b32_e32 v31, v31, v14, vcc_lo
	v_cmp_eq_u32_e32 vcc_lo, 13, v0
	v_cndmask_b32_e32 v31, v31, v15, vcc_lo
	v_cmp_eq_u32_e32 vcc_lo, 14, v0
	s_delay_alu instid0(VALU_DEP_2) | instskip(SKIP_1) | instid1(VALU_DEP_2)
	v_cndmask_b32_e32 v31, v31, v16, vcc_lo
	v_cmp_eq_u32_e32 vcc_lo, 15, v0
	v_cndmask_b32_e32 v31, v31, v17, vcc_lo
	v_cmp_eq_u32_e32 vcc_lo, 16, v0
	s_delay_alu instid0(VALU_DEP_2) | instskip(SKIP_1) | instid1(VALU_DEP_2)
	v_cndmask_b32_e32 v31, v31, v18, vcc_lo
	v_cmp_eq_u32_e32 vcc_lo, 17, v0
	v_cndmask_b32_e32 v31, v31, v19, vcc_lo
	v_cmp_eq_u32_e32 vcc_lo, 18, v0
	s_delay_alu instid0(VALU_DEP_2) | instskip(SKIP_1) | instid1(VALU_DEP_2)
	v_cndmask_b32_e32 v31, v31, v20, vcc_lo
	v_cmp_eq_u32_e32 vcc_lo, 19, v0
	v_cndmask_b32_e32 v31, v31, v21, vcc_lo
	v_cmp_eq_u32_e32 vcc_lo, 20, v0
	s_delay_alu instid0(VALU_DEP_2) | instskip(SKIP_1) | instid1(VALU_DEP_2)
	v_cndmask_b32_e32 v31, v31, v22, vcc_lo
	v_cmp_eq_u32_e32 vcc_lo, 21, v0
	v_cndmask_b32_e32 v31, v31, v23, vcc_lo
	v_cmp_eq_u32_e32 vcc_lo, 22, v0
	s_delay_alu instid0(VALU_DEP_2) | instskip(SKIP_1) | instid1(VALU_DEP_2)
	v_cndmask_b32_e32 v31, v31, v24, vcc_lo
	v_cmp_eq_u32_e32 vcc_lo, 23, v0
	v_cndmask_b32_e32 v31, v31, v25, vcc_lo
	v_cmp_eq_u32_e32 vcc_lo, 24, v0
	s_delay_alu instid0(VALU_DEP_2) | instskip(SKIP_1) | instid1(VALU_DEP_2)
	v_cndmask_b32_e32 v31, v31, v26, vcc_lo
	v_cmp_eq_u32_e32 vcc_lo, 25, v0
	v_cndmask_b32_e32 v31, v31, v27, vcc_lo
	v_cmp_eq_u32_e32 vcc_lo, 26, v0
	s_delay_alu instid0(VALU_DEP_2) | instskip(SKIP_1) | instid1(VALU_DEP_2)
	v_cndmask_b32_e32 v31, v31, v28, vcc_lo
	v_cmp_eq_u32_e32 vcc_lo, 27, v0
	v_cndmask_b32_e32 v31, v31, v29, vcc_lo
	v_cmp_eq_u32_e32 vcc_lo, 28, v0
	s_delay_alu instid0(VALU_DEP_2) | instskip(SKIP_1) | instid1(VALU_DEP_1)
	v_cndmask_b32_e32 v31, v31, v30, vcc_lo
	s_wait_dscnt 0x0
	v_mul_f32_e32 v31, v31, v32
	s_cbranch_execz .LBB28_660
	s_branch .LBB28_661
.LBB28_659:
                                        ; implicit-def: $vgpr31
.LBB28_660:
	ds_load_b32 v31, v127
.LBB28_661:
	s_mov_b32 s1, exec_lo
	v_cmpx_ne_u32_e32 22, v0
	s_cbranch_execz .LBB28_665
; %bb.662:
	v_mov_b64_e32 v[32:33], v[0:1]
	v_lshl_add_u32 v35, v0, 2, 0x84
	s_mov_b32 s2, 0
.LBB28_663:                             ; =>This Inner Loop Header: Depth=1
	s_delay_alu instid0(VALU_DEP_2)
	v_add_nc_u64_e32 v[32:33], 1, v[32:33]
	ds_load_b32 v37, v35
	v_add_nc_u32_e32 v35, 4, v35
	v_cmp_eq_u32_e32 vcc_lo, 1, v32
	v_cndmask_b32_e32 v36, v2, v3, vcc_lo
	v_cmp_eq_u32_e32 vcc_lo, 2, v32
	s_delay_alu instid0(VALU_DEP_2) | instskip(SKIP_1) | instid1(VALU_DEP_2)
	v_cndmask_b32_e32 v36, v36, v4, vcc_lo
	v_cmp_eq_u32_e32 vcc_lo, 3, v32
	v_cndmask_b32_e32 v36, v36, v5, vcc_lo
	v_cmp_eq_u32_e32 vcc_lo, 4, v32
	s_delay_alu instid0(VALU_DEP_2) | instskip(SKIP_1) | instid1(VALU_DEP_2)
	v_cndmask_b32_e32 v36, v36, v6, vcc_lo
	;; [unrolled: 5-line block ×13, first 2 shown]
	v_cmp_eq_u32_e32 vcc_lo, 27, v32
	v_cndmask_b32_e32 v36, v36, v29, vcc_lo
	v_cmp_eq_u32_e32 vcc_lo, 28, v32
	s_delay_alu instid0(VALU_DEP_2) | instskip(SKIP_2) | instid1(VALU_DEP_2)
	v_cndmask_b32_e32 v36, v36, v30, vcc_lo
	v_cmp_lt_u32_e32 vcc_lo, 21, v32
	s_wait_dscnt 0x0
	v_fmac_f32_e32 v31, v36, v37
	s_or_b32 s2, vcc_lo, s2
	s_delay_alu instid0(SALU_CYCLE_1)
	s_and_not1_b32 exec_lo, exec_lo, s2
	s_cbranch_execnz .LBB28_663
; %bb.664:
	s_or_b32 exec_lo, exec_lo, s2
.LBB28_665:
	s_delay_alu instid0(SALU_CYCLE_1)
	s_or_b32 exec_lo, exec_lo, s1
	v_mov_b32_e32 v25, 0
	ds_load_b32 v25, v25 offset:92
	s_wait_dscnt 0x0
	v_mul_f32_e32 v25, v31, v25
.LBB28_666:
	s_or_b32 exec_lo, exec_lo, s0
	s_delay_alu instid0(SALU_CYCLE_1)
	s_mov_b32 s0, exec_lo
	ds_store_b32 v127, v26
	s_wait_dscnt 0x0
	s_barrier_signal -1
	s_barrier_wait -1
	v_cmpx_gt_u32_e32 24, v0
	s_cbranch_execz .LBB28_676
; %bb.667:
	v_cmp_ne_u32_e32 vcc_lo, 1, v34
	s_cbranch_vccnz .LBB28_669
; %bb.668:
	v_cmp_eq_u32_e32 vcc_lo, 1, v0
	ds_load_b32 v32, v127
	v_cndmask_b32_e32 v31, v2, v3, vcc_lo
	v_cmp_eq_u32_e32 vcc_lo, 2, v0
	s_delay_alu instid0(VALU_DEP_2) | instskip(SKIP_1) | instid1(VALU_DEP_2)
	v_cndmask_b32_e32 v31, v31, v4, vcc_lo
	v_cmp_eq_u32_e32 vcc_lo, 3, v0
	v_cndmask_b32_e32 v31, v31, v5, vcc_lo
	v_cmp_eq_u32_e32 vcc_lo, 4, v0
	s_delay_alu instid0(VALU_DEP_2) | instskip(SKIP_1) | instid1(VALU_DEP_2)
	v_cndmask_b32_e32 v31, v31, v6, vcc_lo
	v_cmp_eq_u32_e32 vcc_lo, 5, v0
	;; [unrolled: 5-line block ×13, first 2 shown]
	v_cndmask_b32_e32 v31, v31, v29, vcc_lo
	v_cmp_eq_u32_e32 vcc_lo, 28, v0
	s_delay_alu instid0(VALU_DEP_2) | instskip(SKIP_1) | instid1(VALU_DEP_1)
	v_cndmask_b32_e32 v31, v31, v30, vcc_lo
	s_wait_dscnt 0x0
	v_mul_f32_e32 v31, v31, v32
	s_cbranch_execz .LBB28_670
	s_branch .LBB28_671
.LBB28_669:
                                        ; implicit-def: $vgpr31
.LBB28_670:
	ds_load_b32 v31, v127
.LBB28_671:
	s_mov_b32 s1, exec_lo
	v_cmpx_ne_u32_e32 23, v0
	s_cbranch_execz .LBB28_675
; %bb.672:
	v_mov_b64_e32 v[32:33], v[0:1]
	v_lshl_add_u32 v35, v0, 2, 0x84
	s_mov_b32 s2, 0
.LBB28_673:                             ; =>This Inner Loop Header: Depth=1
	s_delay_alu instid0(VALU_DEP_2)
	v_add_nc_u64_e32 v[32:33], 1, v[32:33]
	ds_load_b32 v37, v35
	v_add_nc_u32_e32 v35, 4, v35
	v_cmp_eq_u32_e32 vcc_lo, 1, v32
	v_cndmask_b32_e32 v36, v2, v3, vcc_lo
	v_cmp_eq_u32_e32 vcc_lo, 2, v32
	s_delay_alu instid0(VALU_DEP_2) | instskip(SKIP_1) | instid1(VALU_DEP_2)
	v_cndmask_b32_e32 v36, v36, v4, vcc_lo
	v_cmp_eq_u32_e32 vcc_lo, 3, v32
	v_cndmask_b32_e32 v36, v36, v5, vcc_lo
	v_cmp_eq_u32_e32 vcc_lo, 4, v32
	s_delay_alu instid0(VALU_DEP_2) | instskip(SKIP_1) | instid1(VALU_DEP_2)
	v_cndmask_b32_e32 v36, v36, v6, vcc_lo
	;; [unrolled: 5-line block ×13, first 2 shown]
	v_cmp_eq_u32_e32 vcc_lo, 27, v32
	v_cndmask_b32_e32 v36, v36, v29, vcc_lo
	v_cmp_eq_u32_e32 vcc_lo, 28, v32
	s_delay_alu instid0(VALU_DEP_2) | instskip(SKIP_2) | instid1(VALU_DEP_2)
	v_cndmask_b32_e32 v36, v36, v30, vcc_lo
	v_cmp_lt_u32_e32 vcc_lo, 22, v32
	s_wait_dscnt 0x0
	v_fmac_f32_e32 v31, v36, v37
	s_or_b32 s2, vcc_lo, s2
	s_delay_alu instid0(SALU_CYCLE_1)
	s_and_not1_b32 exec_lo, exec_lo, s2
	s_cbranch_execnz .LBB28_673
; %bb.674:
	s_or_b32 exec_lo, exec_lo, s2
.LBB28_675:
	s_delay_alu instid0(SALU_CYCLE_1)
	s_or_b32 exec_lo, exec_lo, s1
	v_mov_b32_e32 v26, 0
	ds_load_b32 v26, v26 offset:96
	s_wait_dscnt 0x0
	v_mul_f32_e32 v26, v31, v26
.LBB28_676:
	s_or_b32 exec_lo, exec_lo, s0
	s_delay_alu instid0(SALU_CYCLE_1)
	s_mov_b32 s0, exec_lo
	ds_store_b32 v127, v27
	s_wait_dscnt 0x0
	s_barrier_signal -1
	s_barrier_wait -1
	v_cmpx_gt_u32_e32 25, v0
	s_cbranch_execz .LBB28_686
; %bb.677:
	v_cmp_ne_u32_e32 vcc_lo, 1, v34
	s_cbranch_vccnz .LBB28_679
; %bb.678:
	v_cmp_eq_u32_e32 vcc_lo, 1, v0
	ds_load_b32 v32, v127
	v_cndmask_b32_e32 v31, v2, v3, vcc_lo
	v_cmp_eq_u32_e32 vcc_lo, 2, v0
	s_delay_alu instid0(VALU_DEP_2) | instskip(SKIP_1) | instid1(VALU_DEP_2)
	v_cndmask_b32_e32 v31, v31, v4, vcc_lo
	v_cmp_eq_u32_e32 vcc_lo, 3, v0
	v_cndmask_b32_e32 v31, v31, v5, vcc_lo
	v_cmp_eq_u32_e32 vcc_lo, 4, v0
	s_delay_alu instid0(VALU_DEP_2) | instskip(SKIP_1) | instid1(VALU_DEP_2)
	v_cndmask_b32_e32 v31, v31, v6, vcc_lo
	v_cmp_eq_u32_e32 vcc_lo, 5, v0
	;; [unrolled: 5-line block ×13, first 2 shown]
	v_cndmask_b32_e32 v31, v31, v29, vcc_lo
	v_cmp_eq_u32_e32 vcc_lo, 28, v0
	s_delay_alu instid0(VALU_DEP_2) | instskip(SKIP_1) | instid1(VALU_DEP_1)
	v_cndmask_b32_e32 v31, v31, v30, vcc_lo
	s_wait_dscnt 0x0
	v_mul_f32_e32 v31, v31, v32
	s_cbranch_execz .LBB28_680
	s_branch .LBB28_681
.LBB28_679:
                                        ; implicit-def: $vgpr31
.LBB28_680:
	ds_load_b32 v31, v127
.LBB28_681:
	s_mov_b32 s1, exec_lo
	v_cmpx_ne_u32_e32 24, v0
	s_cbranch_execz .LBB28_685
; %bb.682:
	v_mov_b64_e32 v[32:33], v[0:1]
	v_lshl_add_u32 v35, v0, 2, 0x84
	s_mov_b32 s2, 0
.LBB28_683:                             ; =>This Inner Loop Header: Depth=1
	s_delay_alu instid0(VALU_DEP_2)
	v_add_nc_u64_e32 v[32:33], 1, v[32:33]
	ds_load_b32 v37, v35
	v_add_nc_u32_e32 v35, 4, v35
	v_cmp_eq_u32_e32 vcc_lo, 1, v32
	v_cndmask_b32_e32 v36, v2, v3, vcc_lo
	v_cmp_eq_u32_e32 vcc_lo, 2, v32
	s_delay_alu instid0(VALU_DEP_2) | instskip(SKIP_1) | instid1(VALU_DEP_2)
	v_cndmask_b32_e32 v36, v36, v4, vcc_lo
	v_cmp_eq_u32_e32 vcc_lo, 3, v32
	v_cndmask_b32_e32 v36, v36, v5, vcc_lo
	v_cmp_eq_u32_e32 vcc_lo, 4, v32
	s_delay_alu instid0(VALU_DEP_2) | instskip(SKIP_1) | instid1(VALU_DEP_2)
	v_cndmask_b32_e32 v36, v36, v6, vcc_lo
	;; [unrolled: 5-line block ×13, first 2 shown]
	v_cmp_eq_u32_e32 vcc_lo, 27, v32
	v_cndmask_b32_e32 v36, v36, v29, vcc_lo
	v_cmp_eq_u32_e32 vcc_lo, 28, v32
	s_delay_alu instid0(VALU_DEP_2) | instskip(SKIP_2) | instid1(VALU_DEP_2)
	v_cndmask_b32_e32 v36, v36, v30, vcc_lo
	v_cmp_lt_u32_e32 vcc_lo, 23, v32
	s_wait_dscnt 0x0
	v_fmac_f32_e32 v31, v36, v37
	s_or_b32 s2, vcc_lo, s2
	s_delay_alu instid0(SALU_CYCLE_1)
	s_and_not1_b32 exec_lo, exec_lo, s2
	s_cbranch_execnz .LBB28_683
; %bb.684:
	s_or_b32 exec_lo, exec_lo, s2
.LBB28_685:
	s_delay_alu instid0(SALU_CYCLE_1)
	s_or_b32 exec_lo, exec_lo, s1
	v_mov_b32_e32 v27, 0
	ds_load_b32 v27, v27 offset:100
	s_wait_dscnt 0x0
	v_mul_f32_e32 v27, v31, v27
.LBB28_686:
	s_or_b32 exec_lo, exec_lo, s0
	s_delay_alu instid0(SALU_CYCLE_1)
	s_mov_b32 s0, exec_lo
	ds_store_b32 v127, v28
	s_wait_dscnt 0x0
	s_barrier_signal -1
	s_barrier_wait -1
	v_cmpx_gt_u32_e32 26, v0
	s_cbranch_execz .LBB28_696
; %bb.687:
	v_cmp_ne_u32_e32 vcc_lo, 1, v34
	s_cbranch_vccnz .LBB28_689
; %bb.688:
	v_cmp_eq_u32_e32 vcc_lo, 1, v0
	ds_load_b32 v32, v127
	v_cndmask_b32_e32 v31, v2, v3, vcc_lo
	v_cmp_eq_u32_e32 vcc_lo, 2, v0
	s_delay_alu instid0(VALU_DEP_2) | instskip(SKIP_1) | instid1(VALU_DEP_2)
	v_cndmask_b32_e32 v31, v31, v4, vcc_lo
	v_cmp_eq_u32_e32 vcc_lo, 3, v0
	v_cndmask_b32_e32 v31, v31, v5, vcc_lo
	v_cmp_eq_u32_e32 vcc_lo, 4, v0
	s_delay_alu instid0(VALU_DEP_2) | instskip(SKIP_1) | instid1(VALU_DEP_2)
	v_cndmask_b32_e32 v31, v31, v6, vcc_lo
	v_cmp_eq_u32_e32 vcc_lo, 5, v0
	;; [unrolled: 5-line block ×13, first 2 shown]
	v_cndmask_b32_e32 v31, v31, v29, vcc_lo
	v_cmp_eq_u32_e32 vcc_lo, 28, v0
	s_delay_alu instid0(VALU_DEP_2) | instskip(SKIP_1) | instid1(VALU_DEP_1)
	v_cndmask_b32_e32 v31, v31, v30, vcc_lo
	s_wait_dscnt 0x0
	v_mul_f32_e32 v31, v31, v32
	s_cbranch_execz .LBB28_690
	s_branch .LBB28_691
.LBB28_689:
                                        ; implicit-def: $vgpr31
.LBB28_690:
	ds_load_b32 v31, v127
.LBB28_691:
	s_mov_b32 s1, exec_lo
	v_cmpx_ne_u32_e32 25, v0
	s_cbranch_execz .LBB28_695
; %bb.692:
	v_mov_b64_e32 v[32:33], v[0:1]
	v_lshl_add_u32 v35, v0, 2, 0x84
	s_mov_b32 s2, 0
.LBB28_693:                             ; =>This Inner Loop Header: Depth=1
	s_delay_alu instid0(VALU_DEP_2)
	v_add_nc_u64_e32 v[32:33], 1, v[32:33]
	ds_load_b32 v37, v35
	v_add_nc_u32_e32 v35, 4, v35
	v_cmp_eq_u32_e32 vcc_lo, 1, v32
	v_cndmask_b32_e32 v36, v2, v3, vcc_lo
	v_cmp_eq_u32_e32 vcc_lo, 2, v32
	s_delay_alu instid0(VALU_DEP_2) | instskip(SKIP_1) | instid1(VALU_DEP_2)
	v_cndmask_b32_e32 v36, v36, v4, vcc_lo
	v_cmp_eq_u32_e32 vcc_lo, 3, v32
	v_cndmask_b32_e32 v36, v36, v5, vcc_lo
	v_cmp_eq_u32_e32 vcc_lo, 4, v32
	s_delay_alu instid0(VALU_DEP_2) | instskip(SKIP_1) | instid1(VALU_DEP_2)
	v_cndmask_b32_e32 v36, v36, v6, vcc_lo
	;; [unrolled: 5-line block ×13, first 2 shown]
	v_cmp_eq_u32_e32 vcc_lo, 27, v32
	v_cndmask_b32_e32 v36, v36, v29, vcc_lo
	v_cmp_eq_u32_e32 vcc_lo, 28, v32
	s_delay_alu instid0(VALU_DEP_2) | instskip(SKIP_2) | instid1(VALU_DEP_2)
	v_cndmask_b32_e32 v36, v36, v30, vcc_lo
	v_cmp_lt_u32_e32 vcc_lo, 24, v32
	s_wait_dscnt 0x0
	v_fmac_f32_e32 v31, v36, v37
	s_or_b32 s2, vcc_lo, s2
	s_delay_alu instid0(SALU_CYCLE_1)
	s_and_not1_b32 exec_lo, exec_lo, s2
	s_cbranch_execnz .LBB28_693
; %bb.694:
	s_or_b32 exec_lo, exec_lo, s2
.LBB28_695:
	s_delay_alu instid0(SALU_CYCLE_1)
	s_or_b32 exec_lo, exec_lo, s1
	v_mov_b32_e32 v28, 0
	ds_load_b32 v28, v28 offset:104
	s_wait_dscnt 0x0
	v_mul_f32_e32 v28, v31, v28
.LBB28_696:
	s_or_b32 exec_lo, exec_lo, s0
	v_cmp_gt_u32_e64 s0, 27, v0
	ds_store_b32 v127, v29
	s_wait_dscnt 0x0
	s_barrier_signal -1
	s_barrier_wait -1
	s_and_saveexec_b32 s1, s0
	s_cbranch_execz .LBB28_706
; %bb.697:
	v_cmp_ne_u32_e32 vcc_lo, 1, v34
	s_cbranch_vccnz .LBB28_699
; %bb.698:
	v_cmp_eq_u32_e32 vcc_lo, 1, v0
	ds_load_b32 v32, v127
	v_cndmask_b32_e32 v31, v2, v3, vcc_lo
	v_cmp_eq_u32_e32 vcc_lo, 2, v0
	s_delay_alu instid0(VALU_DEP_2) | instskip(SKIP_1) | instid1(VALU_DEP_2)
	v_cndmask_b32_e32 v31, v31, v4, vcc_lo
	v_cmp_eq_u32_e32 vcc_lo, 3, v0
	v_cndmask_b32_e32 v31, v31, v5, vcc_lo
	v_cmp_eq_u32_e32 vcc_lo, 4, v0
	s_delay_alu instid0(VALU_DEP_2) | instskip(SKIP_1) | instid1(VALU_DEP_2)
	v_cndmask_b32_e32 v31, v31, v6, vcc_lo
	v_cmp_eq_u32_e32 vcc_lo, 5, v0
	v_cndmask_b32_e32 v31, v31, v7, vcc_lo
	v_cmp_eq_u32_e32 vcc_lo, 6, v0
	s_delay_alu instid0(VALU_DEP_2) | instskip(SKIP_1) | instid1(VALU_DEP_2)
	v_cndmask_b32_e32 v31, v31, v8, vcc_lo
	v_cmp_eq_u32_e32 vcc_lo, 7, v0
	v_cndmask_b32_e32 v31, v31, v9, vcc_lo
	v_cmp_eq_u32_e32 vcc_lo, 8, v0
	s_delay_alu instid0(VALU_DEP_2) | instskip(SKIP_1) | instid1(VALU_DEP_2)
	v_cndmask_b32_e32 v31, v31, v10, vcc_lo
	v_cmp_eq_u32_e32 vcc_lo, 9, v0
	v_cndmask_b32_e32 v31, v31, v11, vcc_lo
	v_cmp_eq_u32_e32 vcc_lo, 10, v0
	s_delay_alu instid0(VALU_DEP_2) | instskip(SKIP_1) | instid1(VALU_DEP_2)
	v_cndmask_b32_e32 v31, v31, v12, vcc_lo
	v_cmp_eq_u32_e32 vcc_lo, 11, v0
	v_cndmask_b32_e32 v31, v31, v13, vcc_lo
	v_cmp_eq_u32_e32 vcc_lo, 12, v0
	s_delay_alu instid0(VALU_DEP_2) | instskip(SKIP_1) | instid1(VALU_DEP_2)
	v_cndmask_b32_e32 v31, v31, v14, vcc_lo
	v_cmp_eq_u32_e32 vcc_lo, 13, v0
	v_cndmask_b32_e32 v31, v31, v15, vcc_lo
	v_cmp_eq_u32_e32 vcc_lo, 14, v0
	s_delay_alu instid0(VALU_DEP_2) | instskip(SKIP_1) | instid1(VALU_DEP_2)
	v_cndmask_b32_e32 v31, v31, v16, vcc_lo
	v_cmp_eq_u32_e32 vcc_lo, 15, v0
	v_cndmask_b32_e32 v31, v31, v17, vcc_lo
	v_cmp_eq_u32_e32 vcc_lo, 16, v0
	s_delay_alu instid0(VALU_DEP_2) | instskip(SKIP_1) | instid1(VALU_DEP_2)
	v_cndmask_b32_e32 v31, v31, v18, vcc_lo
	v_cmp_eq_u32_e32 vcc_lo, 17, v0
	v_cndmask_b32_e32 v31, v31, v19, vcc_lo
	v_cmp_eq_u32_e32 vcc_lo, 18, v0
	s_delay_alu instid0(VALU_DEP_2) | instskip(SKIP_1) | instid1(VALU_DEP_2)
	v_cndmask_b32_e32 v31, v31, v20, vcc_lo
	v_cmp_eq_u32_e32 vcc_lo, 19, v0
	v_cndmask_b32_e32 v31, v31, v21, vcc_lo
	v_cmp_eq_u32_e32 vcc_lo, 20, v0
	s_delay_alu instid0(VALU_DEP_2) | instskip(SKIP_1) | instid1(VALU_DEP_2)
	v_cndmask_b32_e32 v31, v31, v22, vcc_lo
	v_cmp_eq_u32_e32 vcc_lo, 21, v0
	v_cndmask_b32_e32 v31, v31, v23, vcc_lo
	v_cmp_eq_u32_e32 vcc_lo, 22, v0
	s_delay_alu instid0(VALU_DEP_2) | instskip(SKIP_1) | instid1(VALU_DEP_2)
	v_cndmask_b32_e32 v31, v31, v24, vcc_lo
	v_cmp_eq_u32_e32 vcc_lo, 23, v0
	v_cndmask_b32_e32 v31, v31, v25, vcc_lo
	v_cmp_eq_u32_e32 vcc_lo, 24, v0
	s_delay_alu instid0(VALU_DEP_2) | instskip(SKIP_1) | instid1(VALU_DEP_2)
	v_cndmask_b32_e32 v31, v31, v26, vcc_lo
	v_cmp_eq_u32_e32 vcc_lo, 25, v0
	v_cndmask_b32_e32 v31, v31, v27, vcc_lo
	v_cmp_eq_u32_e32 vcc_lo, 26, v0
	s_delay_alu instid0(VALU_DEP_2) | instskip(SKIP_1) | instid1(VALU_DEP_2)
	v_cndmask_b32_e32 v31, v31, v28, vcc_lo
	v_cmp_eq_u32_e32 vcc_lo, 27, v0
	v_cndmask_b32_e32 v31, v31, v29, vcc_lo
	v_cmp_eq_u32_e32 vcc_lo, 28, v0
	s_delay_alu instid0(VALU_DEP_2) | instskip(SKIP_1) | instid1(VALU_DEP_1)
	v_cndmask_b32_e32 v31, v31, v30, vcc_lo
	s_wait_dscnt 0x0
	v_mul_f32_e32 v31, v31, v32
	s_cbranch_execz .LBB28_700
	s_branch .LBB28_701
.LBB28_699:
                                        ; implicit-def: $vgpr31
.LBB28_700:
	ds_load_b32 v31, v127
.LBB28_701:
	s_mov_b32 s2, exec_lo
	v_cmpx_ne_u32_e32 26, v0
	s_cbranch_execz .LBB28_705
; %bb.702:
	v_mov_b64_e32 v[32:33], v[0:1]
	v_lshl_add_u32 v35, v0, 2, 0x84
	s_mov_b32 s3, 0
.LBB28_703:                             ; =>This Inner Loop Header: Depth=1
	s_delay_alu instid0(VALU_DEP_2)
	v_add_nc_u64_e32 v[32:33], 1, v[32:33]
	ds_load_b32 v37, v35
	v_add_nc_u32_e32 v35, 4, v35
	v_cmp_eq_u32_e32 vcc_lo, 1, v32
	v_cndmask_b32_e32 v36, v2, v3, vcc_lo
	v_cmp_eq_u32_e32 vcc_lo, 2, v32
	s_delay_alu instid0(VALU_DEP_2) | instskip(SKIP_1) | instid1(VALU_DEP_2)
	v_cndmask_b32_e32 v36, v36, v4, vcc_lo
	v_cmp_eq_u32_e32 vcc_lo, 3, v32
	v_cndmask_b32_e32 v36, v36, v5, vcc_lo
	v_cmp_eq_u32_e32 vcc_lo, 4, v32
	s_delay_alu instid0(VALU_DEP_2) | instskip(SKIP_1) | instid1(VALU_DEP_2)
	v_cndmask_b32_e32 v36, v36, v6, vcc_lo
	;; [unrolled: 5-line block ×13, first 2 shown]
	v_cmp_eq_u32_e32 vcc_lo, 27, v32
	v_cndmask_b32_e32 v36, v36, v29, vcc_lo
	v_cmp_eq_u32_e32 vcc_lo, 28, v32
	s_delay_alu instid0(VALU_DEP_2) | instskip(SKIP_2) | instid1(VALU_DEP_2)
	v_cndmask_b32_e32 v36, v36, v30, vcc_lo
	v_cmp_lt_u32_e32 vcc_lo, 25, v32
	s_wait_dscnt 0x0
	v_fmac_f32_e32 v31, v36, v37
	s_or_b32 s3, vcc_lo, s3
	s_delay_alu instid0(SALU_CYCLE_1)
	s_and_not1_b32 exec_lo, exec_lo, s3
	s_cbranch_execnz .LBB28_703
; %bb.704:
	s_or_b32 exec_lo, exec_lo, s3
.LBB28_705:
	s_delay_alu instid0(SALU_CYCLE_1)
	s_or_b32 exec_lo, exec_lo, s2
	v_mov_b32_e32 v29, 0
	ds_load_b32 v29, v29 offset:108
	s_wait_dscnt 0x0
	v_mul_f32_e32 v29, v31, v29
.LBB28_706:
	s_or_b32 exec_lo, exec_lo, s1
	s_delay_alu instid0(SALU_CYCLE_1)
	s_mov_b32 s1, exec_lo
	ds_store_b32 v127, v30
	s_wait_dscnt 0x0
	s_barrier_signal -1
	s_barrier_wait -1
	v_cmpx_ne_u32_e32 28, v0
	s_cbranch_execz .LBB28_716
; %bb.707:
	v_cmp_ne_u32_e32 vcc_lo, 1, v34
	s_cbranch_vccnz .LBB28_709
; %bb.708:
	v_cmp_eq_u32_e32 vcc_lo, 1, v0
	ds_load_b32 v32, v127
	v_cndmask_b32_e32 v31, v2, v3, vcc_lo
	v_cmp_eq_u32_e32 vcc_lo, 2, v0
	s_delay_alu instid0(VALU_DEP_2) | instskip(SKIP_1) | instid1(VALU_DEP_2)
	v_cndmask_b32_e32 v31, v31, v4, vcc_lo
	v_cmp_eq_u32_e32 vcc_lo, 3, v0
	v_cndmask_b32_e32 v31, v31, v5, vcc_lo
	v_cmp_eq_u32_e32 vcc_lo, 4, v0
	s_delay_alu instid0(VALU_DEP_2) | instskip(SKIP_1) | instid1(VALU_DEP_2)
	v_cndmask_b32_e32 v31, v31, v6, vcc_lo
	v_cmp_eq_u32_e32 vcc_lo, 5, v0
	;; [unrolled: 5-line block ×13, first 2 shown]
	v_cndmask_b32_e32 v31, v31, v29, vcc_lo
	v_cmp_eq_u32_e32 vcc_lo, 28, v0
	s_delay_alu instid0(VALU_DEP_2) | instskip(SKIP_1) | instid1(VALU_DEP_1)
	v_cndmask_b32_e32 v31, v31, v30, vcc_lo
	s_wait_dscnt 0x0
	v_mul_f32_e32 v31, v31, v32
	s_cbranch_execz .LBB28_710
	s_branch .LBB28_711
.LBB28_709:
                                        ; implicit-def: $vgpr31
.LBB28_710:
	ds_load_b32 v31, v127
.LBB28_711:
	s_and_saveexec_b32 s2, s0
	s_cbranch_execz .LBB28_715
; %bb.712:
	v_lshl_add_u32 v32, v0, 2, 0x84
	s_mov_b32 s0, 0
.LBB28_713:                             ; =>This Inner Loop Header: Depth=1
	v_add_nc_u64_e32 v[0:1], 1, v[0:1]
	ds_load_b32 v34, v32
	v_add_nc_u32_e32 v32, 4, v32
	v_cmp_eq_u32_e32 vcc_lo, 1, v0
	v_cndmask_b32_e32 v33, v2, v3, vcc_lo
	v_cmp_eq_u32_e32 vcc_lo, 2, v0
	s_delay_alu instid0(VALU_DEP_2) | instskip(SKIP_1) | instid1(VALU_DEP_2)
	v_cndmask_b32_e32 v33, v33, v4, vcc_lo
	v_cmp_eq_u32_e32 vcc_lo, 3, v0
	v_cndmask_b32_e32 v33, v33, v5, vcc_lo
	v_cmp_eq_u32_e32 vcc_lo, 4, v0
	s_delay_alu instid0(VALU_DEP_2) | instskip(SKIP_1) | instid1(VALU_DEP_2)
	v_cndmask_b32_e32 v33, v33, v6, vcc_lo
	;; [unrolled: 5-line block ×13, first 2 shown]
	v_cmp_eq_u32_e32 vcc_lo, 27, v0
	v_cndmask_b32_e32 v33, v33, v29, vcc_lo
	v_cmp_eq_u32_e32 vcc_lo, 28, v0
	s_delay_alu instid0(VALU_DEP_2) | instskip(SKIP_2) | instid1(VALU_DEP_2)
	v_cndmask_b32_e32 v33, v33, v30, vcc_lo
	v_cmp_lt_u32_e32 vcc_lo, 26, v0
	s_wait_dscnt 0x0
	v_fmac_f32_e32 v31, v33, v34
	s_or_b32 s0, vcc_lo, s0
	s_delay_alu instid0(SALU_CYCLE_1)
	s_and_not1_b32 exec_lo, exec_lo, s0
	s_cbranch_execnz .LBB28_713
; %bb.714:
	s_or_b32 exec_lo, exec_lo, s0
.LBB28_715:
	s_delay_alu instid0(SALU_CYCLE_1)
	s_or_b32 exec_lo, exec_lo, s2
	v_mov_b32_e32 v0, 0
	ds_load_b32 v0, v0 offset:112
	s_wait_dscnt 0x0
	v_mul_f32_e32 v30, v31, v0
.LBB28_716:
	s_or_b32 exec_lo, exec_lo, s1
	v_mov_b64_e32 v[64:65], v[32:33]
	s_delay_alu instid0(VALU_DEP_2)
	v_mov_b64_e32 v[62:63], v[30:31]
	v_mov_b64_e32 v[60:61], v[28:29]
	;; [unrolled: 1-line block ×15, first 2 shown]
.LBB28_717:
	s_wait_xcnt 0x4
	v_lshl_add_u64 v[0:1], v[66:67], 2, s[30:31]
	s_wait_loadcnt 0x4
	v_lshl_add_u64 v[2:3], v[68:69], 2, s[30:31]
	v_lshl_add_u64 v[4:5], v[70:71], 2, s[30:31]
	;; [unrolled: 1-line block ×12, first 2 shown]
	s_wait_loadcnt 0x3
	v_lshl_add_u64 v[26:27], v[92:93], 2, s[30:31]
	s_wait_loadcnt 0x1
	v_lshl_add_u64 v[28:29], v[94:95], 2, s[30:31]
	;; [unrolled: 2-line block ×3, first 2 shown]
	v_lshl_add_u64 v[32:33], v[98:99], 2, s[30:31]
	v_lshl_add_u64 v[64:65], v[100:101], 2, s[30:31]
	;; [unrolled: 1-line block ×11, first 2 shown]
	s_clause 0x1c
	global_store_b32 v[104:105], v34, off
	global_store_b32 v[108:109], v35, off
	;; [unrolled: 1-line block ×29, first 2 shown]
.LBB28_718:
	s_sendmsg sendmsg(MSG_DEALLOC_VGPRS)
	s_endpgm
	.section	.rodata,"a",@progbits
	.p2align	6, 0x0
	.amdhsa_kernel _ZN9rocsolver6v33100L18trti2_kernel_smallILi29EfPfEEv13rocblas_fill_17rocblas_diagonal_T1_iil
		.amdhsa_group_segment_fixed_size 244
		.amdhsa_private_segment_fixed_size 0
		.amdhsa_kernarg_size 32
		.amdhsa_user_sgpr_count 2
		.amdhsa_user_sgpr_dispatch_ptr 0
		.amdhsa_user_sgpr_queue_ptr 0
		.amdhsa_user_sgpr_kernarg_segment_ptr 1
		.amdhsa_user_sgpr_dispatch_id 0
		.amdhsa_user_sgpr_kernarg_preload_length 0
		.amdhsa_user_sgpr_kernarg_preload_offset 0
		.amdhsa_user_sgpr_private_segment_size 0
		.amdhsa_wavefront_size32 1
		.amdhsa_uses_dynamic_stack 0
		.amdhsa_enable_private_segment 0
		.amdhsa_system_sgpr_workgroup_id_x 1
		.amdhsa_system_sgpr_workgroup_id_y 0
		.amdhsa_system_sgpr_workgroup_id_z 0
		.amdhsa_system_sgpr_workgroup_info 0
		.amdhsa_system_vgpr_workitem_id 0
		.amdhsa_next_free_vgpr 139
		.amdhsa_next_free_sgpr 44
		.amdhsa_named_barrier_count 0
		.amdhsa_reserve_vcc 1
		.amdhsa_float_round_mode_32 0
		.amdhsa_float_round_mode_16_64 0
		.amdhsa_float_denorm_mode_32 3
		.amdhsa_float_denorm_mode_16_64 3
		.amdhsa_fp16_overflow 0
		.amdhsa_memory_ordered 1
		.amdhsa_forward_progress 1
		.amdhsa_inst_pref_size 255
		.amdhsa_round_robin_scheduling 0
		.amdhsa_exception_fp_ieee_invalid_op 0
		.amdhsa_exception_fp_denorm_src 0
		.amdhsa_exception_fp_ieee_div_zero 0
		.amdhsa_exception_fp_ieee_overflow 0
		.amdhsa_exception_fp_ieee_underflow 0
		.amdhsa_exception_fp_ieee_inexact 0
		.amdhsa_exception_int_div_zero 0
	.end_amdhsa_kernel
	.section	.text._ZN9rocsolver6v33100L18trti2_kernel_smallILi29EfPfEEv13rocblas_fill_17rocblas_diagonal_T1_iil,"axG",@progbits,_ZN9rocsolver6v33100L18trti2_kernel_smallILi29EfPfEEv13rocblas_fill_17rocblas_diagonal_T1_iil,comdat
.Lfunc_end28:
	.size	_ZN9rocsolver6v33100L18trti2_kernel_smallILi29EfPfEEv13rocblas_fill_17rocblas_diagonal_T1_iil, .Lfunc_end28-_ZN9rocsolver6v33100L18trti2_kernel_smallILi29EfPfEEv13rocblas_fill_17rocblas_diagonal_T1_iil
                                        ; -- End function
	.set _ZN9rocsolver6v33100L18trti2_kernel_smallILi29EfPfEEv13rocblas_fill_17rocblas_diagonal_T1_iil.num_vgpr, 139
	.set _ZN9rocsolver6v33100L18trti2_kernel_smallILi29EfPfEEv13rocblas_fill_17rocblas_diagonal_T1_iil.num_agpr, 0
	.set _ZN9rocsolver6v33100L18trti2_kernel_smallILi29EfPfEEv13rocblas_fill_17rocblas_diagonal_T1_iil.numbered_sgpr, 44
	.set _ZN9rocsolver6v33100L18trti2_kernel_smallILi29EfPfEEv13rocblas_fill_17rocblas_diagonal_T1_iil.num_named_barrier, 0
	.set _ZN9rocsolver6v33100L18trti2_kernel_smallILi29EfPfEEv13rocblas_fill_17rocblas_diagonal_T1_iil.private_seg_size, 0
	.set _ZN9rocsolver6v33100L18trti2_kernel_smallILi29EfPfEEv13rocblas_fill_17rocblas_diagonal_T1_iil.uses_vcc, 1
	.set _ZN9rocsolver6v33100L18trti2_kernel_smallILi29EfPfEEv13rocblas_fill_17rocblas_diagonal_T1_iil.uses_flat_scratch, 0
	.set _ZN9rocsolver6v33100L18trti2_kernel_smallILi29EfPfEEv13rocblas_fill_17rocblas_diagonal_T1_iil.has_dyn_sized_stack, 0
	.set _ZN9rocsolver6v33100L18trti2_kernel_smallILi29EfPfEEv13rocblas_fill_17rocblas_diagonal_T1_iil.has_recursion, 0
	.set _ZN9rocsolver6v33100L18trti2_kernel_smallILi29EfPfEEv13rocblas_fill_17rocblas_diagonal_T1_iil.has_indirect_call, 0
	.section	.AMDGPU.csdata,"",@progbits
; Kernel info:
; codeLenInByte = 52384
; TotalNumSgprs: 46
; NumVgprs: 139
; ScratchSize: 0
; MemoryBound: 0
; FloatMode: 240
; IeeeMode: 1
; LDSByteSize: 244 bytes/workgroup (compile time only)
; SGPRBlocks: 0
; VGPRBlocks: 8
; NumSGPRsForWavesPerEU: 46
; NumVGPRsForWavesPerEU: 139
; NamedBarCnt: 0
; Occupancy: 7
; WaveLimiterHint : 0
; COMPUTE_PGM_RSRC2:SCRATCH_EN: 0
; COMPUTE_PGM_RSRC2:USER_SGPR: 2
; COMPUTE_PGM_RSRC2:TRAP_HANDLER: 0
; COMPUTE_PGM_RSRC2:TGID_X_EN: 1
; COMPUTE_PGM_RSRC2:TGID_Y_EN: 0
; COMPUTE_PGM_RSRC2:TGID_Z_EN: 0
; COMPUTE_PGM_RSRC2:TIDIG_COMP_CNT: 0
	.section	.text._ZN9rocsolver6v33100L18trti2_kernel_smallILi30EfPfEEv13rocblas_fill_17rocblas_diagonal_T1_iil,"axG",@progbits,_ZN9rocsolver6v33100L18trti2_kernel_smallILi30EfPfEEv13rocblas_fill_17rocblas_diagonal_T1_iil,comdat
	.globl	_ZN9rocsolver6v33100L18trti2_kernel_smallILi30EfPfEEv13rocblas_fill_17rocblas_diagonal_T1_iil ; -- Begin function _ZN9rocsolver6v33100L18trti2_kernel_smallILi30EfPfEEv13rocblas_fill_17rocblas_diagonal_T1_iil
	.p2align	8
	.type	_ZN9rocsolver6v33100L18trti2_kernel_smallILi30EfPfEEv13rocblas_fill_17rocblas_diagonal_T1_iil,@function
_ZN9rocsolver6v33100L18trti2_kernel_smallILi30EfPfEEv13rocblas_fill_17rocblas_diagonal_T1_iil: ; @_ZN9rocsolver6v33100L18trti2_kernel_smallILi30EfPfEEv13rocblas_fill_17rocblas_diagonal_T1_iil
; %bb.0:
	s_mov_b32 s2, exec_lo
	v_cmpx_gt_u32_e32 30, v0
	s_cbranch_execz .LBB29_744
; %bb.1:
	s_load_b256 s[36:43], s[0:1], 0x0
	s_wait_xcnt 0x0
	s_bfe_u32 s0, ttmp6, 0x4000c
	s_and_b32 s1, ttmp6, 15
	s_add_co_i32 s0, s0, 1
	s_getreg_b32 s2, hwreg(HW_REG_IB_STS2, 6, 4)
	s_mul_i32 s0, ttmp9, s0
	s_delay_alu instid0(SALU_CYCLE_1)
	s_add_co_i32 s0, s1, s0
	s_wait_kmcnt 0x0
	v_add3_u32 v66, s41, s41, v0
	s_ashr_i32 s1, s40, 31
	s_cmp_eq_u32 s2, 0
	s_cselect_b32 s2, ttmp9, s0
	s_delay_alu instid0(VALU_DEP_1)
	v_add_nc_u32_e32 v68, s41, v66
	s_ashr_i32 s3, s2, 31
	s_mov_b32 s0, s40
	s_mul_u64 s[2:3], s[42:43], s[2:3]
	s_lshl_b64 s[0:1], s[0:1], 2
	v_add_nc_u32_e32 v70, s41, v68
	s_lshl_b64 s[2:3], s[2:3], 2
	s_delay_alu instid0(SALU_CYCLE_1) | instskip(NEXT) | instid1(SALU_CYCLE_1)
	s_add_nc_u64 s[2:3], s[38:39], s[2:3]
	s_add_nc_u64 s[30:31], s[2:3], s[0:1]
	s_delay_alu instid0(VALU_DEP_1) | instskip(SKIP_3) | instid1(VALU_DEP_1)
	v_add_nc_u32_e32 v72, s41, v70
	s_mov_b32 s0, s41
	s_ashr_i32 s1, s41, 31
	s_cmp_lg_u32 s37, 0x84
	v_add_nc_u32_e32 v74, s41, v72
	s_cselect_b32 s33, -1, 0
	s_cmp_eq_u32 s37, 0x84
	s_delay_alu instid0(VALU_DEP_1) | instskip(NEXT) | instid1(VALU_DEP_1)
	v_add_nc_u32_e32 v76, s41, v74
	v_add_nc_u32_e32 v78, s41, v76
	s_delay_alu instid0(VALU_DEP_1) | instskip(NEXT) | instid1(VALU_DEP_1)
	v_add_nc_u32_e32 v80, s41, v78
	v_add_nc_u32_e32 v82, s41, v80
	;; [unrolled: 3-line block ×6, first 2 shown]
	s_delay_alu instid0(VALU_DEP_1) | instskip(NEXT) | instid1(VALU_DEP_1)
	v_add_nc_u32_e32 v100, s41, v98
	v_dual_mov_b32 v1, 0 :: v_dual_add_nc_u32 v102, s41, v100
	s_delay_alu instid0(VALU_DEP_1) | instskip(NEXT) | instid1(VALU_DEP_1)
	v_dual_add_nc_u32 v104, s41, v102 :: v_dual_lshlrev_b32 v34, 2, v0
	v_dual_mov_b32 v35, v1 :: v_dual_add_nc_u32 v108, s41, v104
	s_delay_alu instid0(VALU_DEP_1) | instskip(NEXT) | instid1(VALU_DEP_2)
	v_add_nc_u64_e32 v[106:107], s[30:31], v[34:35]
	v_dual_mov_b32 v35, -1.0 :: v_dual_add_nc_u32 v112, s41, v108
	s_delay_alu instid0(VALU_DEP_2) | instskip(NEXT) | instid1(VALU_DEP_2)
	v_lshl_add_u64 v[110:111], s[0:1], 2, v[106:107]
	v_add_nc_u32_e32 v114, s41, v112
	s_clause 0x7
	global_load_b32 v3, v[110:111], off
	global_load_b32 v4, v66, s[30:31] scale_offset
	global_load_b32 v5, v68, s[30:31] scale_offset
	;; [unrolled: 1-line block ×7, first 2 shown]
	v_add_nc_u32_e32 v116, s41, v114
	s_clause 0x7
	global_load_b32 v11, v80, s[30:31] scale_offset
	global_load_b32 v12, v82, s[30:31] scale_offset
	;; [unrolled: 1-line block ×8, first 2 shown]
	v_cmp_eq_u32_e64 s0, 0, v0
	v_add_nc_u32_e32 v118, s41, v116
	s_delay_alu instid0(VALU_DEP_1) | instskip(NEXT) | instid1(VALU_DEP_1)
	v_add_nc_u32_e32 v120, s41, v118
	v_add_nc_u32_e32 v122, s41, v120
	s_delay_alu instid0(VALU_DEP_1)
	v_add_nc_u32_e32 v124, s41, v122
	s_clause 0xd
	global_load_b32 v19, v96, s[30:31] scale_offset
	global_load_b32 v20, v98, s[30:31] scale_offset
	;; [unrolled: 1-line block ×14, first 2 shown]
	s_cbranch_scc1 .LBB29_3
; %bb.2:
	v_cmp_eq_u32_e64 s1, 1, v0
	v_cmp_eq_u32_e64 s2, 2, v0
	v_cmp_eq_u32_e64 s3, 3, v0
	v_cmp_eq_u32_e64 s4, 4, v0
	v_cmp_eq_u32_e64 s5, 5, v0
	s_wait_loadcnt 0x5
	v_cndmask_b32_e64 v32, v2, v3, s1
	v_cmp_eq_u32_e64 s6, 6, v0
	v_cmp_eq_u32_e64 s7, 7, v0
	v_cmp_eq_u32_e64 s8, 8, v0
	v_cmp_eq_u32_e64 s9, 9, v0
	v_cndmask_b32_e64 v32, v32, v4, s2
	v_cmp_eq_u32_e64 s10, 10, v0
	v_cmp_eq_u32_e64 s11, 11, v0
	v_cmp_eq_u32_e64 s12, 12, v0
	v_cmp_eq_u32_e64 s13, 13, v0
	;; [unrolled: 5-line block ×6, first 2 shown]
	v_cndmask_b32_e64 v32, v32, v9, s7
	s_delay_alu instid0(VALU_DEP_1) | instskip(NEXT) | instid1(VALU_DEP_1)
	v_cndmask_b32_e64 v32, v32, v10, s8
	v_cndmask_b32_e64 v32, v32, v11, s9
	s_delay_alu instid0(VALU_DEP_1) | instskip(NEXT) | instid1(VALU_DEP_1)
	v_cndmask_b32_e64 v32, v32, v12, s10
	;; [unrolled: 3-line block ×8, first 2 shown]
	v_cndmask_b32_e64 v32, v32, v25, s23
	s_delay_alu instid0(VALU_DEP_1) | instskip(SKIP_1) | instid1(VALU_DEP_1)
	v_cndmask_b32_e64 v32, v32, v26, s24
	s_wait_loadcnt 0x4
	v_cndmask_b32_e64 v32, v32, v27, s25
	s_wait_loadcnt 0x3
	s_delay_alu instid0(VALU_DEP_1) | instskip(SKIP_1) | instid1(VALU_DEP_1)
	v_cndmask_b32_e64 v32, v32, v28, s26
	s_wait_loadcnt 0x2
	v_cndmask_b32_e64 v32, v32, v29, s27
	s_wait_loadcnt 0x1
	s_delay_alu instid0(VALU_DEP_1) | instskip(SKIP_1) | instid1(VALU_DEP_1)
	v_cndmask_b32_e64 v32, v32, v30, s28
	s_wait_loadcnt 0x0
	v_cndmask_b32_e64 v32, v32, v31, s29
	s_delay_alu instid0(VALU_DEP_1) | instskip(SKIP_1) | instid1(VALU_DEP_2)
	v_div_scale_f32 v33, null, v32, v32, 1.0
	v_div_scale_f32 v37, vcc_lo, 1.0, v32, 1.0
	v_rcp_f32_e32 v35, v33
	v_nop
	s_delay_alu instid0(TRANS32_DEP_1) | instskip(NEXT) | instid1(VALU_DEP_1)
	v_fma_f32 v36, -v33, v35, 1.0
	v_fmac_f32_e32 v35, v36, v35
	s_delay_alu instid0(VALU_DEP_1) | instskip(NEXT) | instid1(VALU_DEP_1)
	v_mul_f32_e32 v36, v37, v35
	v_fma_f32 v38, -v33, v36, v37
	s_delay_alu instid0(VALU_DEP_1) | instskip(NEXT) | instid1(VALU_DEP_1)
	v_fmac_f32_e32 v36, v38, v35
	v_fma_f32 v33, -v33, v36, v37
	s_delay_alu instid0(VALU_DEP_1) | instskip(NEXT) | instid1(VALU_DEP_1)
	v_div_fmas_f32 v33, v33, v35, v36
	v_div_fixup_f32 v32, v33, v32, 1.0
	s_delay_alu instid0(VALU_DEP_1)
	v_dual_cndmask_b32 v31, v31, v32, s29 :: v_dual_cndmask_b32 v30, v30, v32, s28
	v_dual_cndmask_b32 v29, v29, v32, s27 :: v_dual_cndmask_b32 v28, v28, v32, s26
	;; [unrolled: 1-line block ×15, first 2 shown]
	v_xor_b32_e32 v35, 0x80000000, v32
.LBB29_3:
	v_dual_ashrrev_i32 v67, 31, v66 :: v_dual_ashrrev_i32 v69, 31, v68
	v_dual_ashrrev_i32 v71, 31, v70 :: v_dual_ashrrev_i32 v73, 31, v72
	v_dual_ashrrev_i32 v75, 31, v74 :: v_dual_ashrrev_i32 v77, 31, v76
	v_dual_ashrrev_i32 v79, 31, v78 :: v_dual_ashrrev_i32 v81, 31, v80
	v_dual_ashrrev_i32 v83, 31, v82 :: v_dual_ashrrev_i32 v85, 31, v84
	v_dual_ashrrev_i32 v87, 31, v86 :: v_dual_ashrrev_i32 v89, 31, v88
	v_dual_ashrrev_i32 v91, 31, v90 :: v_dual_ashrrev_i32 v93, 31, v92
	v_dual_ashrrev_i32 v95, 31, v94 :: v_dual_ashrrev_i32 v97, 31, v96
	v_dual_ashrrev_i32 v99, 31, v98 :: v_dual_ashrrev_i32 v101, 31, v100
	v_dual_ashrrev_i32 v103, 31, v102 :: v_dual_ashrrev_i32 v105, 31, v104
	v_dual_ashrrev_i32 v109, 31, v108 :: v_dual_ashrrev_i32 v115, 31, v114
	v_dual_ashrrev_i32 v113, 31, v112 :: v_dual_ashrrev_i32 v119, 31, v118
	v_dual_ashrrev_i32 v117, 31, v116 :: v_dual_ashrrev_i32 v123, 31, v122
	v_ashrrev_i32_e32 v121, 31, v120
	v_ashrrev_i32_e32 v125, 31, v124
	v_add_nc_u32_e32 v129, 0x80, v34
	s_cmp_eq_u32 s36, 0x79
	ds_store_b32 v34, v35
	s_cbranch_scc1 .LBB29_7
; %bb.4:
	s_wait_loadcnt 0x0
	v_mov_b64_e32 v[64:65], v[32:33]
	v_mov_b64_e32 v[62:63], v[30:31]
	;; [unrolled: 1-line block ×16, first 2 shown]
	v_cmp_eq_u32_e64 s0, 29, v0
	ds_store_b32 v129, v30
	s_wait_dscnt 0x0
	s_barrier_signal -1
	s_barrier_wait -1
	s_and_saveexec_b32 s1, s0
	s_cbranch_execz .LBB29_11
; %bb.5:
	s_and_b32 vcc_lo, exec_lo, s33
	s_cbranch_vccz .LBB29_8
; %bb.6:
	v_cmp_eq_u32_e32 vcc_lo, 1, v0
	ds_load_b32 v35, v129
	v_cndmask_b32_e32 v34, v2, v3, vcc_lo
	v_cmp_eq_u32_e32 vcc_lo, 2, v0
	s_delay_alu instid0(VALU_DEP_2) | instskip(SKIP_1) | instid1(VALU_DEP_2)
	v_cndmask_b32_e32 v34, v34, v4, vcc_lo
	v_cmp_eq_u32_e32 vcc_lo, 3, v0
	v_cndmask_b32_e32 v34, v34, v5, vcc_lo
	v_cmp_eq_u32_e32 vcc_lo, 4, v0
	s_delay_alu instid0(VALU_DEP_2) | instskip(SKIP_1) | instid1(VALU_DEP_2)
	v_cndmask_b32_e32 v34, v34, v6, vcc_lo
	v_cmp_eq_u32_e32 vcc_lo, 5, v0
	;; [unrolled: 5-line block ×14, first 2 shown]
	v_cndmask_b32_e32 v34, v34, v31, vcc_lo
	s_wait_dscnt 0x0
	s_delay_alu instid0(VALU_DEP_1)
	v_mul_f32_e32 v57, v34, v35
	s_cbranch_execz .LBB29_9
	s_branch .LBB29_10
.LBB29_7:
                                        ; implicit-def: $vgpr34_vgpr35_vgpr36_vgpr37_vgpr38_vgpr39_vgpr40_vgpr41_vgpr42_vgpr43_vgpr44_vgpr45_vgpr46_vgpr47_vgpr48_vgpr49_vgpr50_vgpr51_vgpr52_vgpr53_vgpr54_vgpr55_vgpr56_vgpr57_vgpr58_vgpr59_vgpr60_vgpr61_vgpr62_vgpr63_vgpr64_vgpr65
	s_cbranch_execnz .LBB29_450
	s_branch .LBB29_743
.LBB29_8:
                                        ; implicit-def: $vgpr57
.LBB29_9:
	ds_load_b32 v57, v129
.LBB29_10:
	v_dual_mov_b32 v38, 0 :: v_dual_mov_b32 v34, v2
	v_dual_mov_b32 v35, v3 :: v_dual_mov_b32 v36, v4
	v_mov_b32_e32 v37, v5
	ds_load_b32 v58, v38 offset:112
	v_dual_mov_b32 v38, v6 :: v_dual_mov_b32 v39, v7
	v_dual_mov_b32 v40, v8 :: v_dual_mov_b32 v41, v9
	;; [unrolled: 1-line block ×9, first 2 shown]
	s_wait_dscnt 0x0
	v_dual_mov_b32 v56, v24 :: v_dual_mul_f32 v62, v57, v58
	v_dual_mov_b32 v58, v26 :: v_dual_mov_b32 v57, v25
	v_dual_mov_b32 v59, v27 :: v_dual_mov_b32 v60, v28
	;; [unrolled: 1-line block ×3, first 2 shown]
.LBB29_11:
	s_or_b32 exec_lo, exec_lo, s1
	v_cmp_lt_u32_e64 s1, 27, v0
	ds_store_b32 v129, v61
	s_wait_dscnt 0x0
	s_barrier_signal -1
	s_barrier_wait -1
	s_and_saveexec_b32 s2, s1
	s_cbranch_execz .LBB29_17
; %bb.12:
	s_and_not1_b32 vcc_lo, exec_lo, s33
	s_cbranch_vccnz .LBB29_14
; %bb.13:
	v_cmp_eq_u32_e32 vcc_lo, 1, v0
	ds_load_b32 v65, v129
	v_cndmask_b32_e32 v64, v34, v35, vcc_lo
	v_cmp_eq_u32_e32 vcc_lo, 2, v0
	s_delay_alu instid0(VALU_DEP_2) | instskip(SKIP_1) | instid1(VALU_DEP_2)
	v_cndmask_b32_e32 v64, v64, v36, vcc_lo
	v_cmp_eq_u32_e32 vcc_lo, 3, v0
	v_cndmask_b32_e32 v64, v64, v37, vcc_lo
	v_cmp_eq_u32_e32 vcc_lo, 4, v0
	s_delay_alu instid0(VALU_DEP_2) | instskip(SKIP_1) | instid1(VALU_DEP_2)
	v_cndmask_b32_e32 v64, v64, v38, vcc_lo
	v_cmp_eq_u32_e32 vcc_lo, 5, v0
	;; [unrolled: 5-line block ×14, first 2 shown]
	v_cndmask_b32_e32 v61, v61, v63, vcc_lo
	s_wait_dscnt 0x0
	s_delay_alu instid0(VALU_DEP_1)
	v_mul_f32_e32 v61, v61, v65
	s_cbranch_execz .LBB29_15
	s_branch .LBB29_16
.LBB29_14:
                                        ; implicit-def: $vgpr61
.LBB29_15:
	ds_load_b32 v61, v129
.LBB29_16:
	v_mov_b32_e32 v64, 0
	ds_load_2addr_b32 v[64:65], v64 offset0:27 offset1:60
	s_wait_dscnt 0x0
	v_fma_f32 v65, v62, v65, v61
	s_delay_alu instid0(VALU_DEP_1) | instskip(NEXT) | instid1(VALU_DEP_1)
	v_cndmask_b32_e64 v61, v61, v65, s0
	v_mul_f32_e32 v61, v61, v64
.LBB29_17:
	s_or_b32 exec_lo, exec_lo, s2
	v_cmp_lt_u32_e64 s0, 26, v0
	ds_store_b32 v129, v60
	s_wait_dscnt 0x0
	s_barrier_signal -1
	s_barrier_wait -1
	s_and_saveexec_b32 s4, s0
	s_cbranch_execz .LBB29_33
; %bb.18:
	s_and_not1_b32 vcc_lo, exec_lo, s33
	s_cbranch_vccnz .LBB29_20
; %bb.19:
	v_cmp_eq_u32_e32 vcc_lo, 1, v0
	v_cmp_eq_u32_e64 s2, 2, v0
	ds_load_b32 v127, v129
	v_cndmask_b32_e32 v126, v34, v35, vcc_lo
	v_cmp_eq_u32_e32 vcc_lo, 3, v0
	s_delay_alu instid0(VALU_DEP_2) | instskip(SKIP_1) | instid1(VALU_DEP_2)
	v_cndmask_b32_e64 v126, v126, v36, s2
	v_cmp_eq_u32_e64 s2, 4, v0
	v_cndmask_b32_e32 v126, v126, v37, vcc_lo
	v_cmp_eq_u32_e32 vcc_lo, 5, v0
	s_delay_alu instid0(VALU_DEP_2) | instskip(SKIP_1) | instid1(VALU_DEP_2)
	v_cndmask_b32_e64 v126, v126, v38, s2
	v_cmp_eq_u32_e64 s2, 6, v0
	;; [unrolled: 5-line block ×13, first 2 shown]
	v_cndmask_b32_e32 v126, v126, v61, vcc_lo
	v_cmp_eq_u32_e32 vcc_lo, 29, v0
	s_delay_alu instid0(VALU_DEP_2) | instskip(NEXT) | instid1(VALU_DEP_1)
	v_cndmask_b32_e64 v126, v126, v62, s2
	v_cndmask_b32_e32 v126, v126, v63, vcc_lo
	s_wait_dscnt 0x0
	s_delay_alu instid0(VALU_DEP_1)
	v_mul_f32_e32 v130, v126, v127
	s_cbranch_execz .LBB29_21
	s_branch .LBB29_22
.LBB29_20:
                                        ; implicit-def: $vgpr130
.LBB29_21:
	ds_load_b32 v130, v129
.LBB29_22:
	s_and_saveexec_b32 s5, s1
	s_cbranch_execz .LBB29_32
; %bb.23:
	v_subrev_nc_u32_e32 v128, 28, v0
	v_mov_b32_e32 v126, 27
	v_subrev_nc_u32_e32 v127, 27, v0
	s_mov_b32 s1, exec_lo
	s_delay_alu instid0(VALU_DEP_3)
	v_cmpx_lt_u32_e32 6, v128
	s_cbranch_execz .LBB29_27
; %bb.24:
	s_delay_alu instid0(VALU_DEP_2) | instskip(SKIP_3) | instid1(VALU_DEP_1)
	v_and_b32_e32 v126, -8, v127
	s_mov_b32 s6, 0
	s_mov_b64 s[2:3], 34
	s_movk_i32 s7, 0xec
	v_sub_nc_u32_e32 v128, 0, v126
.LBB29_25:                              ; =>This Inner Loop Header: Depth=1
	s_add_co_i32 m0, s2, -7
	v_movrels_b32_e32 v131, v34
	v_mov_b32_e32 v126, s7
	s_add_co_i32 m0, s2, -6
	s_add_co_i32 s7, s7, 32
	v_movrels_b32_e32 v140, v34
	ds_load_2addr_b32 v[132:133], v126 offset1:1
	ds_load_2addr_b32 v[134:135], v126 offset0:2 offset1:3
	s_add_co_i32 m0, s2, -5
	s_wait_dscnt 0x1
	v_fmac_f32_e32 v130, v131, v132
	ds_load_2addr_b32 v[136:137], v126 offset0:4 offset1:5
	ds_load_2addr_b32 v[138:139], v126 offset0:6 offset1:7
	v_movrels_b32_e32 v126, v34
	s_add_co_i32 m0, s2, -4
	v_fmac_f32_e32 v130, v140, v133
	v_movrels_b32_e32 v131, v34
	s_add_co_i32 m0, s2, -3
	s_wait_dscnt 0x2
	s_delay_alu instid0(VALU_DEP_2) | instskip(SKIP_2) | instid1(VALU_DEP_2)
	v_fmac_f32_e32 v130, v126, v134
	v_movrels_b32_e32 v126, v34
	s_add_co_i32 m0, s2, -2
	v_fmac_f32_e32 v130, v131, v135
	v_movrels_b32_e32 v131, v34
	s_add_co_i32 m0, s2, -1
	s_wait_dscnt 0x1
	s_delay_alu instid0(VALU_DEP_2)
	v_fmac_f32_e32 v130, v126, v136
	v_movrels_b32_e32 v126, v34
	s_mov_b32 m0, s2
	s_add_nc_u64 s[2:3], s[2:3], 8
	v_movrels_b32_e32 v132, v34
	v_dual_fmac_f32 v130, v131, v137 :: v_dual_add_nc_u32 v131, s2, v128
	s_add_co_i32 s8, s2, -7
	s_wait_dscnt 0x0
	s_delay_alu instid0(VALU_DEP_1) | instskip(NEXT) | instid1(VALU_DEP_2)
	v_fmac_f32_e32 v130, v126, v138
	v_cmp_eq_u32_e32 vcc_lo, 34, v131
	s_delay_alu instid0(VALU_DEP_2) | instskip(SKIP_1) | instid1(SALU_CYCLE_1)
	v_dual_mov_b32 v126, s8 :: v_dual_fmac_f32 v130, v132, v139
	s_or_b32 s6, vcc_lo, s6
	s_and_not1_b32 exec_lo, exec_lo, s6
	s_cbranch_execnz .LBB29_25
; %bb.26:
	s_or_b32 exec_lo, exec_lo, s6
.LBB29_27:
	s_delay_alu instid0(SALU_CYCLE_1) | instskip(SKIP_3) | instid1(VALU_DEP_1)
	s_or_b32 exec_lo, exec_lo, s1
	v_and_b32_e32 v64, 7, v127
	s_mov_b32 s2, 0
	s_mov_b32 s1, exec_lo
	v_cmpx_ne_u32_e32 0, v64
	s_cbranch_execz .LBB29_31
; %bb.28:
	v_lshl_add_u32 v65, v126, 2, 0x80
	v_mov_b32_e32 v127, 0
.LBB29_29:                              ; =>This Inner Loop Header: Depth=1
	v_cmp_eq_u32_e32 vcc_lo, 1, v126
	ds_load_b32 v131, v65
	v_dual_add_nc_u32 v64, -1, v64 :: v_dual_add_nc_u32 v65, 4, v65
	v_cndmask_b32_e32 v128, v34, v35, vcc_lo
	v_cmp_eq_u32_e32 vcc_lo, 2, v126
	s_delay_alu instid0(VALU_DEP_2) | instskip(SKIP_1) | instid1(VALU_DEP_2)
	v_cndmask_b32_e32 v128, v128, v36, vcc_lo
	v_cmp_eq_u32_e32 vcc_lo, 3, v126
	v_cndmask_b32_e32 v128, v128, v37, vcc_lo
	v_cmp_eq_u32_e32 vcc_lo, 4, v126
	s_delay_alu instid0(VALU_DEP_2) | instskip(SKIP_1) | instid1(VALU_DEP_2)
	v_cndmask_b32_e32 v128, v128, v38, vcc_lo
	v_cmp_eq_u32_e32 vcc_lo, 5, v126
	;; [unrolled: 5-line block ×13, first 2 shown]
	v_cndmask_b32_e32 v128, v128, v61, vcc_lo
	v_cmp_eq_u32_e32 vcc_lo, 28, v126
	s_delay_alu instid0(VALU_DEP_2) | instskip(SKIP_2) | instid1(VALU_DEP_3)
	v_cndmask_b32_e32 v128, v128, v62, vcc_lo
	v_cmp_eq_u32_e32 vcc_lo, 29, v126
	v_add_nc_u64_e32 v[126:127], 1, v[126:127]
	v_cndmask_b32_e32 v128, v128, v63, vcc_lo
	v_cmp_eq_u32_e32 vcc_lo, 0, v64
	s_wait_dscnt 0x0
	s_delay_alu instid0(VALU_DEP_2) | instskip(SKIP_1) | instid1(SALU_CYCLE_1)
	v_fmac_f32_e32 v130, v128, v131
	s_or_b32 s2, vcc_lo, s2
	s_and_not1_b32 exec_lo, exec_lo, s2
	s_cbranch_execnz .LBB29_29
; %bb.30:
	s_or_b32 exec_lo, exec_lo, s2
.LBB29_31:
	s_delay_alu instid0(SALU_CYCLE_1)
	s_or_b32 exec_lo, exec_lo, s1
.LBB29_32:
	s_delay_alu instid0(SALU_CYCLE_1)
	s_or_b32 exec_lo, exec_lo, s5
	v_mov_b32_e32 v60, 0
	ds_load_b32 v60, v60 offset:104
	s_wait_dscnt 0x0
	v_mul_f32_e32 v60, v130, v60
.LBB29_33:
	s_or_b32 exec_lo, exec_lo, s4
	v_cmp_lt_u32_e64 s1, 25, v0
	ds_store_b32 v129, v59
	s_wait_dscnt 0x0
	s_barrier_signal -1
	s_barrier_wait -1
	s_and_saveexec_b32 s4, s1
	s_cbranch_execz .LBB29_49
; %bb.34:
	s_and_not1_b32 vcc_lo, exec_lo, s33
	s_cbranch_vccnz .LBB29_36
; %bb.35:
	v_cmp_eq_u32_e32 vcc_lo, 1, v0
	ds_load_b32 v127, v129
	v_cndmask_b32_e32 v126, v34, v35, vcc_lo
	v_cmp_eq_u32_e32 vcc_lo, 2, v0
	s_delay_alu instid0(VALU_DEP_2) | instskip(SKIP_1) | instid1(VALU_DEP_2)
	v_cndmask_b32_e32 v126, v126, v36, vcc_lo
	v_cmp_eq_u32_e32 vcc_lo, 3, v0
	v_cndmask_b32_e32 v126, v126, v37, vcc_lo
	v_cmp_eq_u32_e32 vcc_lo, 4, v0
	s_delay_alu instid0(VALU_DEP_2) | instskip(SKIP_1) | instid1(VALU_DEP_2)
	v_cndmask_b32_e32 v126, v126, v38, vcc_lo
	v_cmp_eq_u32_e32 vcc_lo, 5, v0
	;; [unrolled: 5-line block ×14, first 2 shown]
	v_cndmask_b32_e32 v126, v126, v63, vcc_lo
	s_wait_dscnt 0x0
	s_delay_alu instid0(VALU_DEP_1)
	v_mul_f32_e32 v130, v126, v127
	s_cbranch_execz .LBB29_37
	s_branch .LBB29_38
.LBB29_36:
                                        ; implicit-def: $vgpr130
.LBB29_37:
	ds_load_b32 v130, v129
.LBB29_38:
	s_and_saveexec_b32 s5, s0
	s_cbranch_execz .LBB29_48
; %bb.39:
	v_subrev_nc_u32_e32 v128, 27, v0
	v_mov_b32_e32 v126, 26
	v_subrev_nc_u32_e32 v127, 26, v0
	s_mov_b32 s0, exec_lo
	s_delay_alu instid0(VALU_DEP_3)
	v_cmpx_lt_u32_e32 6, v128
	s_cbranch_execz .LBB29_43
; %bb.40:
	s_delay_alu instid0(VALU_DEP_2) | instskip(SKIP_3) | instid1(VALU_DEP_1)
	v_and_b32_e32 v126, -8, v127
	s_mov_b32 s6, 0
	s_mov_b64 s[2:3], 33
	s_movk_i32 s7, 0xe8
	v_sub_nc_u32_e32 v128, 0, v126
.LBB29_41:                              ; =>This Inner Loop Header: Depth=1
	s_add_co_i32 m0, s2, -7
	v_movrels_b32_e32 v131, v34
	v_mov_b32_e32 v126, s7
	s_add_co_i32 m0, s2, -6
	s_add_co_i32 s7, s7, 32
	v_movrels_b32_e32 v140, v34
	s_add_co_i32 m0, s2, -5
	ds_load_2addr_b64 v[132:135], v126 offset1:1
	ds_load_2addr_b64 v[136:139], v126 offset0:2 offset1:3
	v_movrels_b32_e32 v126, v34
	s_add_co_i32 m0, s2, -4
	s_wait_dscnt 0x1
	v_fmac_f32_e32 v130, v131, v132
	v_movrels_b32_e32 v131, v34
	s_add_co_i32 m0, s2, -3
	s_delay_alu instid0(VALU_DEP_2) | instskip(NEXT) | instid1(VALU_DEP_1)
	v_fmac_f32_e32 v130, v140, v133
	v_fmac_f32_e32 v130, v126, v134
	v_movrels_b32_e32 v126, v34
	s_add_co_i32 m0, s2, -2
	s_delay_alu instid0(VALU_DEP_2) | instskip(SKIP_3) | instid1(VALU_DEP_2)
	v_fmac_f32_e32 v130, v131, v135
	v_movrels_b32_e32 v131, v34
	s_add_co_i32 m0, s2, -1
	s_wait_dscnt 0x0
	v_fmac_f32_e32 v130, v126, v136
	v_movrels_b32_e32 v126, v34
	s_mov_b32 m0, s2
	s_add_nc_u64 s[2:3], s[2:3], 8
	v_movrels_b32_e32 v132, v34
	v_dual_fmac_f32 v130, v131, v137 :: v_dual_add_nc_u32 v131, s2, v128
	s_add_co_i32 s8, s2, -7
	s_delay_alu instid0(VALU_DEP_1) | instskip(NEXT) | instid1(VALU_DEP_2)
	v_fmac_f32_e32 v130, v126, v138
	v_cmp_eq_u32_e32 vcc_lo, 33, v131
	s_delay_alu instid0(VALU_DEP_2) | instskip(SKIP_1) | instid1(SALU_CYCLE_1)
	v_dual_mov_b32 v126, s8 :: v_dual_fmac_f32 v130, v132, v139
	s_or_b32 s6, vcc_lo, s6
	s_and_not1_b32 exec_lo, exec_lo, s6
	s_cbranch_execnz .LBB29_41
; %bb.42:
	s_or_b32 exec_lo, exec_lo, s6
.LBB29_43:
	s_delay_alu instid0(SALU_CYCLE_1) | instskip(SKIP_3) | instid1(VALU_DEP_1)
	s_or_b32 exec_lo, exec_lo, s0
	v_and_b32_e32 v64, 7, v127
	s_mov_b32 s2, 0
	s_mov_b32 s0, exec_lo
	v_cmpx_ne_u32_e32 0, v64
	s_cbranch_execz .LBB29_47
; %bb.44:
	v_lshl_add_u32 v65, v126, 2, 0x80
	v_mov_b32_e32 v127, 0
.LBB29_45:                              ; =>This Inner Loop Header: Depth=1
	v_cmp_eq_u32_e32 vcc_lo, 1, v126
	ds_load_b32 v131, v65
	v_dual_add_nc_u32 v64, -1, v64 :: v_dual_add_nc_u32 v65, 4, v65
	v_cndmask_b32_e32 v128, v34, v35, vcc_lo
	v_cmp_eq_u32_e32 vcc_lo, 2, v126
	s_delay_alu instid0(VALU_DEP_2) | instskip(SKIP_1) | instid1(VALU_DEP_2)
	v_cndmask_b32_e32 v128, v128, v36, vcc_lo
	v_cmp_eq_u32_e32 vcc_lo, 3, v126
	v_cndmask_b32_e32 v128, v128, v37, vcc_lo
	v_cmp_eq_u32_e32 vcc_lo, 4, v126
	s_delay_alu instid0(VALU_DEP_2) | instskip(SKIP_1) | instid1(VALU_DEP_2)
	v_cndmask_b32_e32 v128, v128, v38, vcc_lo
	v_cmp_eq_u32_e32 vcc_lo, 5, v126
	;; [unrolled: 5-line block ×13, first 2 shown]
	v_cndmask_b32_e32 v128, v128, v61, vcc_lo
	v_cmp_eq_u32_e32 vcc_lo, 28, v126
	s_delay_alu instid0(VALU_DEP_2) | instskip(SKIP_2) | instid1(VALU_DEP_3)
	v_cndmask_b32_e32 v128, v128, v62, vcc_lo
	v_cmp_eq_u32_e32 vcc_lo, 29, v126
	v_add_nc_u64_e32 v[126:127], 1, v[126:127]
	v_cndmask_b32_e32 v128, v128, v63, vcc_lo
	v_cmp_eq_u32_e32 vcc_lo, 0, v64
	s_wait_dscnt 0x0
	s_delay_alu instid0(VALU_DEP_2) | instskip(SKIP_1) | instid1(SALU_CYCLE_1)
	v_fmac_f32_e32 v130, v128, v131
	s_or_b32 s2, vcc_lo, s2
	s_and_not1_b32 exec_lo, exec_lo, s2
	s_cbranch_execnz .LBB29_45
; %bb.46:
	s_or_b32 exec_lo, exec_lo, s2
.LBB29_47:
	s_delay_alu instid0(SALU_CYCLE_1)
	s_or_b32 exec_lo, exec_lo, s0
.LBB29_48:
	s_delay_alu instid0(SALU_CYCLE_1)
	s_or_b32 exec_lo, exec_lo, s5
	v_mov_b32_e32 v59, 0
	ds_load_b32 v59, v59 offset:100
	s_wait_dscnt 0x0
	v_mul_f32_e32 v59, v130, v59
.LBB29_49:
	s_or_b32 exec_lo, exec_lo, s4
	v_cmp_lt_u32_e64 s0, 24, v0
	ds_store_b32 v129, v58
	s_wait_dscnt 0x0
	s_barrier_signal -1
	s_barrier_wait -1
	s_and_saveexec_b32 s4, s0
	s_cbranch_execz .LBB29_65
; %bb.50:
	s_and_not1_b32 vcc_lo, exec_lo, s33
	s_cbranch_vccnz .LBB29_52
; %bb.51:
	v_cmp_eq_u32_e32 vcc_lo, 1, v0
	ds_load_b32 v127, v129
	v_cndmask_b32_e32 v126, v34, v35, vcc_lo
	v_cmp_eq_u32_e32 vcc_lo, 2, v0
	s_delay_alu instid0(VALU_DEP_2) | instskip(SKIP_1) | instid1(VALU_DEP_2)
	v_cndmask_b32_e32 v126, v126, v36, vcc_lo
	v_cmp_eq_u32_e32 vcc_lo, 3, v0
	v_cndmask_b32_e32 v126, v126, v37, vcc_lo
	v_cmp_eq_u32_e32 vcc_lo, 4, v0
	s_delay_alu instid0(VALU_DEP_2) | instskip(SKIP_1) | instid1(VALU_DEP_2)
	v_cndmask_b32_e32 v126, v126, v38, vcc_lo
	v_cmp_eq_u32_e32 vcc_lo, 5, v0
	;; [unrolled: 5-line block ×14, first 2 shown]
	v_cndmask_b32_e32 v126, v126, v63, vcc_lo
	s_wait_dscnt 0x0
	s_delay_alu instid0(VALU_DEP_1)
	v_mul_f32_e32 v130, v126, v127
	s_cbranch_execz .LBB29_53
	s_branch .LBB29_54
.LBB29_52:
                                        ; implicit-def: $vgpr130
.LBB29_53:
	ds_load_b32 v130, v129
.LBB29_54:
	s_and_saveexec_b32 s5, s1
	s_cbranch_execz .LBB29_64
; %bb.55:
	v_subrev_nc_u32_e32 v128, 26, v0
	v_mov_b32_e32 v126, 25
	v_subrev_nc_u32_e32 v127, 25, v0
	s_mov_b32 s1, exec_lo
	s_delay_alu instid0(VALU_DEP_3)
	v_cmpx_lt_u32_e32 6, v128
	s_cbranch_execz .LBB29_59
; %bb.56:
	s_delay_alu instid0(VALU_DEP_2) | instskip(SKIP_3) | instid1(VALU_DEP_1)
	v_and_b32_e32 v126, -8, v127
	s_mov_b32 s6, 0
	s_mov_b64 s[2:3], 32
	s_movk_i32 s7, 0xe4
	v_sub_nc_u32_e32 v128, 0, v126
.LBB29_57:                              ; =>This Inner Loop Header: Depth=1
	s_add_co_i32 m0, s2, -7
	v_movrels_b32_e32 v131, v34
	v_mov_b32_e32 v126, s7
	s_add_co_i32 m0, s2, -6
	s_add_co_i32 s7, s7, 32
	v_movrels_b32_e32 v140, v34
	ds_load_2addr_b32 v[132:133], v126 offset1:1
	ds_load_2addr_b32 v[134:135], v126 offset0:2 offset1:3
	s_add_co_i32 m0, s2, -5
	s_wait_dscnt 0x1
	v_fmac_f32_e32 v130, v131, v132
	ds_load_2addr_b32 v[136:137], v126 offset0:4 offset1:5
	ds_load_2addr_b32 v[138:139], v126 offset0:6 offset1:7
	v_movrels_b32_e32 v126, v34
	s_add_co_i32 m0, s2, -4
	v_fmac_f32_e32 v130, v140, v133
	v_movrels_b32_e32 v131, v34
	s_add_co_i32 m0, s2, -3
	s_wait_dscnt 0x2
	s_delay_alu instid0(VALU_DEP_2) | instskip(SKIP_2) | instid1(VALU_DEP_2)
	v_fmac_f32_e32 v130, v126, v134
	v_movrels_b32_e32 v126, v34
	s_add_co_i32 m0, s2, -2
	v_fmac_f32_e32 v130, v131, v135
	v_movrels_b32_e32 v131, v34
	s_add_co_i32 m0, s2, -1
	s_wait_dscnt 0x1
	s_delay_alu instid0(VALU_DEP_2)
	v_fmac_f32_e32 v130, v126, v136
	v_movrels_b32_e32 v126, v34
	s_mov_b32 m0, s2
	s_add_nc_u64 s[2:3], s[2:3], 8
	v_movrels_b32_e32 v132, v34
	v_dual_fmac_f32 v130, v131, v137 :: v_dual_add_nc_u32 v131, s2, v128
	s_add_co_i32 s8, s2, -7
	s_wait_dscnt 0x0
	s_delay_alu instid0(VALU_DEP_1) | instskip(NEXT) | instid1(VALU_DEP_2)
	v_fmac_f32_e32 v130, v126, v138
	v_cmp_eq_u32_e32 vcc_lo, 32, v131
	s_delay_alu instid0(VALU_DEP_2) | instskip(SKIP_1) | instid1(SALU_CYCLE_1)
	v_dual_mov_b32 v126, s8 :: v_dual_fmac_f32 v130, v132, v139
	s_or_b32 s6, vcc_lo, s6
	s_and_not1_b32 exec_lo, exec_lo, s6
	s_cbranch_execnz .LBB29_57
; %bb.58:
	s_or_b32 exec_lo, exec_lo, s6
.LBB29_59:
	s_delay_alu instid0(SALU_CYCLE_1) | instskip(SKIP_3) | instid1(VALU_DEP_1)
	s_or_b32 exec_lo, exec_lo, s1
	v_and_b32_e32 v64, 7, v127
	s_mov_b32 s2, 0
	s_mov_b32 s1, exec_lo
	v_cmpx_ne_u32_e32 0, v64
	s_cbranch_execz .LBB29_63
; %bb.60:
	v_lshl_add_u32 v65, v126, 2, 0x80
	v_mov_b32_e32 v127, 0
.LBB29_61:                              ; =>This Inner Loop Header: Depth=1
	v_cmp_eq_u32_e32 vcc_lo, 1, v126
	ds_load_b32 v131, v65
	v_dual_add_nc_u32 v64, -1, v64 :: v_dual_add_nc_u32 v65, 4, v65
	v_cndmask_b32_e32 v128, v34, v35, vcc_lo
	v_cmp_eq_u32_e32 vcc_lo, 2, v126
	s_delay_alu instid0(VALU_DEP_2) | instskip(SKIP_1) | instid1(VALU_DEP_2)
	v_cndmask_b32_e32 v128, v128, v36, vcc_lo
	v_cmp_eq_u32_e32 vcc_lo, 3, v126
	v_cndmask_b32_e32 v128, v128, v37, vcc_lo
	v_cmp_eq_u32_e32 vcc_lo, 4, v126
	s_delay_alu instid0(VALU_DEP_2) | instskip(SKIP_1) | instid1(VALU_DEP_2)
	v_cndmask_b32_e32 v128, v128, v38, vcc_lo
	v_cmp_eq_u32_e32 vcc_lo, 5, v126
	v_cndmask_b32_e32 v128, v128, v39, vcc_lo
	v_cmp_eq_u32_e32 vcc_lo, 6, v126
	s_delay_alu instid0(VALU_DEP_2) | instskip(SKIP_1) | instid1(VALU_DEP_2)
	v_cndmask_b32_e32 v128, v128, v40, vcc_lo
	v_cmp_eq_u32_e32 vcc_lo, 7, v126
	v_cndmask_b32_e32 v128, v128, v41, vcc_lo
	v_cmp_eq_u32_e32 vcc_lo, 8, v126
	s_delay_alu instid0(VALU_DEP_2) | instskip(SKIP_1) | instid1(VALU_DEP_2)
	v_cndmask_b32_e32 v128, v128, v42, vcc_lo
	v_cmp_eq_u32_e32 vcc_lo, 9, v126
	v_cndmask_b32_e32 v128, v128, v43, vcc_lo
	v_cmp_eq_u32_e32 vcc_lo, 10, v126
	s_delay_alu instid0(VALU_DEP_2) | instskip(SKIP_1) | instid1(VALU_DEP_2)
	v_cndmask_b32_e32 v128, v128, v44, vcc_lo
	v_cmp_eq_u32_e32 vcc_lo, 11, v126
	v_cndmask_b32_e32 v128, v128, v45, vcc_lo
	v_cmp_eq_u32_e32 vcc_lo, 12, v126
	s_delay_alu instid0(VALU_DEP_2) | instskip(SKIP_1) | instid1(VALU_DEP_2)
	v_cndmask_b32_e32 v128, v128, v46, vcc_lo
	v_cmp_eq_u32_e32 vcc_lo, 13, v126
	v_cndmask_b32_e32 v128, v128, v47, vcc_lo
	v_cmp_eq_u32_e32 vcc_lo, 14, v126
	s_delay_alu instid0(VALU_DEP_2) | instskip(SKIP_1) | instid1(VALU_DEP_2)
	v_cndmask_b32_e32 v128, v128, v48, vcc_lo
	v_cmp_eq_u32_e32 vcc_lo, 15, v126
	v_cndmask_b32_e32 v128, v128, v49, vcc_lo
	v_cmp_eq_u32_e32 vcc_lo, 16, v126
	s_delay_alu instid0(VALU_DEP_2) | instskip(SKIP_1) | instid1(VALU_DEP_2)
	v_cndmask_b32_e32 v128, v128, v50, vcc_lo
	v_cmp_eq_u32_e32 vcc_lo, 17, v126
	v_cndmask_b32_e32 v128, v128, v51, vcc_lo
	v_cmp_eq_u32_e32 vcc_lo, 18, v126
	s_delay_alu instid0(VALU_DEP_2) | instskip(SKIP_1) | instid1(VALU_DEP_2)
	v_cndmask_b32_e32 v128, v128, v52, vcc_lo
	v_cmp_eq_u32_e32 vcc_lo, 19, v126
	v_cndmask_b32_e32 v128, v128, v53, vcc_lo
	v_cmp_eq_u32_e32 vcc_lo, 20, v126
	s_delay_alu instid0(VALU_DEP_2) | instskip(SKIP_1) | instid1(VALU_DEP_2)
	v_cndmask_b32_e32 v128, v128, v54, vcc_lo
	v_cmp_eq_u32_e32 vcc_lo, 21, v126
	v_cndmask_b32_e32 v128, v128, v55, vcc_lo
	v_cmp_eq_u32_e32 vcc_lo, 22, v126
	s_delay_alu instid0(VALU_DEP_2) | instskip(SKIP_1) | instid1(VALU_DEP_2)
	v_cndmask_b32_e32 v128, v128, v56, vcc_lo
	v_cmp_eq_u32_e32 vcc_lo, 23, v126
	v_cndmask_b32_e32 v128, v128, v57, vcc_lo
	v_cmp_eq_u32_e32 vcc_lo, 24, v126
	s_delay_alu instid0(VALU_DEP_2) | instskip(SKIP_1) | instid1(VALU_DEP_2)
	v_cndmask_b32_e32 v128, v128, v58, vcc_lo
	v_cmp_eq_u32_e32 vcc_lo, 25, v126
	v_cndmask_b32_e32 v128, v128, v59, vcc_lo
	v_cmp_eq_u32_e32 vcc_lo, 26, v126
	s_delay_alu instid0(VALU_DEP_2) | instskip(SKIP_1) | instid1(VALU_DEP_2)
	v_cndmask_b32_e32 v128, v128, v60, vcc_lo
	v_cmp_eq_u32_e32 vcc_lo, 27, v126
	v_cndmask_b32_e32 v128, v128, v61, vcc_lo
	v_cmp_eq_u32_e32 vcc_lo, 28, v126
	s_delay_alu instid0(VALU_DEP_2) | instskip(SKIP_2) | instid1(VALU_DEP_3)
	v_cndmask_b32_e32 v128, v128, v62, vcc_lo
	v_cmp_eq_u32_e32 vcc_lo, 29, v126
	v_add_nc_u64_e32 v[126:127], 1, v[126:127]
	v_cndmask_b32_e32 v128, v128, v63, vcc_lo
	v_cmp_eq_u32_e32 vcc_lo, 0, v64
	s_wait_dscnt 0x0
	s_delay_alu instid0(VALU_DEP_2) | instskip(SKIP_1) | instid1(SALU_CYCLE_1)
	v_fmac_f32_e32 v130, v128, v131
	s_or_b32 s2, vcc_lo, s2
	s_and_not1_b32 exec_lo, exec_lo, s2
	s_cbranch_execnz .LBB29_61
; %bb.62:
	s_or_b32 exec_lo, exec_lo, s2
.LBB29_63:
	s_delay_alu instid0(SALU_CYCLE_1)
	s_or_b32 exec_lo, exec_lo, s1
.LBB29_64:
	s_delay_alu instid0(SALU_CYCLE_1)
	s_or_b32 exec_lo, exec_lo, s5
	v_mov_b32_e32 v58, 0
	ds_load_b32 v58, v58 offset:96
	s_wait_dscnt 0x0
	v_mul_f32_e32 v58, v130, v58
.LBB29_65:
	s_or_b32 exec_lo, exec_lo, s4
	v_cmp_lt_u32_e64 s1, 23, v0
	ds_store_b32 v129, v57
	s_wait_dscnt 0x0
	s_barrier_signal -1
	s_barrier_wait -1
	s_and_saveexec_b32 s4, s1
	s_cbranch_execz .LBB29_81
; %bb.66:
	s_and_not1_b32 vcc_lo, exec_lo, s33
	s_cbranch_vccnz .LBB29_68
; %bb.67:
	v_cmp_eq_u32_e32 vcc_lo, 1, v0
	ds_load_b32 v127, v129
	v_cndmask_b32_e32 v126, v34, v35, vcc_lo
	v_cmp_eq_u32_e32 vcc_lo, 2, v0
	s_delay_alu instid0(VALU_DEP_2) | instskip(SKIP_1) | instid1(VALU_DEP_2)
	v_cndmask_b32_e32 v126, v126, v36, vcc_lo
	v_cmp_eq_u32_e32 vcc_lo, 3, v0
	v_cndmask_b32_e32 v126, v126, v37, vcc_lo
	v_cmp_eq_u32_e32 vcc_lo, 4, v0
	s_delay_alu instid0(VALU_DEP_2) | instskip(SKIP_1) | instid1(VALU_DEP_2)
	v_cndmask_b32_e32 v126, v126, v38, vcc_lo
	v_cmp_eq_u32_e32 vcc_lo, 5, v0
	v_cndmask_b32_e32 v126, v126, v39, vcc_lo
	v_cmp_eq_u32_e32 vcc_lo, 6, v0
	s_delay_alu instid0(VALU_DEP_2) | instskip(SKIP_1) | instid1(VALU_DEP_2)
	v_cndmask_b32_e32 v126, v126, v40, vcc_lo
	v_cmp_eq_u32_e32 vcc_lo, 7, v0
	v_cndmask_b32_e32 v126, v126, v41, vcc_lo
	v_cmp_eq_u32_e32 vcc_lo, 8, v0
	s_delay_alu instid0(VALU_DEP_2) | instskip(SKIP_1) | instid1(VALU_DEP_2)
	v_cndmask_b32_e32 v126, v126, v42, vcc_lo
	v_cmp_eq_u32_e32 vcc_lo, 9, v0
	v_cndmask_b32_e32 v126, v126, v43, vcc_lo
	v_cmp_eq_u32_e32 vcc_lo, 10, v0
	s_delay_alu instid0(VALU_DEP_2) | instskip(SKIP_1) | instid1(VALU_DEP_2)
	v_cndmask_b32_e32 v126, v126, v44, vcc_lo
	v_cmp_eq_u32_e32 vcc_lo, 11, v0
	v_cndmask_b32_e32 v126, v126, v45, vcc_lo
	v_cmp_eq_u32_e32 vcc_lo, 12, v0
	s_delay_alu instid0(VALU_DEP_2) | instskip(SKIP_1) | instid1(VALU_DEP_2)
	v_cndmask_b32_e32 v126, v126, v46, vcc_lo
	v_cmp_eq_u32_e32 vcc_lo, 13, v0
	v_cndmask_b32_e32 v126, v126, v47, vcc_lo
	v_cmp_eq_u32_e32 vcc_lo, 14, v0
	s_delay_alu instid0(VALU_DEP_2) | instskip(SKIP_1) | instid1(VALU_DEP_2)
	v_cndmask_b32_e32 v126, v126, v48, vcc_lo
	v_cmp_eq_u32_e32 vcc_lo, 15, v0
	v_cndmask_b32_e32 v126, v126, v49, vcc_lo
	v_cmp_eq_u32_e32 vcc_lo, 16, v0
	s_delay_alu instid0(VALU_DEP_2) | instskip(SKIP_1) | instid1(VALU_DEP_2)
	v_cndmask_b32_e32 v126, v126, v50, vcc_lo
	v_cmp_eq_u32_e32 vcc_lo, 17, v0
	v_cndmask_b32_e32 v126, v126, v51, vcc_lo
	v_cmp_eq_u32_e32 vcc_lo, 18, v0
	s_delay_alu instid0(VALU_DEP_2) | instskip(SKIP_1) | instid1(VALU_DEP_2)
	v_cndmask_b32_e32 v126, v126, v52, vcc_lo
	v_cmp_eq_u32_e32 vcc_lo, 19, v0
	v_cndmask_b32_e32 v126, v126, v53, vcc_lo
	v_cmp_eq_u32_e32 vcc_lo, 20, v0
	s_delay_alu instid0(VALU_DEP_2) | instskip(SKIP_1) | instid1(VALU_DEP_2)
	v_cndmask_b32_e32 v126, v126, v54, vcc_lo
	v_cmp_eq_u32_e32 vcc_lo, 21, v0
	v_cndmask_b32_e32 v126, v126, v55, vcc_lo
	v_cmp_eq_u32_e32 vcc_lo, 22, v0
	s_delay_alu instid0(VALU_DEP_2) | instskip(SKIP_1) | instid1(VALU_DEP_2)
	v_cndmask_b32_e32 v126, v126, v56, vcc_lo
	v_cmp_eq_u32_e32 vcc_lo, 23, v0
	v_cndmask_b32_e32 v126, v126, v57, vcc_lo
	v_cmp_eq_u32_e32 vcc_lo, 24, v0
	s_delay_alu instid0(VALU_DEP_2) | instskip(SKIP_1) | instid1(VALU_DEP_2)
	v_cndmask_b32_e32 v126, v126, v58, vcc_lo
	v_cmp_eq_u32_e32 vcc_lo, 25, v0
	v_cndmask_b32_e32 v126, v126, v59, vcc_lo
	v_cmp_eq_u32_e32 vcc_lo, 26, v0
	s_delay_alu instid0(VALU_DEP_2) | instskip(SKIP_1) | instid1(VALU_DEP_2)
	v_cndmask_b32_e32 v126, v126, v60, vcc_lo
	v_cmp_eq_u32_e32 vcc_lo, 27, v0
	v_cndmask_b32_e32 v126, v126, v61, vcc_lo
	v_cmp_eq_u32_e32 vcc_lo, 28, v0
	s_delay_alu instid0(VALU_DEP_2) | instskip(SKIP_1) | instid1(VALU_DEP_2)
	v_cndmask_b32_e32 v126, v126, v62, vcc_lo
	v_cmp_eq_u32_e32 vcc_lo, 29, v0
	v_cndmask_b32_e32 v126, v126, v63, vcc_lo
	s_wait_dscnt 0x0
	s_delay_alu instid0(VALU_DEP_1)
	v_mul_f32_e32 v130, v126, v127
	s_cbranch_execz .LBB29_69
	s_branch .LBB29_70
.LBB29_68:
                                        ; implicit-def: $vgpr130
.LBB29_69:
	ds_load_b32 v130, v129
.LBB29_70:
	s_and_saveexec_b32 s5, s0
	s_cbranch_execz .LBB29_80
; %bb.71:
	v_subrev_nc_u32_e32 v126, 25, v0
	s_delay_alu instid0(VALU_DEP_1)
	v_cmp_lt_u32_e32 vcc_lo, 6, v126
	v_mov_b32_e32 v126, 24
	s_and_saveexec_b32 s0, vcc_lo
	s_cbranch_execz .LBB29_75
; %bb.72:
	v_and_b32_e32 v126, 24, v0
	s_mov_b32 s6, 0
	s_mov_b64 s[2:3], 31
	s_movk_i32 s7, 0xe0
	s_delay_alu instid0(VALU_DEP_1)
	v_sub_nc_u32_e32 v128, 0, v126
.LBB29_73:                              ; =>This Inner Loop Header: Depth=1
	s_add_co_i32 m0, s2, -7
	v_movrels_b32_e32 v127, v34
	v_mov_b32_e32 v126, s7
	s_add_co_i32 m0, s2, -6
	s_add_co_i32 s7, s7, 32
	v_movrels_b32_e32 v131, v34
	s_add_co_i32 m0, s2, -5
	ds_load_b128 v[132:135], v126
	ds_load_b128 v[136:139], v126 offset:16
	v_movrels_b32_e32 v126, v34
	s_add_co_i32 m0, s2, -4
	s_wait_dscnt 0x1
	v_fmac_f32_e32 v130, v127, v132
	v_movrels_b32_e32 v127, v34
	s_add_co_i32 m0, s2, -3
	s_delay_alu instid0(VALU_DEP_2) | instskip(NEXT) | instid1(VALU_DEP_1)
	v_fmac_f32_e32 v130, v131, v133
	v_fmac_f32_e32 v130, v126, v134
	v_movrels_b32_e32 v126, v34
	s_add_co_i32 m0, s2, -2
	s_delay_alu instid0(VALU_DEP_2) | instskip(SKIP_3) | instid1(VALU_DEP_2)
	v_fmac_f32_e32 v130, v127, v135
	v_movrels_b32_e32 v127, v34
	s_add_co_i32 m0, s2, -1
	s_wait_dscnt 0x0
	v_fmac_f32_e32 v130, v126, v136
	v_movrels_b32_e32 v126, v34
	s_mov_b32 m0, s2
	s_add_nc_u64 s[2:3], s[2:3], 8
	v_movrels_b32_e32 v131, v34
	v_dual_fmac_f32 v130, v127, v137 :: v_dual_add_nc_u32 v127, s2, v128
	s_add_co_i32 s8, s2, -7
	s_delay_alu instid0(VALU_DEP_1) | instskip(NEXT) | instid1(VALU_DEP_2)
	v_fmac_f32_e32 v130, v126, v138
	v_cmp_eq_u32_e32 vcc_lo, 7, v127
	s_delay_alu instid0(VALU_DEP_2) | instskip(SKIP_1) | instid1(SALU_CYCLE_1)
	v_dual_mov_b32 v126, s8 :: v_dual_fmac_f32 v130, v131, v139
	s_or_b32 s6, vcc_lo, s6
	s_and_not1_b32 exec_lo, exec_lo, s6
	s_cbranch_execnz .LBB29_73
; %bb.74:
	s_or_b32 exec_lo, exec_lo, s6
.LBB29_75:
	s_delay_alu instid0(SALU_CYCLE_1) | instskip(SKIP_3) | instid1(VALU_DEP_1)
	s_or_b32 exec_lo, exec_lo, s0
	v_and_b32_e32 v64, 7, v0
	s_mov_b32 s2, 0
	s_mov_b32 s0, exec_lo
	v_cmpx_ne_u32_e32 0, v64
	s_cbranch_execz .LBB29_79
; %bb.76:
	v_lshl_add_u32 v65, v126, 2, 0x80
	v_mov_b32_e32 v127, 0
.LBB29_77:                              ; =>This Inner Loop Header: Depth=1
	v_cmp_eq_u32_e32 vcc_lo, 1, v126
	ds_load_b32 v131, v65
	v_dual_add_nc_u32 v64, -1, v64 :: v_dual_add_nc_u32 v65, 4, v65
	v_cndmask_b32_e32 v128, v34, v35, vcc_lo
	v_cmp_eq_u32_e32 vcc_lo, 2, v126
	s_delay_alu instid0(VALU_DEP_2) | instskip(SKIP_1) | instid1(VALU_DEP_2)
	v_cndmask_b32_e32 v128, v128, v36, vcc_lo
	v_cmp_eq_u32_e32 vcc_lo, 3, v126
	v_cndmask_b32_e32 v128, v128, v37, vcc_lo
	v_cmp_eq_u32_e32 vcc_lo, 4, v126
	s_delay_alu instid0(VALU_DEP_2) | instskip(SKIP_1) | instid1(VALU_DEP_2)
	v_cndmask_b32_e32 v128, v128, v38, vcc_lo
	v_cmp_eq_u32_e32 vcc_lo, 5, v126
	;; [unrolled: 5-line block ×13, first 2 shown]
	v_cndmask_b32_e32 v128, v128, v61, vcc_lo
	v_cmp_eq_u32_e32 vcc_lo, 28, v126
	s_delay_alu instid0(VALU_DEP_2) | instskip(SKIP_2) | instid1(VALU_DEP_3)
	v_cndmask_b32_e32 v128, v128, v62, vcc_lo
	v_cmp_eq_u32_e32 vcc_lo, 29, v126
	v_add_nc_u64_e32 v[126:127], 1, v[126:127]
	v_cndmask_b32_e32 v128, v128, v63, vcc_lo
	v_cmp_eq_u32_e32 vcc_lo, 0, v64
	s_wait_dscnt 0x0
	s_delay_alu instid0(VALU_DEP_2) | instskip(SKIP_1) | instid1(SALU_CYCLE_1)
	v_fmac_f32_e32 v130, v128, v131
	s_or_b32 s2, vcc_lo, s2
	s_and_not1_b32 exec_lo, exec_lo, s2
	s_cbranch_execnz .LBB29_77
; %bb.78:
	s_or_b32 exec_lo, exec_lo, s2
.LBB29_79:
	s_delay_alu instid0(SALU_CYCLE_1)
	s_or_b32 exec_lo, exec_lo, s0
.LBB29_80:
	s_delay_alu instid0(SALU_CYCLE_1)
	s_or_b32 exec_lo, exec_lo, s5
	v_mov_b32_e32 v57, 0
	ds_load_b32 v57, v57 offset:92
	s_wait_dscnt 0x0
	v_mul_f32_e32 v57, v130, v57
.LBB29_81:
	s_or_b32 exec_lo, exec_lo, s4
	v_cmp_lt_u32_e64 s0, 22, v0
	ds_store_b32 v129, v56
	s_wait_dscnt 0x0
	s_barrier_signal -1
	s_barrier_wait -1
	s_and_saveexec_b32 s4, s0
	s_cbranch_execz .LBB29_97
; %bb.82:
	s_and_not1_b32 vcc_lo, exec_lo, s33
	s_cbranch_vccnz .LBB29_84
; %bb.83:
	v_cmp_eq_u32_e32 vcc_lo, 1, v0
	ds_load_b32 v127, v129
	v_cndmask_b32_e32 v126, v34, v35, vcc_lo
	v_cmp_eq_u32_e32 vcc_lo, 2, v0
	s_delay_alu instid0(VALU_DEP_2) | instskip(SKIP_1) | instid1(VALU_DEP_2)
	v_cndmask_b32_e32 v126, v126, v36, vcc_lo
	v_cmp_eq_u32_e32 vcc_lo, 3, v0
	v_cndmask_b32_e32 v126, v126, v37, vcc_lo
	v_cmp_eq_u32_e32 vcc_lo, 4, v0
	s_delay_alu instid0(VALU_DEP_2) | instskip(SKIP_1) | instid1(VALU_DEP_2)
	v_cndmask_b32_e32 v126, v126, v38, vcc_lo
	v_cmp_eq_u32_e32 vcc_lo, 5, v0
	;; [unrolled: 5-line block ×14, first 2 shown]
	v_cndmask_b32_e32 v126, v126, v63, vcc_lo
	s_wait_dscnt 0x0
	s_delay_alu instid0(VALU_DEP_1)
	v_mul_f32_e32 v130, v126, v127
	s_cbranch_execz .LBB29_85
	s_branch .LBB29_86
.LBB29_84:
                                        ; implicit-def: $vgpr130
.LBB29_85:
	ds_load_b32 v130, v129
.LBB29_86:
	s_and_saveexec_b32 s5, s1
	s_cbranch_execz .LBB29_96
; %bb.87:
	v_subrev_nc_u32_e32 v128, 24, v0
	v_mov_b32_e32 v126, 23
	v_subrev_nc_u32_e32 v127, 23, v0
	s_mov_b32 s1, exec_lo
	s_delay_alu instid0(VALU_DEP_3)
	v_cmpx_lt_u32_e32 6, v128
	s_cbranch_execz .LBB29_91
; %bb.88:
	s_delay_alu instid0(VALU_DEP_2) | instskip(SKIP_3) | instid1(VALU_DEP_1)
	v_and_b32_e32 v126, -8, v127
	s_mov_b32 s6, 0
	s_mov_b64 s[2:3], 30
	s_movk_i32 s7, 0xdc
	v_sub_nc_u32_e32 v128, 0, v126
.LBB29_89:                              ; =>This Inner Loop Header: Depth=1
	s_add_co_i32 m0, s2, -7
	v_movrels_b32_e32 v131, v34
	v_mov_b32_e32 v126, s7
	s_add_co_i32 m0, s2, -6
	s_add_co_i32 s7, s7, 32
	v_movrels_b32_e32 v140, v34
	ds_load_2addr_b32 v[132:133], v126 offset1:1
	ds_load_2addr_b32 v[134:135], v126 offset0:2 offset1:3
	s_add_co_i32 m0, s2, -5
	s_wait_dscnt 0x1
	v_fmac_f32_e32 v130, v131, v132
	ds_load_2addr_b32 v[136:137], v126 offset0:4 offset1:5
	ds_load_2addr_b32 v[138:139], v126 offset0:6 offset1:7
	v_movrels_b32_e32 v126, v34
	s_add_co_i32 m0, s2, -4
	v_fmac_f32_e32 v130, v140, v133
	v_movrels_b32_e32 v131, v34
	s_add_co_i32 m0, s2, -3
	s_wait_dscnt 0x2
	s_delay_alu instid0(VALU_DEP_2) | instskip(SKIP_2) | instid1(VALU_DEP_2)
	v_fmac_f32_e32 v130, v126, v134
	v_movrels_b32_e32 v126, v34
	s_add_co_i32 m0, s2, -2
	v_fmac_f32_e32 v130, v131, v135
	v_movrels_b32_e32 v131, v34
	s_add_co_i32 m0, s2, -1
	s_wait_dscnt 0x1
	s_delay_alu instid0(VALU_DEP_2)
	v_fmac_f32_e32 v130, v126, v136
	v_movrels_b32_e32 v126, v34
	s_mov_b32 m0, s2
	s_add_nc_u64 s[2:3], s[2:3], 8
	v_movrels_b32_e32 v132, v34
	v_dual_fmac_f32 v130, v131, v137 :: v_dual_add_nc_u32 v131, s2, v128
	s_add_co_i32 s8, s2, -7
	s_wait_dscnt 0x0
	s_delay_alu instid0(VALU_DEP_1) | instskip(NEXT) | instid1(VALU_DEP_2)
	v_fmac_f32_e32 v130, v126, v138
	v_cmp_eq_u32_e32 vcc_lo, 30, v131
	s_delay_alu instid0(VALU_DEP_2) | instskip(SKIP_1) | instid1(SALU_CYCLE_1)
	v_dual_mov_b32 v126, s8 :: v_dual_fmac_f32 v130, v132, v139
	s_or_b32 s6, vcc_lo, s6
	s_and_not1_b32 exec_lo, exec_lo, s6
	s_cbranch_execnz .LBB29_89
; %bb.90:
	s_or_b32 exec_lo, exec_lo, s6
.LBB29_91:
	s_delay_alu instid0(SALU_CYCLE_1) | instskip(SKIP_3) | instid1(VALU_DEP_1)
	s_or_b32 exec_lo, exec_lo, s1
	v_and_b32_e32 v64, 7, v127
	s_mov_b32 s2, 0
	s_mov_b32 s1, exec_lo
	v_cmpx_ne_u32_e32 0, v64
	s_cbranch_execz .LBB29_95
; %bb.92:
	v_lshl_add_u32 v65, v126, 2, 0x80
	v_mov_b32_e32 v127, 0
.LBB29_93:                              ; =>This Inner Loop Header: Depth=1
	v_cmp_eq_u32_e32 vcc_lo, 1, v126
	ds_load_b32 v131, v65
	v_dual_add_nc_u32 v64, -1, v64 :: v_dual_add_nc_u32 v65, 4, v65
	v_cndmask_b32_e32 v128, v34, v35, vcc_lo
	v_cmp_eq_u32_e32 vcc_lo, 2, v126
	s_delay_alu instid0(VALU_DEP_2) | instskip(SKIP_1) | instid1(VALU_DEP_2)
	v_cndmask_b32_e32 v128, v128, v36, vcc_lo
	v_cmp_eq_u32_e32 vcc_lo, 3, v126
	v_cndmask_b32_e32 v128, v128, v37, vcc_lo
	v_cmp_eq_u32_e32 vcc_lo, 4, v126
	s_delay_alu instid0(VALU_DEP_2) | instskip(SKIP_1) | instid1(VALU_DEP_2)
	v_cndmask_b32_e32 v128, v128, v38, vcc_lo
	v_cmp_eq_u32_e32 vcc_lo, 5, v126
	;; [unrolled: 5-line block ×13, first 2 shown]
	v_cndmask_b32_e32 v128, v128, v61, vcc_lo
	v_cmp_eq_u32_e32 vcc_lo, 28, v126
	s_delay_alu instid0(VALU_DEP_2) | instskip(SKIP_2) | instid1(VALU_DEP_3)
	v_cndmask_b32_e32 v128, v128, v62, vcc_lo
	v_cmp_eq_u32_e32 vcc_lo, 29, v126
	v_add_nc_u64_e32 v[126:127], 1, v[126:127]
	v_cndmask_b32_e32 v128, v128, v63, vcc_lo
	v_cmp_eq_u32_e32 vcc_lo, 0, v64
	s_wait_dscnt 0x0
	s_delay_alu instid0(VALU_DEP_2) | instskip(SKIP_1) | instid1(SALU_CYCLE_1)
	v_fmac_f32_e32 v130, v128, v131
	s_or_b32 s2, vcc_lo, s2
	s_and_not1_b32 exec_lo, exec_lo, s2
	s_cbranch_execnz .LBB29_93
; %bb.94:
	s_or_b32 exec_lo, exec_lo, s2
.LBB29_95:
	s_delay_alu instid0(SALU_CYCLE_1)
	s_or_b32 exec_lo, exec_lo, s1
.LBB29_96:
	s_delay_alu instid0(SALU_CYCLE_1)
	s_or_b32 exec_lo, exec_lo, s5
	v_mov_b32_e32 v56, 0
	ds_load_b32 v56, v56 offset:88
	s_wait_dscnt 0x0
	v_mul_f32_e32 v56, v130, v56
.LBB29_97:
	s_or_b32 exec_lo, exec_lo, s4
	v_cmp_lt_u32_e64 s1, 21, v0
	ds_store_b32 v129, v55
	s_wait_dscnt 0x0
	s_barrier_signal -1
	s_barrier_wait -1
	s_and_saveexec_b32 s4, s1
	s_cbranch_execz .LBB29_113
; %bb.98:
	s_and_not1_b32 vcc_lo, exec_lo, s33
	s_cbranch_vccnz .LBB29_100
; %bb.99:
	v_cmp_eq_u32_e32 vcc_lo, 1, v0
	ds_load_b32 v127, v129
	v_cndmask_b32_e32 v126, v34, v35, vcc_lo
	v_cmp_eq_u32_e32 vcc_lo, 2, v0
	s_delay_alu instid0(VALU_DEP_2) | instskip(SKIP_1) | instid1(VALU_DEP_2)
	v_cndmask_b32_e32 v126, v126, v36, vcc_lo
	v_cmp_eq_u32_e32 vcc_lo, 3, v0
	v_cndmask_b32_e32 v126, v126, v37, vcc_lo
	v_cmp_eq_u32_e32 vcc_lo, 4, v0
	s_delay_alu instid0(VALU_DEP_2) | instskip(SKIP_1) | instid1(VALU_DEP_2)
	v_cndmask_b32_e32 v126, v126, v38, vcc_lo
	v_cmp_eq_u32_e32 vcc_lo, 5, v0
	;; [unrolled: 5-line block ×14, first 2 shown]
	v_cndmask_b32_e32 v126, v126, v63, vcc_lo
	s_wait_dscnt 0x0
	s_delay_alu instid0(VALU_DEP_1)
	v_mul_f32_e32 v130, v126, v127
	s_cbranch_execz .LBB29_101
	s_branch .LBB29_102
.LBB29_100:
                                        ; implicit-def: $vgpr130
.LBB29_101:
	ds_load_b32 v130, v129
.LBB29_102:
	s_and_saveexec_b32 s5, s0
	s_cbranch_execz .LBB29_112
; %bb.103:
	v_subrev_nc_u32_e32 v128, 23, v0
	v_mov_b32_e32 v126, 22
	v_subrev_nc_u32_e32 v127, 22, v0
	s_mov_b32 s0, exec_lo
	s_delay_alu instid0(VALU_DEP_3)
	v_cmpx_lt_u32_e32 6, v128
	s_cbranch_execz .LBB29_107
; %bb.104:
	s_delay_alu instid0(VALU_DEP_2) | instskip(SKIP_3) | instid1(VALU_DEP_1)
	v_and_b32_e32 v126, -8, v127
	s_mov_b32 s6, 0
	s_mov_b64 s[2:3], 29
	s_movk_i32 s7, 0xd8
	v_sub_nc_u32_e32 v128, 0, v126
.LBB29_105:                             ; =>This Inner Loop Header: Depth=1
	s_add_co_i32 m0, s2, -7
	v_movrels_b32_e32 v131, v34
	v_mov_b32_e32 v126, s7
	s_add_co_i32 m0, s2, -6
	s_add_co_i32 s7, s7, 32
	v_movrels_b32_e32 v140, v34
	s_add_co_i32 m0, s2, -5
	ds_load_2addr_b64 v[132:135], v126 offset1:1
	ds_load_2addr_b64 v[136:139], v126 offset0:2 offset1:3
	v_movrels_b32_e32 v126, v34
	s_add_co_i32 m0, s2, -4
	s_wait_dscnt 0x1
	v_fmac_f32_e32 v130, v131, v132
	v_movrels_b32_e32 v131, v34
	s_add_co_i32 m0, s2, -3
	s_delay_alu instid0(VALU_DEP_2) | instskip(NEXT) | instid1(VALU_DEP_1)
	v_fmac_f32_e32 v130, v140, v133
	v_fmac_f32_e32 v130, v126, v134
	v_movrels_b32_e32 v126, v34
	s_add_co_i32 m0, s2, -2
	s_delay_alu instid0(VALU_DEP_2) | instskip(SKIP_3) | instid1(VALU_DEP_2)
	v_fmac_f32_e32 v130, v131, v135
	v_movrels_b32_e32 v131, v34
	s_add_co_i32 m0, s2, -1
	s_wait_dscnt 0x0
	v_fmac_f32_e32 v130, v126, v136
	v_movrels_b32_e32 v126, v34
	s_mov_b32 m0, s2
	s_add_nc_u64 s[2:3], s[2:3], 8
	v_movrels_b32_e32 v132, v34
	v_dual_fmac_f32 v130, v131, v137 :: v_dual_add_nc_u32 v131, s2, v128
	s_add_co_i32 s8, s2, -7
	s_delay_alu instid0(VALU_DEP_1) | instskip(NEXT) | instid1(VALU_DEP_2)
	v_fmac_f32_e32 v130, v126, v138
	v_cmp_eq_u32_e32 vcc_lo, 29, v131
	s_delay_alu instid0(VALU_DEP_2) | instskip(SKIP_1) | instid1(SALU_CYCLE_1)
	v_dual_mov_b32 v126, s8 :: v_dual_fmac_f32 v130, v132, v139
	s_or_b32 s6, vcc_lo, s6
	s_and_not1_b32 exec_lo, exec_lo, s6
	s_cbranch_execnz .LBB29_105
; %bb.106:
	s_or_b32 exec_lo, exec_lo, s6
.LBB29_107:
	s_delay_alu instid0(SALU_CYCLE_1) | instskip(SKIP_3) | instid1(VALU_DEP_1)
	s_or_b32 exec_lo, exec_lo, s0
	v_and_b32_e32 v64, 7, v127
	s_mov_b32 s2, 0
	s_mov_b32 s0, exec_lo
	v_cmpx_ne_u32_e32 0, v64
	s_cbranch_execz .LBB29_111
; %bb.108:
	v_lshl_add_u32 v65, v126, 2, 0x80
	v_mov_b32_e32 v127, 0
.LBB29_109:                             ; =>This Inner Loop Header: Depth=1
	v_cmp_eq_u32_e32 vcc_lo, 1, v126
	ds_load_b32 v131, v65
	v_dual_add_nc_u32 v64, -1, v64 :: v_dual_add_nc_u32 v65, 4, v65
	v_cndmask_b32_e32 v128, v34, v35, vcc_lo
	v_cmp_eq_u32_e32 vcc_lo, 2, v126
	s_delay_alu instid0(VALU_DEP_2) | instskip(SKIP_1) | instid1(VALU_DEP_2)
	v_cndmask_b32_e32 v128, v128, v36, vcc_lo
	v_cmp_eq_u32_e32 vcc_lo, 3, v126
	v_cndmask_b32_e32 v128, v128, v37, vcc_lo
	v_cmp_eq_u32_e32 vcc_lo, 4, v126
	s_delay_alu instid0(VALU_DEP_2) | instskip(SKIP_1) | instid1(VALU_DEP_2)
	v_cndmask_b32_e32 v128, v128, v38, vcc_lo
	v_cmp_eq_u32_e32 vcc_lo, 5, v126
	;; [unrolled: 5-line block ×13, first 2 shown]
	v_cndmask_b32_e32 v128, v128, v61, vcc_lo
	v_cmp_eq_u32_e32 vcc_lo, 28, v126
	s_delay_alu instid0(VALU_DEP_2) | instskip(SKIP_2) | instid1(VALU_DEP_3)
	v_cndmask_b32_e32 v128, v128, v62, vcc_lo
	v_cmp_eq_u32_e32 vcc_lo, 29, v126
	v_add_nc_u64_e32 v[126:127], 1, v[126:127]
	v_cndmask_b32_e32 v128, v128, v63, vcc_lo
	v_cmp_eq_u32_e32 vcc_lo, 0, v64
	s_wait_dscnt 0x0
	s_delay_alu instid0(VALU_DEP_2) | instskip(SKIP_1) | instid1(SALU_CYCLE_1)
	v_fmac_f32_e32 v130, v128, v131
	s_or_b32 s2, vcc_lo, s2
	s_and_not1_b32 exec_lo, exec_lo, s2
	s_cbranch_execnz .LBB29_109
; %bb.110:
	s_or_b32 exec_lo, exec_lo, s2
.LBB29_111:
	s_delay_alu instid0(SALU_CYCLE_1)
	s_or_b32 exec_lo, exec_lo, s0
.LBB29_112:
	s_delay_alu instid0(SALU_CYCLE_1)
	s_or_b32 exec_lo, exec_lo, s5
	v_mov_b32_e32 v55, 0
	ds_load_b32 v55, v55 offset:84
	s_wait_dscnt 0x0
	v_mul_f32_e32 v55, v130, v55
.LBB29_113:
	s_or_b32 exec_lo, exec_lo, s4
	v_cmp_lt_u32_e64 s0, 20, v0
	ds_store_b32 v129, v54
	s_wait_dscnt 0x0
	s_barrier_signal -1
	s_barrier_wait -1
	s_and_saveexec_b32 s4, s0
	s_cbranch_execz .LBB29_129
; %bb.114:
	s_and_not1_b32 vcc_lo, exec_lo, s33
	s_cbranch_vccnz .LBB29_116
; %bb.115:
	v_cmp_eq_u32_e32 vcc_lo, 1, v0
	ds_load_b32 v127, v129
	v_cndmask_b32_e32 v126, v34, v35, vcc_lo
	v_cmp_eq_u32_e32 vcc_lo, 2, v0
	s_delay_alu instid0(VALU_DEP_2) | instskip(SKIP_1) | instid1(VALU_DEP_2)
	v_cndmask_b32_e32 v126, v126, v36, vcc_lo
	v_cmp_eq_u32_e32 vcc_lo, 3, v0
	v_cndmask_b32_e32 v126, v126, v37, vcc_lo
	v_cmp_eq_u32_e32 vcc_lo, 4, v0
	s_delay_alu instid0(VALU_DEP_2) | instskip(SKIP_1) | instid1(VALU_DEP_2)
	v_cndmask_b32_e32 v126, v126, v38, vcc_lo
	v_cmp_eq_u32_e32 vcc_lo, 5, v0
	;; [unrolled: 5-line block ×14, first 2 shown]
	v_cndmask_b32_e32 v126, v126, v63, vcc_lo
	s_wait_dscnt 0x0
	s_delay_alu instid0(VALU_DEP_1)
	v_mul_f32_e32 v130, v126, v127
	s_cbranch_execz .LBB29_117
	s_branch .LBB29_118
.LBB29_116:
                                        ; implicit-def: $vgpr130
.LBB29_117:
	ds_load_b32 v130, v129
.LBB29_118:
	s_and_saveexec_b32 s5, s1
	s_cbranch_execz .LBB29_128
; %bb.119:
	v_subrev_nc_u32_e32 v128, 22, v0
	v_mov_b32_e32 v126, 21
	v_subrev_nc_u32_e32 v127, 21, v0
	s_mov_b32 s1, exec_lo
	s_delay_alu instid0(VALU_DEP_3)
	v_cmpx_lt_u32_e32 6, v128
	s_cbranch_execz .LBB29_123
; %bb.120:
	s_delay_alu instid0(VALU_DEP_2) | instskip(SKIP_3) | instid1(VALU_DEP_1)
	v_and_b32_e32 v126, -8, v127
	s_mov_b32 s6, 0
	s_mov_b64 s[2:3], 28
	s_movk_i32 s7, 0xd4
	v_sub_nc_u32_e32 v128, 0, v126
.LBB29_121:                             ; =>This Inner Loop Header: Depth=1
	s_add_co_i32 m0, s2, -7
	v_movrels_b32_e32 v131, v34
	v_mov_b32_e32 v126, s7
	s_add_co_i32 m0, s2, -6
	s_add_co_i32 s7, s7, 32
	v_movrels_b32_e32 v140, v34
	ds_load_2addr_b32 v[132:133], v126 offset1:1
	ds_load_2addr_b32 v[134:135], v126 offset0:2 offset1:3
	s_add_co_i32 m0, s2, -5
	s_wait_dscnt 0x1
	v_fmac_f32_e32 v130, v131, v132
	ds_load_2addr_b32 v[136:137], v126 offset0:4 offset1:5
	ds_load_2addr_b32 v[138:139], v126 offset0:6 offset1:7
	v_movrels_b32_e32 v126, v34
	s_add_co_i32 m0, s2, -4
	v_fmac_f32_e32 v130, v140, v133
	v_movrels_b32_e32 v131, v34
	s_add_co_i32 m0, s2, -3
	s_wait_dscnt 0x2
	s_delay_alu instid0(VALU_DEP_2) | instskip(SKIP_2) | instid1(VALU_DEP_2)
	v_fmac_f32_e32 v130, v126, v134
	v_movrels_b32_e32 v126, v34
	s_add_co_i32 m0, s2, -2
	v_fmac_f32_e32 v130, v131, v135
	v_movrels_b32_e32 v131, v34
	s_add_co_i32 m0, s2, -1
	s_wait_dscnt 0x1
	s_delay_alu instid0(VALU_DEP_2)
	v_fmac_f32_e32 v130, v126, v136
	v_movrels_b32_e32 v126, v34
	s_mov_b32 m0, s2
	s_add_nc_u64 s[2:3], s[2:3], 8
	v_movrels_b32_e32 v132, v34
	v_dual_fmac_f32 v130, v131, v137 :: v_dual_add_nc_u32 v131, s2, v128
	s_add_co_i32 s8, s2, -7
	s_wait_dscnt 0x0
	s_delay_alu instid0(VALU_DEP_1) | instskip(NEXT) | instid1(VALU_DEP_2)
	v_fmac_f32_e32 v130, v126, v138
	v_cmp_eq_u32_e32 vcc_lo, 28, v131
	s_delay_alu instid0(VALU_DEP_2) | instskip(SKIP_1) | instid1(SALU_CYCLE_1)
	v_dual_mov_b32 v126, s8 :: v_dual_fmac_f32 v130, v132, v139
	s_or_b32 s6, vcc_lo, s6
	s_and_not1_b32 exec_lo, exec_lo, s6
	s_cbranch_execnz .LBB29_121
; %bb.122:
	s_or_b32 exec_lo, exec_lo, s6
.LBB29_123:
	s_delay_alu instid0(SALU_CYCLE_1) | instskip(SKIP_3) | instid1(VALU_DEP_1)
	s_or_b32 exec_lo, exec_lo, s1
	v_and_b32_e32 v64, 7, v127
	s_mov_b32 s2, 0
	s_mov_b32 s1, exec_lo
	v_cmpx_ne_u32_e32 0, v64
	s_cbranch_execz .LBB29_127
; %bb.124:
	v_lshl_add_u32 v65, v126, 2, 0x80
	v_mov_b32_e32 v127, 0
.LBB29_125:                             ; =>This Inner Loop Header: Depth=1
	v_cmp_eq_u32_e32 vcc_lo, 1, v126
	ds_load_b32 v131, v65
	v_dual_add_nc_u32 v64, -1, v64 :: v_dual_add_nc_u32 v65, 4, v65
	v_cndmask_b32_e32 v128, v34, v35, vcc_lo
	v_cmp_eq_u32_e32 vcc_lo, 2, v126
	s_delay_alu instid0(VALU_DEP_2) | instskip(SKIP_1) | instid1(VALU_DEP_2)
	v_cndmask_b32_e32 v128, v128, v36, vcc_lo
	v_cmp_eq_u32_e32 vcc_lo, 3, v126
	v_cndmask_b32_e32 v128, v128, v37, vcc_lo
	v_cmp_eq_u32_e32 vcc_lo, 4, v126
	s_delay_alu instid0(VALU_DEP_2) | instskip(SKIP_1) | instid1(VALU_DEP_2)
	v_cndmask_b32_e32 v128, v128, v38, vcc_lo
	v_cmp_eq_u32_e32 vcc_lo, 5, v126
	v_cndmask_b32_e32 v128, v128, v39, vcc_lo
	v_cmp_eq_u32_e32 vcc_lo, 6, v126
	s_delay_alu instid0(VALU_DEP_2) | instskip(SKIP_1) | instid1(VALU_DEP_2)
	v_cndmask_b32_e32 v128, v128, v40, vcc_lo
	v_cmp_eq_u32_e32 vcc_lo, 7, v126
	v_cndmask_b32_e32 v128, v128, v41, vcc_lo
	v_cmp_eq_u32_e32 vcc_lo, 8, v126
	s_delay_alu instid0(VALU_DEP_2) | instskip(SKIP_1) | instid1(VALU_DEP_2)
	v_cndmask_b32_e32 v128, v128, v42, vcc_lo
	v_cmp_eq_u32_e32 vcc_lo, 9, v126
	v_cndmask_b32_e32 v128, v128, v43, vcc_lo
	v_cmp_eq_u32_e32 vcc_lo, 10, v126
	s_delay_alu instid0(VALU_DEP_2) | instskip(SKIP_1) | instid1(VALU_DEP_2)
	v_cndmask_b32_e32 v128, v128, v44, vcc_lo
	v_cmp_eq_u32_e32 vcc_lo, 11, v126
	v_cndmask_b32_e32 v128, v128, v45, vcc_lo
	v_cmp_eq_u32_e32 vcc_lo, 12, v126
	s_delay_alu instid0(VALU_DEP_2) | instskip(SKIP_1) | instid1(VALU_DEP_2)
	v_cndmask_b32_e32 v128, v128, v46, vcc_lo
	v_cmp_eq_u32_e32 vcc_lo, 13, v126
	v_cndmask_b32_e32 v128, v128, v47, vcc_lo
	v_cmp_eq_u32_e32 vcc_lo, 14, v126
	s_delay_alu instid0(VALU_DEP_2) | instskip(SKIP_1) | instid1(VALU_DEP_2)
	v_cndmask_b32_e32 v128, v128, v48, vcc_lo
	v_cmp_eq_u32_e32 vcc_lo, 15, v126
	v_cndmask_b32_e32 v128, v128, v49, vcc_lo
	v_cmp_eq_u32_e32 vcc_lo, 16, v126
	s_delay_alu instid0(VALU_DEP_2) | instskip(SKIP_1) | instid1(VALU_DEP_2)
	v_cndmask_b32_e32 v128, v128, v50, vcc_lo
	v_cmp_eq_u32_e32 vcc_lo, 17, v126
	v_cndmask_b32_e32 v128, v128, v51, vcc_lo
	v_cmp_eq_u32_e32 vcc_lo, 18, v126
	s_delay_alu instid0(VALU_DEP_2) | instskip(SKIP_1) | instid1(VALU_DEP_2)
	v_cndmask_b32_e32 v128, v128, v52, vcc_lo
	v_cmp_eq_u32_e32 vcc_lo, 19, v126
	v_cndmask_b32_e32 v128, v128, v53, vcc_lo
	v_cmp_eq_u32_e32 vcc_lo, 20, v126
	s_delay_alu instid0(VALU_DEP_2) | instskip(SKIP_1) | instid1(VALU_DEP_2)
	v_cndmask_b32_e32 v128, v128, v54, vcc_lo
	v_cmp_eq_u32_e32 vcc_lo, 21, v126
	v_cndmask_b32_e32 v128, v128, v55, vcc_lo
	v_cmp_eq_u32_e32 vcc_lo, 22, v126
	s_delay_alu instid0(VALU_DEP_2) | instskip(SKIP_1) | instid1(VALU_DEP_2)
	v_cndmask_b32_e32 v128, v128, v56, vcc_lo
	v_cmp_eq_u32_e32 vcc_lo, 23, v126
	v_cndmask_b32_e32 v128, v128, v57, vcc_lo
	v_cmp_eq_u32_e32 vcc_lo, 24, v126
	s_delay_alu instid0(VALU_DEP_2) | instskip(SKIP_1) | instid1(VALU_DEP_2)
	v_cndmask_b32_e32 v128, v128, v58, vcc_lo
	v_cmp_eq_u32_e32 vcc_lo, 25, v126
	v_cndmask_b32_e32 v128, v128, v59, vcc_lo
	v_cmp_eq_u32_e32 vcc_lo, 26, v126
	s_delay_alu instid0(VALU_DEP_2) | instskip(SKIP_1) | instid1(VALU_DEP_2)
	v_cndmask_b32_e32 v128, v128, v60, vcc_lo
	v_cmp_eq_u32_e32 vcc_lo, 27, v126
	v_cndmask_b32_e32 v128, v128, v61, vcc_lo
	v_cmp_eq_u32_e32 vcc_lo, 28, v126
	s_delay_alu instid0(VALU_DEP_2) | instskip(SKIP_2) | instid1(VALU_DEP_3)
	v_cndmask_b32_e32 v128, v128, v62, vcc_lo
	v_cmp_eq_u32_e32 vcc_lo, 29, v126
	v_add_nc_u64_e32 v[126:127], 1, v[126:127]
	v_cndmask_b32_e32 v128, v128, v63, vcc_lo
	v_cmp_eq_u32_e32 vcc_lo, 0, v64
	s_wait_dscnt 0x0
	s_delay_alu instid0(VALU_DEP_2) | instskip(SKIP_1) | instid1(SALU_CYCLE_1)
	v_fmac_f32_e32 v130, v128, v131
	s_or_b32 s2, vcc_lo, s2
	s_and_not1_b32 exec_lo, exec_lo, s2
	s_cbranch_execnz .LBB29_125
; %bb.126:
	s_or_b32 exec_lo, exec_lo, s2
.LBB29_127:
	s_delay_alu instid0(SALU_CYCLE_1)
	s_or_b32 exec_lo, exec_lo, s1
.LBB29_128:
	s_delay_alu instid0(SALU_CYCLE_1)
	s_or_b32 exec_lo, exec_lo, s5
	v_mov_b32_e32 v54, 0
	ds_load_b32 v54, v54 offset:80
	s_wait_dscnt 0x0
	v_mul_f32_e32 v54, v130, v54
.LBB29_129:
	s_or_b32 exec_lo, exec_lo, s4
	v_cmp_lt_u32_e64 s1, 19, v0
	ds_store_b32 v129, v53
	s_wait_dscnt 0x0
	s_barrier_signal -1
	s_barrier_wait -1
	s_and_saveexec_b32 s4, s1
	s_cbranch_execz .LBB29_145
; %bb.130:
	s_and_not1_b32 vcc_lo, exec_lo, s33
	s_cbranch_vccnz .LBB29_132
; %bb.131:
	v_cmp_eq_u32_e32 vcc_lo, 1, v0
	ds_load_b32 v127, v129
	v_cndmask_b32_e32 v126, v34, v35, vcc_lo
	v_cmp_eq_u32_e32 vcc_lo, 2, v0
	s_delay_alu instid0(VALU_DEP_2) | instskip(SKIP_1) | instid1(VALU_DEP_2)
	v_cndmask_b32_e32 v126, v126, v36, vcc_lo
	v_cmp_eq_u32_e32 vcc_lo, 3, v0
	v_cndmask_b32_e32 v126, v126, v37, vcc_lo
	v_cmp_eq_u32_e32 vcc_lo, 4, v0
	s_delay_alu instid0(VALU_DEP_2) | instskip(SKIP_1) | instid1(VALU_DEP_2)
	v_cndmask_b32_e32 v126, v126, v38, vcc_lo
	v_cmp_eq_u32_e32 vcc_lo, 5, v0
	;; [unrolled: 5-line block ×14, first 2 shown]
	v_cndmask_b32_e32 v126, v126, v63, vcc_lo
	s_wait_dscnt 0x0
	s_delay_alu instid0(VALU_DEP_1)
	v_mul_f32_e32 v130, v126, v127
	s_cbranch_execz .LBB29_133
	s_branch .LBB29_134
.LBB29_132:
                                        ; implicit-def: $vgpr130
.LBB29_133:
	ds_load_b32 v130, v129
.LBB29_134:
	s_and_saveexec_b32 s5, s0
	s_cbranch_execz .LBB29_144
; %bb.135:
	v_subrev_nc_u32_e32 v128, 21, v0
	v_mov_b32_e32 v126, 20
	v_subrev_nc_u32_e32 v127, 20, v0
	s_mov_b32 s0, exec_lo
	s_delay_alu instid0(VALU_DEP_3)
	v_cmpx_lt_u32_e32 6, v128
	s_cbranch_execz .LBB29_139
; %bb.136:
	s_delay_alu instid0(VALU_DEP_2) | instskip(SKIP_3) | instid1(VALU_DEP_1)
	v_and_b32_e32 v126, -8, v127
	s_mov_b32 s6, 0
	s_mov_b64 s[2:3], 27
	s_movk_i32 s7, 0xd0
	v_sub_nc_u32_e32 v128, 0, v126
.LBB29_137:                             ; =>This Inner Loop Header: Depth=1
	s_add_co_i32 m0, s2, -7
	v_movrels_b32_e32 v131, v34
	v_mov_b32_e32 v126, s7
	s_add_co_i32 m0, s2, -6
	s_add_co_i32 s7, s7, 32
	v_movrels_b32_e32 v140, v34
	s_add_co_i32 m0, s2, -5
	ds_load_b128 v[132:135], v126
	ds_load_b128 v[136:139], v126 offset:16
	v_movrels_b32_e32 v126, v34
	s_add_co_i32 m0, s2, -4
	s_wait_dscnt 0x1
	v_fmac_f32_e32 v130, v131, v132
	v_movrels_b32_e32 v131, v34
	s_add_co_i32 m0, s2, -3
	s_delay_alu instid0(VALU_DEP_2) | instskip(NEXT) | instid1(VALU_DEP_1)
	v_fmac_f32_e32 v130, v140, v133
	v_fmac_f32_e32 v130, v126, v134
	v_movrels_b32_e32 v126, v34
	s_add_co_i32 m0, s2, -2
	s_delay_alu instid0(VALU_DEP_2) | instskip(SKIP_3) | instid1(VALU_DEP_2)
	v_fmac_f32_e32 v130, v131, v135
	v_movrels_b32_e32 v131, v34
	s_add_co_i32 m0, s2, -1
	s_wait_dscnt 0x0
	v_fmac_f32_e32 v130, v126, v136
	v_movrels_b32_e32 v126, v34
	s_mov_b32 m0, s2
	s_add_nc_u64 s[2:3], s[2:3], 8
	v_movrels_b32_e32 v132, v34
	v_dual_fmac_f32 v130, v131, v137 :: v_dual_add_nc_u32 v131, s2, v128
	s_add_co_i32 s8, s2, -7
	s_delay_alu instid0(VALU_DEP_1) | instskip(NEXT) | instid1(VALU_DEP_2)
	v_fmac_f32_e32 v130, v126, v138
	v_cmp_eq_u32_e32 vcc_lo, 27, v131
	s_delay_alu instid0(VALU_DEP_2) | instskip(SKIP_1) | instid1(SALU_CYCLE_1)
	v_dual_mov_b32 v126, s8 :: v_dual_fmac_f32 v130, v132, v139
	s_or_b32 s6, vcc_lo, s6
	s_and_not1_b32 exec_lo, exec_lo, s6
	s_cbranch_execnz .LBB29_137
; %bb.138:
	s_or_b32 exec_lo, exec_lo, s6
.LBB29_139:
	s_delay_alu instid0(SALU_CYCLE_1) | instskip(SKIP_3) | instid1(VALU_DEP_1)
	s_or_b32 exec_lo, exec_lo, s0
	v_and_b32_e32 v64, 7, v127
	s_mov_b32 s2, 0
	s_mov_b32 s0, exec_lo
	v_cmpx_ne_u32_e32 0, v64
	s_cbranch_execz .LBB29_143
; %bb.140:
	v_lshl_add_u32 v65, v126, 2, 0x80
	v_mov_b32_e32 v127, 0
.LBB29_141:                             ; =>This Inner Loop Header: Depth=1
	v_cmp_eq_u32_e32 vcc_lo, 1, v126
	ds_load_b32 v131, v65
	v_dual_add_nc_u32 v64, -1, v64 :: v_dual_add_nc_u32 v65, 4, v65
	v_cndmask_b32_e32 v128, v34, v35, vcc_lo
	v_cmp_eq_u32_e32 vcc_lo, 2, v126
	s_delay_alu instid0(VALU_DEP_2) | instskip(SKIP_1) | instid1(VALU_DEP_2)
	v_cndmask_b32_e32 v128, v128, v36, vcc_lo
	v_cmp_eq_u32_e32 vcc_lo, 3, v126
	v_cndmask_b32_e32 v128, v128, v37, vcc_lo
	v_cmp_eq_u32_e32 vcc_lo, 4, v126
	s_delay_alu instid0(VALU_DEP_2) | instskip(SKIP_1) | instid1(VALU_DEP_2)
	v_cndmask_b32_e32 v128, v128, v38, vcc_lo
	v_cmp_eq_u32_e32 vcc_lo, 5, v126
	;; [unrolled: 5-line block ×13, first 2 shown]
	v_cndmask_b32_e32 v128, v128, v61, vcc_lo
	v_cmp_eq_u32_e32 vcc_lo, 28, v126
	s_delay_alu instid0(VALU_DEP_2) | instskip(SKIP_2) | instid1(VALU_DEP_3)
	v_cndmask_b32_e32 v128, v128, v62, vcc_lo
	v_cmp_eq_u32_e32 vcc_lo, 29, v126
	v_add_nc_u64_e32 v[126:127], 1, v[126:127]
	v_cndmask_b32_e32 v128, v128, v63, vcc_lo
	v_cmp_eq_u32_e32 vcc_lo, 0, v64
	s_wait_dscnt 0x0
	s_delay_alu instid0(VALU_DEP_2) | instskip(SKIP_1) | instid1(SALU_CYCLE_1)
	v_fmac_f32_e32 v130, v128, v131
	s_or_b32 s2, vcc_lo, s2
	s_and_not1_b32 exec_lo, exec_lo, s2
	s_cbranch_execnz .LBB29_141
; %bb.142:
	s_or_b32 exec_lo, exec_lo, s2
.LBB29_143:
	s_delay_alu instid0(SALU_CYCLE_1)
	s_or_b32 exec_lo, exec_lo, s0
.LBB29_144:
	s_delay_alu instid0(SALU_CYCLE_1)
	s_or_b32 exec_lo, exec_lo, s5
	v_mov_b32_e32 v53, 0
	ds_load_b32 v53, v53 offset:76
	s_wait_dscnt 0x0
	v_mul_f32_e32 v53, v130, v53
.LBB29_145:
	s_or_b32 exec_lo, exec_lo, s4
	v_cmp_lt_u32_e64 s0, 18, v0
	ds_store_b32 v129, v52
	s_wait_dscnt 0x0
	s_barrier_signal -1
	s_barrier_wait -1
	s_and_saveexec_b32 s4, s0
	s_cbranch_execz .LBB29_161
; %bb.146:
	s_and_not1_b32 vcc_lo, exec_lo, s33
	s_cbranch_vccnz .LBB29_148
; %bb.147:
	v_cmp_eq_u32_e32 vcc_lo, 1, v0
	ds_load_b32 v127, v129
	v_cndmask_b32_e32 v126, v34, v35, vcc_lo
	v_cmp_eq_u32_e32 vcc_lo, 2, v0
	s_delay_alu instid0(VALU_DEP_2) | instskip(SKIP_1) | instid1(VALU_DEP_2)
	v_cndmask_b32_e32 v126, v126, v36, vcc_lo
	v_cmp_eq_u32_e32 vcc_lo, 3, v0
	v_cndmask_b32_e32 v126, v126, v37, vcc_lo
	v_cmp_eq_u32_e32 vcc_lo, 4, v0
	s_delay_alu instid0(VALU_DEP_2) | instskip(SKIP_1) | instid1(VALU_DEP_2)
	v_cndmask_b32_e32 v126, v126, v38, vcc_lo
	v_cmp_eq_u32_e32 vcc_lo, 5, v0
	;; [unrolled: 5-line block ×14, first 2 shown]
	v_cndmask_b32_e32 v126, v126, v63, vcc_lo
	s_wait_dscnt 0x0
	s_delay_alu instid0(VALU_DEP_1)
	v_mul_f32_e32 v130, v126, v127
	s_cbranch_execz .LBB29_149
	s_branch .LBB29_150
.LBB29_148:
                                        ; implicit-def: $vgpr130
.LBB29_149:
	ds_load_b32 v130, v129
.LBB29_150:
	s_and_saveexec_b32 s5, s1
	s_cbranch_execz .LBB29_160
; %bb.151:
	v_subrev_nc_u32_e32 v128, 20, v0
	v_mov_b32_e32 v126, 19
	v_subrev_nc_u32_e32 v127, 19, v0
	s_mov_b32 s1, exec_lo
	s_delay_alu instid0(VALU_DEP_3)
	v_cmpx_lt_u32_e32 6, v128
	s_cbranch_execz .LBB29_155
; %bb.152:
	s_delay_alu instid0(VALU_DEP_2) | instskip(SKIP_3) | instid1(VALU_DEP_1)
	v_and_b32_e32 v126, -8, v127
	s_mov_b32 s6, 0
	s_mov_b64 s[2:3], 26
	s_movk_i32 s7, 0xcc
	v_sub_nc_u32_e32 v128, 0, v126
.LBB29_153:                             ; =>This Inner Loop Header: Depth=1
	s_add_co_i32 m0, s2, -7
	v_movrels_b32_e32 v131, v34
	v_mov_b32_e32 v126, s7
	s_add_co_i32 m0, s2, -6
	s_add_co_i32 s7, s7, 32
	v_movrels_b32_e32 v140, v34
	ds_load_2addr_b32 v[132:133], v126 offset1:1
	ds_load_2addr_b32 v[134:135], v126 offset0:2 offset1:3
	s_add_co_i32 m0, s2, -5
	s_wait_dscnt 0x1
	v_fmac_f32_e32 v130, v131, v132
	ds_load_2addr_b32 v[136:137], v126 offset0:4 offset1:5
	ds_load_2addr_b32 v[138:139], v126 offset0:6 offset1:7
	v_movrels_b32_e32 v126, v34
	s_add_co_i32 m0, s2, -4
	v_fmac_f32_e32 v130, v140, v133
	v_movrels_b32_e32 v131, v34
	s_add_co_i32 m0, s2, -3
	s_wait_dscnt 0x2
	s_delay_alu instid0(VALU_DEP_2) | instskip(SKIP_2) | instid1(VALU_DEP_2)
	v_fmac_f32_e32 v130, v126, v134
	v_movrels_b32_e32 v126, v34
	s_add_co_i32 m0, s2, -2
	v_fmac_f32_e32 v130, v131, v135
	v_movrels_b32_e32 v131, v34
	s_add_co_i32 m0, s2, -1
	s_wait_dscnt 0x1
	s_delay_alu instid0(VALU_DEP_2)
	v_fmac_f32_e32 v130, v126, v136
	v_movrels_b32_e32 v126, v34
	s_mov_b32 m0, s2
	s_add_nc_u64 s[2:3], s[2:3], 8
	v_movrels_b32_e32 v132, v34
	v_dual_fmac_f32 v130, v131, v137 :: v_dual_add_nc_u32 v131, s2, v128
	s_add_co_i32 s8, s2, -7
	s_wait_dscnt 0x0
	s_delay_alu instid0(VALU_DEP_1) | instskip(NEXT) | instid1(VALU_DEP_2)
	v_fmac_f32_e32 v130, v126, v138
	v_cmp_eq_u32_e32 vcc_lo, 26, v131
	s_delay_alu instid0(VALU_DEP_2) | instskip(SKIP_1) | instid1(SALU_CYCLE_1)
	v_dual_mov_b32 v126, s8 :: v_dual_fmac_f32 v130, v132, v139
	s_or_b32 s6, vcc_lo, s6
	s_and_not1_b32 exec_lo, exec_lo, s6
	s_cbranch_execnz .LBB29_153
; %bb.154:
	s_or_b32 exec_lo, exec_lo, s6
.LBB29_155:
	s_delay_alu instid0(SALU_CYCLE_1) | instskip(SKIP_3) | instid1(VALU_DEP_1)
	s_or_b32 exec_lo, exec_lo, s1
	v_and_b32_e32 v64, 7, v127
	s_mov_b32 s2, 0
	s_mov_b32 s1, exec_lo
	v_cmpx_ne_u32_e32 0, v64
	s_cbranch_execz .LBB29_159
; %bb.156:
	v_lshl_add_u32 v65, v126, 2, 0x80
	v_mov_b32_e32 v127, 0
.LBB29_157:                             ; =>This Inner Loop Header: Depth=1
	v_cmp_eq_u32_e32 vcc_lo, 1, v126
	ds_load_b32 v131, v65
	v_dual_add_nc_u32 v64, -1, v64 :: v_dual_add_nc_u32 v65, 4, v65
	v_cndmask_b32_e32 v128, v34, v35, vcc_lo
	v_cmp_eq_u32_e32 vcc_lo, 2, v126
	s_delay_alu instid0(VALU_DEP_2) | instskip(SKIP_1) | instid1(VALU_DEP_2)
	v_cndmask_b32_e32 v128, v128, v36, vcc_lo
	v_cmp_eq_u32_e32 vcc_lo, 3, v126
	v_cndmask_b32_e32 v128, v128, v37, vcc_lo
	v_cmp_eq_u32_e32 vcc_lo, 4, v126
	s_delay_alu instid0(VALU_DEP_2) | instskip(SKIP_1) | instid1(VALU_DEP_2)
	v_cndmask_b32_e32 v128, v128, v38, vcc_lo
	v_cmp_eq_u32_e32 vcc_lo, 5, v126
	;; [unrolled: 5-line block ×13, first 2 shown]
	v_cndmask_b32_e32 v128, v128, v61, vcc_lo
	v_cmp_eq_u32_e32 vcc_lo, 28, v126
	s_delay_alu instid0(VALU_DEP_2) | instskip(SKIP_2) | instid1(VALU_DEP_3)
	v_cndmask_b32_e32 v128, v128, v62, vcc_lo
	v_cmp_eq_u32_e32 vcc_lo, 29, v126
	v_add_nc_u64_e32 v[126:127], 1, v[126:127]
	v_cndmask_b32_e32 v128, v128, v63, vcc_lo
	v_cmp_eq_u32_e32 vcc_lo, 0, v64
	s_wait_dscnt 0x0
	s_delay_alu instid0(VALU_DEP_2) | instskip(SKIP_1) | instid1(SALU_CYCLE_1)
	v_fmac_f32_e32 v130, v128, v131
	s_or_b32 s2, vcc_lo, s2
	s_and_not1_b32 exec_lo, exec_lo, s2
	s_cbranch_execnz .LBB29_157
; %bb.158:
	s_or_b32 exec_lo, exec_lo, s2
.LBB29_159:
	s_delay_alu instid0(SALU_CYCLE_1)
	s_or_b32 exec_lo, exec_lo, s1
.LBB29_160:
	s_delay_alu instid0(SALU_CYCLE_1)
	s_or_b32 exec_lo, exec_lo, s5
	v_mov_b32_e32 v52, 0
	ds_load_b32 v52, v52 offset:72
	s_wait_dscnt 0x0
	v_mul_f32_e32 v52, v130, v52
.LBB29_161:
	s_or_b32 exec_lo, exec_lo, s4
	v_cmp_lt_u32_e64 s1, 17, v0
	ds_store_b32 v129, v51
	s_wait_dscnt 0x0
	s_barrier_signal -1
	s_barrier_wait -1
	s_and_saveexec_b32 s4, s1
	s_cbranch_execz .LBB29_177
; %bb.162:
	s_and_not1_b32 vcc_lo, exec_lo, s33
	s_cbranch_vccnz .LBB29_164
; %bb.163:
	v_cmp_eq_u32_e32 vcc_lo, 1, v0
	ds_load_b32 v127, v129
	v_cndmask_b32_e32 v126, v34, v35, vcc_lo
	v_cmp_eq_u32_e32 vcc_lo, 2, v0
	s_delay_alu instid0(VALU_DEP_2) | instskip(SKIP_1) | instid1(VALU_DEP_2)
	v_cndmask_b32_e32 v126, v126, v36, vcc_lo
	v_cmp_eq_u32_e32 vcc_lo, 3, v0
	v_cndmask_b32_e32 v126, v126, v37, vcc_lo
	v_cmp_eq_u32_e32 vcc_lo, 4, v0
	s_delay_alu instid0(VALU_DEP_2) | instskip(SKIP_1) | instid1(VALU_DEP_2)
	v_cndmask_b32_e32 v126, v126, v38, vcc_lo
	v_cmp_eq_u32_e32 vcc_lo, 5, v0
	;; [unrolled: 5-line block ×14, first 2 shown]
	v_cndmask_b32_e32 v126, v126, v63, vcc_lo
	s_wait_dscnt 0x0
	s_delay_alu instid0(VALU_DEP_1)
	v_mul_f32_e32 v130, v126, v127
	s_cbranch_execz .LBB29_165
	s_branch .LBB29_166
.LBB29_164:
                                        ; implicit-def: $vgpr130
.LBB29_165:
	ds_load_b32 v130, v129
.LBB29_166:
	s_and_saveexec_b32 s5, s0
	s_cbranch_execz .LBB29_176
; %bb.167:
	v_subrev_nc_u32_e32 v128, 19, v0
	v_mov_b32_e32 v126, 18
	v_subrev_nc_u32_e32 v127, 18, v0
	s_mov_b32 s0, exec_lo
	s_delay_alu instid0(VALU_DEP_3)
	v_cmpx_lt_u32_e32 6, v128
	s_cbranch_execz .LBB29_171
; %bb.168:
	s_delay_alu instid0(VALU_DEP_2) | instskip(SKIP_3) | instid1(VALU_DEP_1)
	v_and_b32_e32 v126, -8, v127
	s_mov_b32 s6, 0
	s_mov_b64 s[2:3], 25
	s_movk_i32 s7, 0xc8
	v_sub_nc_u32_e32 v128, 0, v126
.LBB29_169:                             ; =>This Inner Loop Header: Depth=1
	s_add_co_i32 m0, s2, -7
	v_movrels_b32_e32 v131, v34
	v_mov_b32_e32 v126, s7
	s_add_co_i32 m0, s2, -6
	s_add_co_i32 s7, s7, 32
	v_movrels_b32_e32 v140, v34
	s_add_co_i32 m0, s2, -5
	ds_load_2addr_b64 v[132:135], v126 offset1:1
	ds_load_2addr_b64 v[136:139], v126 offset0:2 offset1:3
	v_movrels_b32_e32 v126, v34
	s_add_co_i32 m0, s2, -4
	s_wait_dscnt 0x1
	v_fmac_f32_e32 v130, v131, v132
	v_movrels_b32_e32 v131, v34
	s_add_co_i32 m0, s2, -3
	s_delay_alu instid0(VALU_DEP_2) | instskip(NEXT) | instid1(VALU_DEP_1)
	v_fmac_f32_e32 v130, v140, v133
	v_fmac_f32_e32 v130, v126, v134
	v_movrels_b32_e32 v126, v34
	s_add_co_i32 m0, s2, -2
	s_delay_alu instid0(VALU_DEP_2) | instskip(SKIP_3) | instid1(VALU_DEP_2)
	v_fmac_f32_e32 v130, v131, v135
	v_movrels_b32_e32 v131, v34
	s_add_co_i32 m0, s2, -1
	s_wait_dscnt 0x0
	v_fmac_f32_e32 v130, v126, v136
	v_movrels_b32_e32 v126, v34
	s_mov_b32 m0, s2
	s_add_nc_u64 s[2:3], s[2:3], 8
	v_movrels_b32_e32 v132, v34
	v_dual_fmac_f32 v130, v131, v137 :: v_dual_add_nc_u32 v131, s2, v128
	s_add_co_i32 s8, s2, -7
	s_delay_alu instid0(VALU_DEP_1) | instskip(NEXT) | instid1(VALU_DEP_2)
	v_fmac_f32_e32 v130, v126, v138
	v_cmp_eq_u32_e32 vcc_lo, 25, v131
	s_delay_alu instid0(VALU_DEP_2) | instskip(SKIP_1) | instid1(SALU_CYCLE_1)
	v_dual_mov_b32 v126, s8 :: v_dual_fmac_f32 v130, v132, v139
	s_or_b32 s6, vcc_lo, s6
	s_and_not1_b32 exec_lo, exec_lo, s6
	s_cbranch_execnz .LBB29_169
; %bb.170:
	s_or_b32 exec_lo, exec_lo, s6
.LBB29_171:
	s_delay_alu instid0(SALU_CYCLE_1) | instskip(SKIP_3) | instid1(VALU_DEP_1)
	s_or_b32 exec_lo, exec_lo, s0
	v_and_b32_e32 v64, 7, v127
	s_mov_b32 s2, 0
	s_mov_b32 s0, exec_lo
	v_cmpx_ne_u32_e32 0, v64
	s_cbranch_execz .LBB29_175
; %bb.172:
	v_lshl_add_u32 v65, v126, 2, 0x80
	v_mov_b32_e32 v127, 0
.LBB29_173:                             ; =>This Inner Loop Header: Depth=1
	v_cmp_eq_u32_e32 vcc_lo, 1, v126
	ds_load_b32 v131, v65
	v_dual_add_nc_u32 v64, -1, v64 :: v_dual_add_nc_u32 v65, 4, v65
	v_cndmask_b32_e32 v128, v34, v35, vcc_lo
	v_cmp_eq_u32_e32 vcc_lo, 2, v126
	s_delay_alu instid0(VALU_DEP_2) | instskip(SKIP_1) | instid1(VALU_DEP_2)
	v_cndmask_b32_e32 v128, v128, v36, vcc_lo
	v_cmp_eq_u32_e32 vcc_lo, 3, v126
	v_cndmask_b32_e32 v128, v128, v37, vcc_lo
	v_cmp_eq_u32_e32 vcc_lo, 4, v126
	s_delay_alu instid0(VALU_DEP_2) | instskip(SKIP_1) | instid1(VALU_DEP_2)
	v_cndmask_b32_e32 v128, v128, v38, vcc_lo
	v_cmp_eq_u32_e32 vcc_lo, 5, v126
	;; [unrolled: 5-line block ×13, first 2 shown]
	v_cndmask_b32_e32 v128, v128, v61, vcc_lo
	v_cmp_eq_u32_e32 vcc_lo, 28, v126
	s_delay_alu instid0(VALU_DEP_2) | instskip(SKIP_2) | instid1(VALU_DEP_3)
	v_cndmask_b32_e32 v128, v128, v62, vcc_lo
	v_cmp_eq_u32_e32 vcc_lo, 29, v126
	v_add_nc_u64_e32 v[126:127], 1, v[126:127]
	v_cndmask_b32_e32 v128, v128, v63, vcc_lo
	v_cmp_eq_u32_e32 vcc_lo, 0, v64
	s_wait_dscnt 0x0
	s_delay_alu instid0(VALU_DEP_2) | instskip(SKIP_1) | instid1(SALU_CYCLE_1)
	v_fmac_f32_e32 v130, v128, v131
	s_or_b32 s2, vcc_lo, s2
	s_and_not1_b32 exec_lo, exec_lo, s2
	s_cbranch_execnz .LBB29_173
; %bb.174:
	s_or_b32 exec_lo, exec_lo, s2
.LBB29_175:
	s_delay_alu instid0(SALU_CYCLE_1)
	s_or_b32 exec_lo, exec_lo, s0
.LBB29_176:
	s_delay_alu instid0(SALU_CYCLE_1)
	s_or_b32 exec_lo, exec_lo, s5
	v_mov_b32_e32 v51, 0
	ds_load_b32 v51, v51 offset:68
	s_wait_dscnt 0x0
	v_mul_f32_e32 v51, v130, v51
.LBB29_177:
	s_or_b32 exec_lo, exec_lo, s4
	v_cmp_lt_u32_e64 s0, 16, v0
	ds_store_b32 v129, v50
	s_wait_dscnt 0x0
	s_barrier_signal -1
	s_barrier_wait -1
	s_and_saveexec_b32 s4, s0
	s_cbranch_execz .LBB29_193
; %bb.178:
	s_and_not1_b32 vcc_lo, exec_lo, s33
	s_cbranch_vccnz .LBB29_180
; %bb.179:
	v_cmp_eq_u32_e32 vcc_lo, 1, v0
	ds_load_b32 v127, v129
	v_cndmask_b32_e32 v126, v34, v35, vcc_lo
	v_cmp_eq_u32_e32 vcc_lo, 2, v0
	s_delay_alu instid0(VALU_DEP_2) | instskip(SKIP_1) | instid1(VALU_DEP_2)
	v_cndmask_b32_e32 v126, v126, v36, vcc_lo
	v_cmp_eq_u32_e32 vcc_lo, 3, v0
	v_cndmask_b32_e32 v126, v126, v37, vcc_lo
	v_cmp_eq_u32_e32 vcc_lo, 4, v0
	s_delay_alu instid0(VALU_DEP_2) | instskip(SKIP_1) | instid1(VALU_DEP_2)
	v_cndmask_b32_e32 v126, v126, v38, vcc_lo
	v_cmp_eq_u32_e32 vcc_lo, 5, v0
	;; [unrolled: 5-line block ×14, first 2 shown]
	v_cndmask_b32_e32 v126, v126, v63, vcc_lo
	s_wait_dscnt 0x0
	s_delay_alu instid0(VALU_DEP_1)
	v_mul_f32_e32 v130, v126, v127
	s_cbranch_execz .LBB29_181
	s_branch .LBB29_182
.LBB29_180:
                                        ; implicit-def: $vgpr130
.LBB29_181:
	ds_load_b32 v130, v129
.LBB29_182:
	s_and_saveexec_b32 s5, s1
	s_cbranch_execz .LBB29_192
; %bb.183:
	v_subrev_nc_u32_e32 v128, 18, v0
	v_mov_b32_e32 v126, 17
	v_subrev_nc_u32_e32 v127, 17, v0
	s_mov_b32 s1, exec_lo
	s_delay_alu instid0(VALU_DEP_3)
	v_cmpx_lt_u32_e32 6, v128
	s_cbranch_execz .LBB29_187
; %bb.184:
	s_delay_alu instid0(VALU_DEP_2) | instskip(SKIP_3) | instid1(VALU_DEP_1)
	v_and_b32_e32 v126, -8, v127
	s_mov_b32 s6, 0
	s_mov_b64 s[2:3], 24
	s_movk_i32 s7, 0xc4
	v_sub_nc_u32_e32 v128, 0, v126
.LBB29_185:                             ; =>This Inner Loop Header: Depth=1
	s_add_co_i32 m0, s2, -7
	v_movrels_b32_e32 v131, v34
	v_mov_b32_e32 v126, s7
	s_add_co_i32 m0, s2, -6
	s_add_co_i32 s7, s7, 32
	v_movrels_b32_e32 v140, v34
	ds_load_2addr_b32 v[132:133], v126 offset1:1
	ds_load_2addr_b32 v[134:135], v126 offset0:2 offset1:3
	s_add_co_i32 m0, s2, -5
	s_wait_dscnt 0x1
	v_fmac_f32_e32 v130, v131, v132
	ds_load_2addr_b32 v[136:137], v126 offset0:4 offset1:5
	ds_load_2addr_b32 v[138:139], v126 offset0:6 offset1:7
	v_movrels_b32_e32 v126, v34
	s_add_co_i32 m0, s2, -4
	v_fmac_f32_e32 v130, v140, v133
	v_movrels_b32_e32 v131, v34
	s_add_co_i32 m0, s2, -3
	s_wait_dscnt 0x2
	s_delay_alu instid0(VALU_DEP_2) | instskip(SKIP_2) | instid1(VALU_DEP_2)
	v_fmac_f32_e32 v130, v126, v134
	v_movrels_b32_e32 v126, v34
	s_add_co_i32 m0, s2, -2
	v_fmac_f32_e32 v130, v131, v135
	v_movrels_b32_e32 v131, v34
	s_add_co_i32 m0, s2, -1
	s_wait_dscnt 0x1
	s_delay_alu instid0(VALU_DEP_2)
	v_fmac_f32_e32 v130, v126, v136
	v_movrels_b32_e32 v126, v34
	s_mov_b32 m0, s2
	s_add_nc_u64 s[2:3], s[2:3], 8
	v_movrels_b32_e32 v132, v34
	v_dual_fmac_f32 v130, v131, v137 :: v_dual_add_nc_u32 v131, s2, v128
	s_add_co_i32 s8, s2, -7
	s_wait_dscnt 0x0
	s_delay_alu instid0(VALU_DEP_1) | instskip(NEXT) | instid1(VALU_DEP_2)
	v_fmac_f32_e32 v130, v126, v138
	v_cmp_eq_u32_e32 vcc_lo, 24, v131
	s_delay_alu instid0(VALU_DEP_2) | instskip(SKIP_1) | instid1(SALU_CYCLE_1)
	v_dual_mov_b32 v126, s8 :: v_dual_fmac_f32 v130, v132, v139
	s_or_b32 s6, vcc_lo, s6
	s_and_not1_b32 exec_lo, exec_lo, s6
	s_cbranch_execnz .LBB29_185
; %bb.186:
	s_or_b32 exec_lo, exec_lo, s6
.LBB29_187:
	s_delay_alu instid0(SALU_CYCLE_1) | instskip(SKIP_3) | instid1(VALU_DEP_1)
	s_or_b32 exec_lo, exec_lo, s1
	v_and_b32_e32 v64, 7, v127
	s_mov_b32 s2, 0
	s_mov_b32 s1, exec_lo
	v_cmpx_ne_u32_e32 0, v64
	s_cbranch_execz .LBB29_191
; %bb.188:
	v_lshl_add_u32 v65, v126, 2, 0x80
	v_mov_b32_e32 v127, 0
.LBB29_189:                             ; =>This Inner Loop Header: Depth=1
	v_cmp_eq_u32_e32 vcc_lo, 1, v126
	ds_load_b32 v131, v65
	v_dual_add_nc_u32 v64, -1, v64 :: v_dual_add_nc_u32 v65, 4, v65
	v_cndmask_b32_e32 v128, v34, v35, vcc_lo
	v_cmp_eq_u32_e32 vcc_lo, 2, v126
	s_delay_alu instid0(VALU_DEP_2) | instskip(SKIP_1) | instid1(VALU_DEP_2)
	v_cndmask_b32_e32 v128, v128, v36, vcc_lo
	v_cmp_eq_u32_e32 vcc_lo, 3, v126
	v_cndmask_b32_e32 v128, v128, v37, vcc_lo
	v_cmp_eq_u32_e32 vcc_lo, 4, v126
	s_delay_alu instid0(VALU_DEP_2) | instskip(SKIP_1) | instid1(VALU_DEP_2)
	v_cndmask_b32_e32 v128, v128, v38, vcc_lo
	v_cmp_eq_u32_e32 vcc_lo, 5, v126
	;; [unrolled: 5-line block ×13, first 2 shown]
	v_cndmask_b32_e32 v128, v128, v61, vcc_lo
	v_cmp_eq_u32_e32 vcc_lo, 28, v126
	s_delay_alu instid0(VALU_DEP_2) | instskip(SKIP_2) | instid1(VALU_DEP_3)
	v_cndmask_b32_e32 v128, v128, v62, vcc_lo
	v_cmp_eq_u32_e32 vcc_lo, 29, v126
	v_add_nc_u64_e32 v[126:127], 1, v[126:127]
	v_cndmask_b32_e32 v128, v128, v63, vcc_lo
	v_cmp_eq_u32_e32 vcc_lo, 0, v64
	s_wait_dscnt 0x0
	s_delay_alu instid0(VALU_DEP_2) | instskip(SKIP_1) | instid1(SALU_CYCLE_1)
	v_fmac_f32_e32 v130, v128, v131
	s_or_b32 s2, vcc_lo, s2
	s_and_not1_b32 exec_lo, exec_lo, s2
	s_cbranch_execnz .LBB29_189
; %bb.190:
	s_or_b32 exec_lo, exec_lo, s2
.LBB29_191:
	s_delay_alu instid0(SALU_CYCLE_1)
	s_or_b32 exec_lo, exec_lo, s1
.LBB29_192:
	s_delay_alu instid0(SALU_CYCLE_1)
	s_or_b32 exec_lo, exec_lo, s5
	v_mov_b32_e32 v50, 0
	ds_load_b32 v50, v50 offset:64
	s_wait_dscnt 0x0
	v_mul_f32_e32 v50, v130, v50
.LBB29_193:
	s_or_b32 exec_lo, exec_lo, s4
	v_cmp_lt_u32_e64 s1, 15, v0
	ds_store_b32 v129, v49
	s_wait_dscnt 0x0
	s_barrier_signal -1
	s_barrier_wait -1
	s_and_saveexec_b32 s4, s1
	s_cbranch_execz .LBB29_209
; %bb.194:
	s_and_not1_b32 vcc_lo, exec_lo, s33
	s_cbranch_vccnz .LBB29_196
; %bb.195:
	v_cmp_eq_u32_e32 vcc_lo, 1, v0
	ds_load_b32 v127, v129
	v_cndmask_b32_e32 v126, v34, v35, vcc_lo
	v_cmp_eq_u32_e32 vcc_lo, 2, v0
	s_delay_alu instid0(VALU_DEP_2) | instskip(SKIP_1) | instid1(VALU_DEP_2)
	v_cndmask_b32_e32 v126, v126, v36, vcc_lo
	v_cmp_eq_u32_e32 vcc_lo, 3, v0
	v_cndmask_b32_e32 v126, v126, v37, vcc_lo
	v_cmp_eq_u32_e32 vcc_lo, 4, v0
	s_delay_alu instid0(VALU_DEP_2) | instskip(SKIP_1) | instid1(VALU_DEP_2)
	v_cndmask_b32_e32 v126, v126, v38, vcc_lo
	v_cmp_eq_u32_e32 vcc_lo, 5, v0
	;; [unrolled: 5-line block ×14, first 2 shown]
	v_cndmask_b32_e32 v126, v126, v63, vcc_lo
	s_wait_dscnt 0x0
	s_delay_alu instid0(VALU_DEP_1)
	v_mul_f32_e32 v130, v126, v127
	s_cbranch_execz .LBB29_197
	s_branch .LBB29_198
.LBB29_196:
                                        ; implicit-def: $vgpr130
.LBB29_197:
	ds_load_b32 v130, v129
.LBB29_198:
	s_and_saveexec_b32 s5, s0
	s_cbranch_execz .LBB29_208
; %bb.199:
	v_subrev_nc_u32_e32 v126, 17, v0
	s_delay_alu instid0(VALU_DEP_1)
	v_cmp_lt_u32_e32 vcc_lo, 6, v126
	v_mov_b32_e32 v126, 16
	s_and_saveexec_b32 s0, vcc_lo
	s_cbranch_execz .LBB29_203
; %bb.200:
	v_and_b32_e32 v126, 24, v0
	s_mov_b32 s6, 0
	s_mov_b64 s[2:3], 23
	s_movk_i32 s7, 0xc0
	s_delay_alu instid0(VALU_DEP_1)
	v_sub_nc_u32_e32 v128, 0, v126
.LBB29_201:                             ; =>This Inner Loop Header: Depth=1
	s_add_co_i32 m0, s2, -7
	v_movrels_b32_e32 v127, v34
	v_mov_b32_e32 v126, s7
	s_add_co_i32 m0, s2, -6
	s_add_co_i32 s7, s7, 32
	v_movrels_b32_e32 v131, v34
	s_add_co_i32 m0, s2, -5
	ds_load_b128 v[132:135], v126
	ds_load_b128 v[136:139], v126 offset:16
	v_movrels_b32_e32 v126, v34
	s_add_co_i32 m0, s2, -4
	s_wait_dscnt 0x1
	v_fmac_f32_e32 v130, v127, v132
	v_movrels_b32_e32 v127, v34
	s_add_co_i32 m0, s2, -3
	s_delay_alu instid0(VALU_DEP_2) | instskip(NEXT) | instid1(VALU_DEP_1)
	v_fmac_f32_e32 v130, v131, v133
	v_fmac_f32_e32 v130, v126, v134
	v_movrels_b32_e32 v126, v34
	s_add_co_i32 m0, s2, -2
	s_delay_alu instid0(VALU_DEP_2) | instskip(SKIP_3) | instid1(VALU_DEP_2)
	v_fmac_f32_e32 v130, v127, v135
	v_movrels_b32_e32 v127, v34
	s_add_co_i32 m0, s2, -1
	s_wait_dscnt 0x0
	v_fmac_f32_e32 v130, v126, v136
	v_movrels_b32_e32 v126, v34
	s_mov_b32 m0, s2
	s_add_nc_u64 s[2:3], s[2:3], 8
	v_movrels_b32_e32 v131, v34
	v_dual_fmac_f32 v130, v127, v137 :: v_dual_add_nc_u32 v127, s2, v128
	s_add_co_i32 s8, s2, -7
	s_delay_alu instid0(VALU_DEP_1) | instskip(NEXT) | instid1(VALU_DEP_2)
	v_fmac_f32_e32 v130, v126, v138
	v_cmp_eq_u32_e32 vcc_lo, 7, v127
	s_delay_alu instid0(VALU_DEP_2) | instskip(SKIP_1) | instid1(SALU_CYCLE_1)
	v_dual_mov_b32 v126, s8 :: v_dual_fmac_f32 v130, v131, v139
	s_or_b32 s6, vcc_lo, s6
	s_and_not1_b32 exec_lo, exec_lo, s6
	s_cbranch_execnz .LBB29_201
; %bb.202:
	s_or_b32 exec_lo, exec_lo, s6
.LBB29_203:
	s_delay_alu instid0(SALU_CYCLE_1) | instskip(SKIP_3) | instid1(VALU_DEP_1)
	s_or_b32 exec_lo, exec_lo, s0
	v_and_b32_e32 v64, 7, v0
	s_mov_b32 s2, 0
	s_mov_b32 s0, exec_lo
	v_cmpx_ne_u32_e32 0, v64
	s_cbranch_execz .LBB29_207
; %bb.204:
	v_lshl_add_u32 v65, v126, 2, 0x80
	v_mov_b32_e32 v127, 0
.LBB29_205:                             ; =>This Inner Loop Header: Depth=1
	v_cmp_eq_u32_e32 vcc_lo, 1, v126
	ds_load_b32 v131, v65
	v_dual_add_nc_u32 v64, -1, v64 :: v_dual_add_nc_u32 v65, 4, v65
	v_cndmask_b32_e32 v128, v34, v35, vcc_lo
	v_cmp_eq_u32_e32 vcc_lo, 2, v126
	s_delay_alu instid0(VALU_DEP_2) | instskip(SKIP_1) | instid1(VALU_DEP_2)
	v_cndmask_b32_e32 v128, v128, v36, vcc_lo
	v_cmp_eq_u32_e32 vcc_lo, 3, v126
	v_cndmask_b32_e32 v128, v128, v37, vcc_lo
	v_cmp_eq_u32_e32 vcc_lo, 4, v126
	s_delay_alu instid0(VALU_DEP_2) | instskip(SKIP_1) | instid1(VALU_DEP_2)
	v_cndmask_b32_e32 v128, v128, v38, vcc_lo
	v_cmp_eq_u32_e32 vcc_lo, 5, v126
	;; [unrolled: 5-line block ×13, first 2 shown]
	v_cndmask_b32_e32 v128, v128, v61, vcc_lo
	v_cmp_eq_u32_e32 vcc_lo, 28, v126
	s_delay_alu instid0(VALU_DEP_2) | instskip(SKIP_2) | instid1(VALU_DEP_3)
	v_cndmask_b32_e32 v128, v128, v62, vcc_lo
	v_cmp_eq_u32_e32 vcc_lo, 29, v126
	v_add_nc_u64_e32 v[126:127], 1, v[126:127]
	v_cndmask_b32_e32 v128, v128, v63, vcc_lo
	v_cmp_eq_u32_e32 vcc_lo, 0, v64
	s_wait_dscnt 0x0
	s_delay_alu instid0(VALU_DEP_2) | instskip(SKIP_1) | instid1(SALU_CYCLE_1)
	v_fmac_f32_e32 v130, v128, v131
	s_or_b32 s2, vcc_lo, s2
	s_and_not1_b32 exec_lo, exec_lo, s2
	s_cbranch_execnz .LBB29_205
; %bb.206:
	s_or_b32 exec_lo, exec_lo, s2
.LBB29_207:
	s_delay_alu instid0(SALU_CYCLE_1)
	s_or_b32 exec_lo, exec_lo, s0
.LBB29_208:
	s_delay_alu instid0(SALU_CYCLE_1)
	s_or_b32 exec_lo, exec_lo, s5
	v_mov_b32_e32 v49, 0
	ds_load_b32 v49, v49 offset:60
	s_wait_dscnt 0x0
	v_mul_f32_e32 v49, v130, v49
.LBB29_209:
	s_or_b32 exec_lo, exec_lo, s4
	v_cmp_lt_u32_e64 s0, 14, v0
	ds_store_b32 v129, v48
	s_wait_dscnt 0x0
	s_barrier_signal -1
	s_barrier_wait -1
	s_and_saveexec_b32 s4, s0
	s_cbranch_execz .LBB29_225
; %bb.210:
	s_and_not1_b32 vcc_lo, exec_lo, s33
	s_cbranch_vccnz .LBB29_212
; %bb.211:
	v_cmp_eq_u32_e32 vcc_lo, 1, v0
	ds_load_b32 v127, v129
	v_cndmask_b32_e32 v126, v34, v35, vcc_lo
	v_cmp_eq_u32_e32 vcc_lo, 2, v0
	s_delay_alu instid0(VALU_DEP_2) | instskip(SKIP_1) | instid1(VALU_DEP_2)
	v_cndmask_b32_e32 v126, v126, v36, vcc_lo
	v_cmp_eq_u32_e32 vcc_lo, 3, v0
	v_cndmask_b32_e32 v126, v126, v37, vcc_lo
	v_cmp_eq_u32_e32 vcc_lo, 4, v0
	s_delay_alu instid0(VALU_DEP_2) | instskip(SKIP_1) | instid1(VALU_DEP_2)
	v_cndmask_b32_e32 v126, v126, v38, vcc_lo
	v_cmp_eq_u32_e32 vcc_lo, 5, v0
	;; [unrolled: 5-line block ×14, first 2 shown]
	v_cndmask_b32_e32 v126, v126, v63, vcc_lo
	s_wait_dscnt 0x0
	s_delay_alu instid0(VALU_DEP_1)
	v_mul_f32_e32 v130, v126, v127
	s_cbranch_execz .LBB29_213
	s_branch .LBB29_214
.LBB29_212:
                                        ; implicit-def: $vgpr130
.LBB29_213:
	ds_load_b32 v130, v129
.LBB29_214:
	s_and_saveexec_b32 s5, s1
	s_cbranch_execz .LBB29_224
; %bb.215:
	v_dual_add_nc_u32 v126, -16, v0 :: v_dual_add_nc_u32 v127, -15, v0
	s_delay_alu instid0(VALU_DEP_1)
	v_cmp_lt_u32_e32 vcc_lo, 6, v126
	v_mov_b32_e32 v126, 15
	s_and_saveexec_b32 s1, vcc_lo
	s_cbranch_execz .LBB29_219
; %bb.216:
	v_and_b32_e32 v126, -8, v127
	s_mov_b32 s6, 0
	s_mov_b64 s[2:3], 22
	s_movk_i32 s7, 0xbc
	s_delay_alu instid0(VALU_DEP_1)
	v_sub_nc_u32_e32 v128, 0, v126
.LBB29_217:                             ; =>This Inner Loop Header: Depth=1
	s_add_co_i32 m0, s2, -7
	v_movrels_b32_e32 v131, v34
	v_mov_b32_e32 v126, s7
	s_add_co_i32 m0, s2, -6
	s_add_co_i32 s7, s7, 32
	v_movrels_b32_e32 v140, v34
	ds_load_2addr_b32 v[132:133], v126 offset1:1
	ds_load_2addr_b32 v[134:135], v126 offset0:2 offset1:3
	s_add_co_i32 m0, s2, -5
	s_wait_dscnt 0x1
	v_fmac_f32_e32 v130, v131, v132
	ds_load_2addr_b32 v[136:137], v126 offset0:4 offset1:5
	ds_load_2addr_b32 v[138:139], v126 offset0:6 offset1:7
	v_movrels_b32_e32 v126, v34
	s_add_co_i32 m0, s2, -4
	v_fmac_f32_e32 v130, v140, v133
	v_movrels_b32_e32 v131, v34
	s_add_co_i32 m0, s2, -3
	s_wait_dscnt 0x2
	s_delay_alu instid0(VALU_DEP_2) | instskip(SKIP_2) | instid1(VALU_DEP_2)
	v_fmac_f32_e32 v130, v126, v134
	v_movrels_b32_e32 v126, v34
	s_add_co_i32 m0, s2, -2
	v_fmac_f32_e32 v130, v131, v135
	v_movrels_b32_e32 v131, v34
	s_add_co_i32 m0, s2, -1
	s_wait_dscnt 0x1
	s_delay_alu instid0(VALU_DEP_2)
	v_fmac_f32_e32 v130, v126, v136
	v_movrels_b32_e32 v126, v34
	s_mov_b32 m0, s2
	s_add_nc_u64 s[2:3], s[2:3], 8
	v_movrels_b32_e32 v132, v34
	v_dual_fmac_f32 v130, v131, v137 :: v_dual_add_nc_u32 v131, s2, v128
	s_add_co_i32 s8, s2, -7
	s_wait_dscnt 0x0
	s_delay_alu instid0(VALU_DEP_1) | instskip(NEXT) | instid1(VALU_DEP_2)
	v_fmac_f32_e32 v130, v126, v138
	v_cmp_eq_u32_e32 vcc_lo, 22, v131
	s_delay_alu instid0(VALU_DEP_2) | instskip(SKIP_1) | instid1(SALU_CYCLE_1)
	v_dual_mov_b32 v126, s8 :: v_dual_fmac_f32 v130, v132, v139
	s_or_b32 s6, vcc_lo, s6
	s_and_not1_b32 exec_lo, exec_lo, s6
	s_cbranch_execnz .LBB29_217
; %bb.218:
	s_or_b32 exec_lo, exec_lo, s6
.LBB29_219:
	s_delay_alu instid0(SALU_CYCLE_1) | instskip(SKIP_3) | instid1(VALU_DEP_1)
	s_or_b32 exec_lo, exec_lo, s1
	v_and_b32_e32 v64, 7, v127
	s_mov_b32 s2, 0
	s_mov_b32 s1, exec_lo
	v_cmpx_ne_u32_e32 0, v64
	s_cbranch_execz .LBB29_223
; %bb.220:
	v_lshl_add_u32 v65, v126, 2, 0x80
	v_mov_b32_e32 v127, 0
.LBB29_221:                             ; =>This Inner Loop Header: Depth=1
	v_cmp_eq_u32_e32 vcc_lo, 1, v126
	ds_load_b32 v131, v65
	v_dual_add_nc_u32 v64, -1, v64 :: v_dual_add_nc_u32 v65, 4, v65
	v_cndmask_b32_e32 v128, v34, v35, vcc_lo
	v_cmp_eq_u32_e32 vcc_lo, 2, v126
	s_delay_alu instid0(VALU_DEP_2) | instskip(SKIP_1) | instid1(VALU_DEP_2)
	v_cndmask_b32_e32 v128, v128, v36, vcc_lo
	v_cmp_eq_u32_e32 vcc_lo, 3, v126
	v_cndmask_b32_e32 v128, v128, v37, vcc_lo
	v_cmp_eq_u32_e32 vcc_lo, 4, v126
	s_delay_alu instid0(VALU_DEP_2) | instskip(SKIP_1) | instid1(VALU_DEP_2)
	v_cndmask_b32_e32 v128, v128, v38, vcc_lo
	v_cmp_eq_u32_e32 vcc_lo, 5, v126
	;; [unrolled: 5-line block ×13, first 2 shown]
	v_cndmask_b32_e32 v128, v128, v61, vcc_lo
	v_cmp_eq_u32_e32 vcc_lo, 28, v126
	s_delay_alu instid0(VALU_DEP_2) | instskip(SKIP_2) | instid1(VALU_DEP_3)
	v_cndmask_b32_e32 v128, v128, v62, vcc_lo
	v_cmp_eq_u32_e32 vcc_lo, 29, v126
	v_add_nc_u64_e32 v[126:127], 1, v[126:127]
	v_cndmask_b32_e32 v128, v128, v63, vcc_lo
	v_cmp_eq_u32_e32 vcc_lo, 0, v64
	s_wait_dscnt 0x0
	s_delay_alu instid0(VALU_DEP_2) | instskip(SKIP_1) | instid1(SALU_CYCLE_1)
	v_fmac_f32_e32 v130, v128, v131
	s_or_b32 s2, vcc_lo, s2
	s_and_not1_b32 exec_lo, exec_lo, s2
	s_cbranch_execnz .LBB29_221
; %bb.222:
	s_or_b32 exec_lo, exec_lo, s2
.LBB29_223:
	s_delay_alu instid0(SALU_CYCLE_1)
	s_or_b32 exec_lo, exec_lo, s1
.LBB29_224:
	s_delay_alu instid0(SALU_CYCLE_1)
	s_or_b32 exec_lo, exec_lo, s5
	v_mov_b32_e32 v48, 0
	ds_load_b32 v48, v48 offset:56
	s_wait_dscnt 0x0
	v_mul_f32_e32 v48, v130, v48
.LBB29_225:
	s_or_b32 exec_lo, exec_lo, s4
	v_cmp_lt_u32_e64 s1, 13, v0
	ds_store_b32 v129, v47
	s_wait_dscnt 0x0
	s_barrier_signal -1
	s_barrier_wait -1
	s_and_saveexec_b32 s4, s1
	s_cbranch_execz .LBB29_241
; %bb.226:
	s_and_not1_b32 vcc_lo, exec_lo, s33
	s_cbranch_vccnz .LBB29_228
; %bb.227:
	v_cmp_eq_u32_e32 vcc_lo, 1, v0
	ds_load_b32 v127, v129
	v_cndmask_b32_e32 v126, v34, v35, vcc_lo
	v_cmp_eq_u32_e32 vcc_lo, 2, v0
	s_delay_alu instid0(VALU_DEP_2) | instskip(SKIP_1) | instid1(VALU_DEP_2)
	v_cndmask_b32_e32 v126, v126, v36, vcc_lo
	v_cmp_eq_u32_e32 vcc_lo, 3, v0
	v_cndmask_b32_e32 v126, v126, v37, vcc_lo
	v_cmp_eq_u32_e32 vcc_lo, 4, v0
	s_delay_alu instid0(VALU_DEP_2) | instskip(SKIP_1) | instid1(VALU_DEP_2)
	v_cndmask_b32_e32 v126, v126, v38, vcc_lo
	v_cmp_eq_u32_e32 vcc_lo, 5, v0
	;; [unrolled: 5-line block ×14, first 2 shown]
	v_cndmask_b32_e32 v126, v126, v63, vcc_lo
	s_wait_dscnt 0x0
	s_delay_alu instid0(VALU_DEP_1)
	v_mul_f32_e32 v130, v126, v127
	s_cbranch_execz .LBB29_229
	s_branch .LBB29_230
.LBB29_228:
                                        ; implicit-def: $vgpr130
.LBB29_229:
	ds_load_b32 v130, v129
.LBB29_230:
	s_and_saveexec_b32 s5, s0
	s_cbranch_execz .LBB29_240
; %bb.231:
	v_dual_add_nc_u32 v126, -15, v0 :: v_dual_add_nc_u32 v127, -14, v0
	s_delay_alu instid0(VALU_DEP_1)
	v_cmp_lt_u32_e32 vcc_lo, 6, v126
	v_mov_b32_e32 v126, 14
	s_and_saveexec_b32 s0, vcc_lo
	s_cbranch_execz .LBB29_235
; %bb.232:
	v_and_b32_e32 v126, -8, v127
	s_mov_b32 s6, 0
	s_mov_b64 s[2:3], 21
	s_movk_i32 s7, 0xb8
	s_delay_alu instid0(VALU_DEP_1)
	v_sub_nc_u32_e32 v128, 0, v126
.LBB29_233:                             ; =>This Inner Loop Header: Depth=1
	s_add_co_i32 m0, s2, -7
	v_movrels_b32_e32 v131, v34
	v_mov_b32_e32 v126, s7
	s_add_co_i32 m0, s2, -6
	s_add_co_i32 s7, s7, 32
	v_movrels_b32_e32 v140, v34
	s_add_co_i32 m0, s2, -5
	ds_load_2addr_b64 v[132:135], v126 offset1:1
	ds_load_2addr_b64 v[136:139], v126 offset0:2 offset1:3
	v_movrels_b32_e32 v126, v34
	s_add_co_i32 m0, s2, -4
	s_wait_dscnt 0x1
	v_fmac_f32_e32 v130, v131, v132
	v_movrels_b32_e32 v131, v34
	s_add_co_i32 m0, s2, -3
	s_delay_alu instid0(VALU_DEP_2) | instskip(NEXT) | instid1(VALU_DEP_1)
	v_fmac_f32_e32 v130, v140, v133
	v_fmac_f32_e32 v130, v126, v134
	v_movrels_b32_e32 v126, v34
	s_add_co_i32 m0, s2, -2
	s_delay_alu instid0(VALU_DEP_2) | instskip(SKIP_3) | instid1(VALU_DEP_2)
	v_fmac_f32_e32 v130, v131, v135
	v_movrels_b32_e32 v131, v34
	s_add_co_i32 m0, s2, -1
	s_wait_dscnt 0x0
	v_fmac_f32_e32 v130, v126, v136
	v_movrels_b32_e32 v126, v34
	s_mov_b32 m0, s2
	s_add_nc_u64 s[2:3], s[2:3], 8
	v_movrels_b32_e32 v132, v34
	v_dual_fmac_f32 v130, v131, v137 :: v_dual_add_nc_u32 v131, s2, v128
	s_add_co_i32 s8, s2, -7
	s_delay_alu instid0(VALU_DEP_1) | instskip(NEXT) | instid1(VALU_DEP_2)
	v_fmac_f32_e32 v130, v126, v138
	v_cmp_eq_u32_e32 vcc_lo, 21, v131
	s_delay_alu instid0(VALU_DEP_2) | instskip(SKIP_1) | instid1(SALU_CYCLE_1)
	v_dual_mov_b32 v126, s8 :: v_dual_fmac_f32 v130, v132, v139
	s_or_b32 s6, vcc_lo, s6
	s_and_not1_b32 exec_lo, exec_lo, s6
	s_cbranch_execnz .LBB29_233
; %bb.234:
	s_or_b32 exec_lo, exec_lo, s6
.LBB29_235:
	s_delay_alu instid0(SALU_CYCLE_1) | instskip(SKIP_3) | instid1(VALU_DEP_1)
	s_or_b32 exec_lo, exec_lo, s0
	v_and_b32_e32 v64, 7, v127
	s_mov_b32 s2, 0
	s_mov_b32 s0, exec_lo
	v_cmpx_ne_u32_e32 0, v64
	s_cbranch_execz .LBB29_239
; %bb.236:
	v_lshl_add_u32 v65, v126, 2, 0x80
	v_mov_b32_e32 v127, 0
.LBB29_237:                             ; =>This Inner Loop Header: Depth=1
	v_cmp_eq_u32_e32 vcc_lo, 1, v126
	ds_load_b32 v131, v65
	v_dual_add_nc_u32 v64, -1, v64 :: v_dual_add_nc_u32 v65, 4, v65
	v_cndmask_b32_e32 v128, v34, v35, vcc_lo
	v_cmp_eq_u32_e32 vcc_lo, 2, v126
	s_delay_alu instid0(VALU_DEP_2) | instskip(SKIP_1) | instid1(VALU_DEP_2)
	v_cndmask_b32_e32 v128, v128, v36, vcc_lo
	v_cmp_eq_u32_e32 vcc_lo, 3, v126
	v_cndmask_b32_e32 v128, v128, v37, vcc_lo
	v_cmp_eq_u32_e32 vcc_lo, 4, v126
	s_delay_alu instid0(VALU_DEP_2) | instskip(SKIP_1) | instid1(VALU_DEP_2)
	v_cndmask_b32_e32 v128, v128, v38, vcc_lo
	v_cmp_eq_u32_e32 vcc_lo, 5, v126
	v_cndmask_b32_e32 v128, v128, v39, vcc_lo
	v_cmp_eq_u32_e32 vcc_lo, 6, v126
	s_delay_alu instid0(VALU_DEP_2) | instskip(SKIP_1) | instid1(VALU_DEP_2)
	v_cndmask_b32_e32 v128, v128, v40, vcc_lo
	v_cmp_eq_u32_e32 vcc_lo, 7, v126
	v_cndmask_b32_e32 v128, v128, v41, vcc_lo
	v_cmp_eq_u32_e32 vcc_lo, 8, v126
	s_delay_alu instid0(VALU_DEP_2) | instskip(SKIP_1) | instid1(VALU_DEP_2)
	v_cndmask_b32_e32 v128, v128, v42, vcc_lo
	v_cmp_eq_u32_e32 vcc_lo, 9, v126
	v_cndmask_b32_e32 v128, v128, v43, vcc_lo
	v_cmp_eq_u32_e32 vcc_lo, 10, v126
	s_delay_alu instid0(VALU_DEP_2) | instskip(SKIP_1) | instid1(VALU_DEP_2)
	v_cndmask_b32_e32 v128, v128, v44, vcc_lo
	v_cmp_eq_u32_e32 vcc_lo, 11, v126
	v_cndmask_b32_e32 v128, v128, v45, vcc_lo
	v_cmp_eq_u32_e32 vcc_lo, 12, v126
	s_delay_alu instid0(VALU_DEP_2) | instskip(SKIP_1) | instid1(VALU_DEP_2)
	v_cndmask_b32_e32 v128, v128, v46, vcc_lo
	v_cmp_eq_u32_e32 vcc_lo, 13, v126
	v_cndmask_b32_e32 v128, v128, v47, vcc_lo
	v_cmp_eq_u32_e32 vcc_lo, 14, v126
	s_delay_alu instid0(VALU_DEP_2) | instskip(SKIP_1) | instid1(VALU_DEP_2)
	v_cndmask_b32_e32 v128, v128, v48, vcc_lo
	v_cmp_eq_u32_e32 vcc_lo, 15, v126
	v_cndmask_b32_e32 v128, v128, v49, vcc_lo
	v_cmp_eq_u32_e32 vcc_lo, 16, v126
	s_delay_alu instid0(VALU_DEP_2) | instskip(SKIP_1) | instid1(VALU_DEP_2)
	v_cndmask_b32_e32 v128, v128, v50, vcc_lo
	v_cmp_eq_u32_e32 vcc_lo, 17, v126
	v_cndmask_b32_e32 v128, v128, v51, vcc_lo
	v_cmp_eq_u32_e32 vcc_lo, 18, v126
	s_delay_alu instid0(VALU_DEP_2) | instskip(SKIP_1) | instid1(VALU_DEP_2)
	v_cndmask_b32_e32 v128, v128, v52, vcc_lo
	v_cmp_eq_u32_e32 vcc_lo, 19, v126
	v_cndmask_b32_e32 v128, v128, v53, vcc_lo
	v_cmp_eq_u32_e32 vcc_lo, 20, v126
	s_delay_alu instid0(VALU_DEP_2) | instskip(SKIP_1) | instid1(VALU_DEP_2)
	v_cndmask_b32_e32 v128, v128, v54, vcc_lo
	v_cmp_eq_u32_e32 vcc_lo, 21, v126
	v_cndmask_b32_e32 v128, v128, v55, vcc_lo
	v_cmp_eq_u32_e32 vcc_lo, 22, v126
	s_delay_alu instid0(VALU_DEP_2) | instskip(SKIP_1) | instid1(VALU_DEP_2)
	v_cndmask_b32_e32 v128, v128, v56, vcc_lo
	v_cmp_eq_u32_e32 vcc_lo, 23, v126
	v_cndmask_b32_e32 v128, v128, v57, vcc_lo
	v_cmp_eq_u32_e32 vcc_lo, 24, v126
	s_delay_alu instid0(VALU_DEP_2) | instskip(SKIP_1) | instid1(VALU_DEP_2)
	v_cndmask_b32_e32 v128, v128, v58, vcc_lo
	v_cmp_eq_u32_e32 vcc_lo, 25, v126
	v_cndmask_b32_e32 v128, v128, v59, vcc_lo
	v_cmp_eq_u32_e32 vcc_lo, 26, v126
	s_delay_alu instid0(VALU_DEP_2) | instskip(SKIP_1) | instid1(VALU_DEP_2)
	v_cndmask_b32_e32 v128, v128, v60, vcc_lo
	v_cmp_eq_u32_e32 vcc_lo, 27, v126
	v_cndmask_b32_e32 v128, v128, v61, vcc_lo
	v_cmp_eq_u32_e32 vcc_lo, 28, v126
	s_delay_alu instid0(VALU_DEP_2) | instskip(SKIP_2) | instid1(VALU_DEP_3)
	v_cndmask_b32_e32 v128, v128, v62, vcc_lo
	v_cmp_eq_u32_e32 vcc_lo, 29, v126
	v_add_nc_u64_e32 v[126:127], 1, v[126:127]
	v_cndmask_b32_e32 v128, v128, v63, vcc_lo
	v_cmp_eq_u32_e32 vcc_lo, 0, v64
	s_wait_dscnt 0x0
	s_delay_alu instid0(VALU_DEP_2) | instskip(SKIP_1) | instid1(SALU_CYCLE_1)
	v_fmac_f32_e32 v130, v128, v131
	s_or_b32 s2, vcc_lo, s2
	s_and_not1_b32 exec_lo, exec_lo, s2
	s_cbranch_execnz .LBB29_237
; %bb.238:
	s_or_b32 exec_lo, exec_lo, s2
.LBB29_239:
	s_delay_alu instid0(SALU_CYCLE_1)
	s_or_b32 exec_lo, exec_lo, s0
.LBB29_240:
	s_delay_alu instid0(SALU_CYCLE_1)
	s_or_b32 exec_lo, exec_lo, s5
	v_mov_b32_e32 v47, 0
	ds_load_b32 v47, v47 offset:52
	s_wait_dscnt 0x0
	v_mul_f32_e32 v47, v130, v47
.LBB29_241:
	s_or_b32 exec_lo, exec_lo, s4
	v_cmp_lt_u32_e64 s0, 12, v0
	ds_store_b32 v129, v46
	s_wait_dscnt 0x0
	s_barrier_signal -1
	s_barrier_wait -1
	s_and_saveexec_b32 s4, s0
	s_cbranch_execz .LBB29_257
; %bb.242:
	s_and_not1_b32 vcc_lo, exec_lo, s33
	s_cbranch_vccnz .LBB29_244
; %bb.243:
	v_cmp_eq_u32_e32 vcc_lo, 1, v0
	ds_load_b32 v127, v129
	v_cndmask_b32_e32 v126, v34, v35, vcc_lo
	v_cmp_eq_u32_e32 vcc_lo, 2, v0
	s_delay_alu instid0(VALU_DEP_2) | instskip(SKIP_1) | instid1(VALU_DEP_2)
	v_cndmask_b32_e32 v126, v126, v36, vcc_lo
	v_cmp_eq_u32_e32 vcc_lo, 3, v0
	v_cndmask_b32_e32 v126, v126, v37, vcc_lo
	v_cmp_eq_u32_e32 vcc_lo, 4, v0
	s_delay_alu instid0(VALU_DEP_2) | instskip(SKIP_1) | instid1(VALU_DEP_2)
	v_cndmask_b32_e32 v126, v126, v38, vcc_lo
	v_cmp_eq_u32_e32 vcc_lo, 5, v0
	;; [unrolled: 5-line block ×14, first 2 shown]
	v_cndmask_b32_e32 v126, v126, v63, vcc_lo
	s_wait_dscnt 0x0
	s_delay_alu instid0(VALU_DEP_1)
	v_mul_f32_e32 v130, v126, v127
	s_cbranch_execz .LBB29_245
	s_branch .LBB29_246
.LBB29_244:
                                        ; implicit-def: $vgpr130
.LBB29_245:
	ds_load_b32 v130, v129
.LBB29_246:
	s_and_saveexec_b32 s5, s1
	s_cbranch_execz .LBB29_256
; %bb.247:
	v_dual_add_nc_u32 v126, -14, v0 :: v_dual_add_nc_u32 v127, -13, v0
	s_delay_alu instid0(VALU_DEP_1)
	v_cmp_lt_u32_e32 vcc_lo, 6, v126
	v_mov_b32_e32 v126, 13
	s_and_saveexec_b32 s1, vcc_lo
	s_cbranch_execz .LBB29_251
; %bb.248:
	v_and_b32_e32 v126, -8, v127
	s_mov_b32 s6, 0
	s_mov_b64 s[2:3], 20
	s_movk_i32 s7, 0xb4
	s_delay_alu instid0(VALU_DEP_1)
	v_sub_nc_u32_e32 v128, 0, v126
.LBB29_249:                             ; =>This Inner Loop Header: Depth=1
	s_add_co_i32 m0, s2, -7
	v_movrels_b32_e32 v131, v34
	v_mov_b32_e32 v126, s7
	s_add_co_i32 m0, s2, -6
	s_add_co_i32 s7, s7, 32
	v_movrels_b32_e32 v140, v34
	ds_load_2addr_b32 v[132:133], v126 offset1:1
	ds_load_2addr_b32 v[134:135], v126 offset0:2 offset1:3
	s_add_co_i32 m0, s2, -5
	s_wait_dscnt 0x1
	v_fmac_f32_e32 v130, v131, v132
	ds_load_2addr_b32 v[136:137], v126 offset0:4 offset1:5
	ds_load_2addr_b32 v[138:139], v126 offset0:6 offset1:7
	v_movrels_b32_e32 v126, v34
	s_add_co_i32 m0, s2, -4
	v_fmac_f32_e32 v130, v140, v133
	v_movrels_b32_e32 v131, v34
	s_add_co_i32 m0, s2, -3
	s_wait_dscnt 0x2
	s_delay_alu instid0(VALU_DEP_2) | instskip(SKIP_2) | instid1(VALU_DEP_2)
	v_fmac_f32_e32 v130, v126, v134
	v_movrels_b32_e32 v126, v34
	s_add_co_i32 m0, s2, -2
	v_fmac_f32_e32 v130, v131, v135
	v_movrels_b32_e32 v131, v34
	s_add_co_i32 m0, s2, -1
	s_wait_dscnt 0x1
	s_delay_alu instid0(VALU_DEP_2)
	v_fmac_f32_e32 v130, v126, v136
	v_movrels_b32_e32 v126, v34
	s_mov_b32 m0, s2
	s_add_nc_u64 s[2:3], s[2:3], 8
	v_movrels_b32_e32 v132, v34
	v_dual_fmac_f32 v130, v131, v137 :: v_dual_add_nc_u32 v131, s2, v128
	s_add_co_i32 s8, s2, -7
	s_wait_dscnt 0x0
	s_delay_alu instid0(VALU_DEP_1) | instskip(NEXT) | instid1(VALU_DEP_2)
	v_fmac_f32_e32 v130, v126, v138
	v_cmp_eq_u32_e32 vcc_lo, 20, v131
	s_delay_alu instid0(VALU_DEP_2) | instskip(SKIP_1) | instid1(SALU_CYCLE_1)
	v_dual_mov_b32 v126, s8 :: v_dual_fmac_f32 v130, v132, v139
	s_or_b32 s6, vcc_lo, s6
	s_and_not1_b32 exec_lo, exec_lo, s6
	s_cbranch_execnz .LBB29_249
; %bb.250:
	s_or_b32 exec_lo, exec_lo, s6
.LBB29_251:
	s_delay_alu instid0(SALU_CYCLE_1) | instskip(SKIP_3) | instid1(VALU_DEP_1)
	s_or_b32 exec_lo, exec_lo, s1
	v_and_b32_e32 v64, 7, v127
	s_mov_b32 s2, 0
	s_mov_b32 s1, exec_lo
	v_cmpx_ne_u32_e32 0, v64
	s_cbranch_execz .LBB29_255
; %bb.252:
	v_lshl_add_u32 v65, v126, 2, 0x80
	v_mov_b32_e32 v127, 0
.LBB29_253:                             ; =>This Inner Loop Header: Depth=1
	v_cmp_eq_u32_e32 vcc_lo, 1, v126
	ds_load_b32 v131, v65
	v_dual_add_nc_u32 v64, -1, v64 :: v_dual_add_nc_u32 v65, 4, v65
	v_cndmask_b32_e32 v128, v34, v35, vcc_lo
	v_cmp_eq_u32_e32 vcc_lo, 2, v126
	s_delay_alu instid0(VALU_DEP_2) | instskip(SKIP_1) | instid1(VALU_DEP_2)
	v_cndmask_b32_e32 v128, v128, v36, vcc_lo
	v_cmp_eq_u32_e32 vcc_lo, 3, v126
	v_cndmask_b32_e32 v128, v128, v37, vcc_lo
	v_cmp_eq_u32_e32 vcc_lo, 4, v126
	s_delay_alu instid0(VALU_DEP_2) | instskip(SKIP_1) | instid1(VALU_DEP_2)
	v_cndmask_b32_e32 v128, v128, v38, vcc_lo
	v_cmp_eq_u32_e32 vcc_lo, 5, v126
	;; [unrolled: 5-line block ×13, first 2 shown]
	v_cndmask_b32_e32 v128, v128, v61, vcc_lo
	v_cmp_eq_u32_e32 vcc_lo, 28, v126
	s_delay_alu instid0(VALU_DEP_2) | instskip(SKIP_2) | instid1(VALU_DEP_3)
	v_cndmask_b32_e32 v128, v128, v62, vcc_lo
	v_cmp_eq_u32_e32 vcc_lo, 29, v126
	v_add_nc_u64_e32 v[126:127], 1, v[126:127]
	v_cndmask_b32_e32 v128, v128, v63, vcc_lo
	v_cmp_eq_u32_e32 vcc_lo, 0, v64
	s_wait_dscnt 0x0
	s_delay_alu instid0(VALU_DEP_2) | instskip(SKIP_1) | instid1(SALU_CYCLE_1)
	v_fmac_f32_e32 v130, v128, v131
	s_or_b32 s2, vcc_lo, s2
	s_and_not1_b32 exec_lo, exec_lo, s2
	s_cbranch_execnz .LBB29_253
; %bb.254:
	s_or_b32 exec_lo, exec_lo, s2
.LBB29_255:
	s_delay_alu instid0(SALU_CYCLE_1)
	s_or_b32 exec_lo, exec_lo, s1
.LBB29_256:
	s_delay_alu instid0(SALU_CYCLE_1)
	s_or_b32 exec_lo, exec_lo, s5
	v_mov_b32_e32 v46, 0
	ds_load_b32 v46, v46 offset:48
	s_wait_dscnt 0x0
	v_mul_f32_e32 v46, v130, v46
.LBB29_257:
	s_or_b32 exec_lo, exec_lo, s4
	v_cmp_lt_u32_e64 s1, 11, v0
	ds_store_b32 v129, v45
	s_wait_dscnt 0x0
	s_barrier_signal -1
	s_barrier_wait -1
	s_and_saveexec_b32 s4, s1
	s_cbranch_execz .LBB29_273
; %bb.258:
	s_and_not1_b32 vcc_lo, exec_lo, s33
	s_cbranch_vccnz .LBB29_260
; %bb.259:
	v_cmp_eq_u32_e32 vcc_lo, 1, v0
	ds_load_b32 v127, v129
	v_cndmask_b32_e32 v126, v34, v35, vcc_lo
	v_cmp_eq_u32_e32 vcc_lo, 2, v0
	s_delay_alu instid0(VALU_DEP_2) | instskip(SKIP_1) | instid1(VALU_DEP_2)
	v_cndmask_b32_e32 v126, v126, v36, vcc_lo
	v_cmp_eq_u32_e32 vcc_lo, 3, v0
	v_cndmask_b32_e32 v126, v126, v37, vcc_lo
	v_cmp_eq_u32_e32 vcc_lo, 4, v0
	s_delay_alu instid0(VALU_DEP_2) | instskip(SKIP_1) | instid1(VALU_DEP_2)
	v_cndmask_b32_e32 v126, v126, v38, vcc_lo
	v_cmp_eq_u32_e32 vcc_lo, 5, v0
	;; [unrolled: 5-line block ×14, first 2 shown]
	v_cndmask_b32_e32 v126, v126, v63, vcc_lo
	s_wait_dscnt 0x0
	s_delay_alu instid0(VALU_DEP_1)
	v_mul_f32_e32 v130, v126, v127
	s_cbranch_execz .LBB29_261
	s_branch .LBB29_262
.LBB29_260:
                                        ; implicit-def: $vgpr130
.LBB29_261:
	ds_load_b32 v130, v129
.LBB29_262:
	s_and_saveexec_b32 s5, s0
	s_cbranch_execz .LBB29_272
; %bb.263:
	v_dual_add_nc_u32 v126, -13, v0 :: v_dual_add_nc_u32 v127, -12, v0
	s_delay_alu instid0(VALU_DEP_1)
	v_cmp_lt_u32_e32 vcc_lo, 6, v126
	v_mov_b32_e32 v126, 12
	s_and_saveexec_b32 s0, vcc_lo
	s_cbranch_execz .LBB29_267
; %bb.264:
	v_and_b32_e32 v126, -8, v127
	s_mov_b32 s6, 0
	s_mov_b64 s[2:3], 19
	s_movk_i32 s7, 0xb0
	s_delay_alu instid0(VALU_DEP_1)
	v_sub_nc_u32_e32 v128, 0, v126
.LBB29_265:                             ; =>This Inner Loop Header: Depth=1
	s_add_co_i32 m0, s2, -7
	v_movrels_b32_e32 v131, v34
	v_mov_b32_e32 v126, s7
	s_add_co_i32 m0, s2, -6
	s_add_co_i32 s7, s7, 32
	v_movrels_b32_e32 v140, v34
	s_add_co_i32 m0, s2, -5
	ds_load_b128 v[132:135], v126
	ds_load_b128 v[136:139], v126 offset:16
	v_movrels_b32_e32 v126, v34
	s_add_co_i32 m0, s2, -4
	s_wait_dscnt 0x1
	v_fmac_f32_e32 v130, v131, v132
	v_movrels_b32_e32 v131, v34
	s_add_co_i32 m0, s2, -3
	s_delay_alu instid0(VALU_DEP_2) | instskip(NEXT) | instid1(VALU_DEP_1)
	v_fmac_f32_e32 v130, v140, v133
	v_fmac_f32_e32 v130, v126, v134
	v_movrels_b32_e32 v126, v34
	s_add_co_i32 m0, s2, -2
	s_delay_alu instid0(VALU_DEP_2) | instskip(SKIP_3) | instid1(VALU_DEP_2)
	v_fmac_f32_e32 v130, v131, v135
	v_movrels_b32_e32 v131, v34
	s_add_co_i32 m0, s2, -1
	s_wait_dscnt 0x0
	v_fmac_f32_e32 v130, v126, v136
	v_movrels_b32_e32 v126, v34
	s_mov_b32 m0, s2
	s_add_nc_u64 s[2:3], s[2:3], 8
	v_movrels_b32_e32 v132, v34
	v_dual_fmac_f32 v130, v131, v137 :: v_dual_add_nc_u32 v131, s2, v128
	s_add_co_i32 s8, s2, -7
	s_delay_alu instid0(VALU_DEP_1) | instskip(NEXT) | instid1(VALU_DEP_2)
	v_fmac_f32_e32 v130, v126, v138
	v_cmp_eq_u32_e32 vcc_lo, 19, v131
	s_delay_alu instid0(VALU_DEP_2) | instskip(SKIP_1) | instid1(SALU_CYCLE_1)
	v_dual_mov_b32 v126, s8 :: v_dual_fmac_f32 v130, v132, v139
	s_or_b32 s6, vcc_lo, s6
	s_and_not1_b32 exec_lo, exec_lo, s6
	s_cbranch_execnz .LBB29_265
; %bb.266:
	s_or_b32 exec_lo, exec_lo, s6
.LBB29_267:
	s_delay_alu instid0(SALU_CYCLE_1) | instskip(SKIP_3) | instid1(VALU_DEP_1)
	s_or_b32 exec_lo, exec_lo, s0
	v_and_b32_e32 v64, 7, v127
	s_mov_b32 s2, 0
	s_mov_b32 s0, exec_lo
	v_cmpx_ne_u32_e32 0, v64
	s_cbranch_execz .LBB29_271
; %bb.268:
	v_lshl_add_u32 v65, v126, 2, 0x80
	v_mov_b32_e32 v127, 0
.LBB29_269:                             ; =>This Inner Loop Header: Depth=1
	v_cmp_eq_u32_e32 vcc_lo, 1, v126
	ds_load_b32 v131, v65
	v_dual_add_nc_u32 v64, -1, v64 :: v_dual_add_nc_u32 v65, 4, v65
	v_cndmask_b32_e32 v128, v34, v35, vcc_lo
	v_cmp_eq_u32_e32 vcc_lo, 2, v126
	s_delay_alu instid0(VALU_DEP_2) | instskip(SKIP_1) | instid1(VALU_DEP_2)
	v_cndmask_b32_e32 v128, v128, v36, vcc_lo
	v_cmp_eq_u32_e32 vcc_lo, 3, v126
	v_cndmask_b32_e32 v128, v128, v37, vcc_lo
	v_cmp_eq_u32_e32 vcc_lo, 4, v126
	s_delay_alu instid0(VALU_DEP_2) | instskip(SKIP_1) | instid1(VALU_DEP_2)
	v_cndmask_b32_e32 v128, v128, v38, vcc_lo
	v_cmp_eq_u32_e32 vcc_lo, 5, v126
	;; [unrolled: 5-line block ×13, first 2 shown]
	v_cndmask_b32_e32 v128, v128, v61, vcc_lo
	v_cmp_eq_u32_e32 vcc_lo, 28, v126
	s_delay_alu instid0(VALU_DEP_2) | instskip(SKIP_2) | instid1(VALU_DEP_3)
	v_cndmask_b32_e32 v128, v128, v62, vcc_lo
	v_cmp_eq_u32_e32 vcc_lo, 29, v126
	v_add_nc_u64_e32 v[126:127], 1, v[126:127]
	v_cndmask_b32_e32 v128, v128, v63, vcc_lo
	v_cmp_eq_u32_e32 vcc_lo, 0, v64
	s_wait_dscnt 0x0
	s_delay_alu instid0(VALU_DEP_2) | instskip(SKIP_1) | instid1(SALU_CYCLE_1)
	v_fmac_f32_e32 v130, v128, v131
	s_or_b32 s2, vcc_lo, s2
	s_and_not1_b32 exec_lo, exec_lo, s2
	s_cbranch_execnz .LBB29_269
; %bb.270:
	s_or_b32 exec_lo, exec_lo, s2
.LBB29_271:
	s_delay_alu instid0(SALU_CYCLE_1)
	s_or_b32 exec_lo, exec_lo, s0
.LBB29_272:
	s_delay_alu instid0(SALU_CYCLE_1)
	s_or_b32 exec_lo, exec_lo, s5
	v_mov_b32_e32 v45, 0
	ds_load_b32 v45, v45 offset:44
	s_wait_dscnt 0x0
	v_mul_f32_e32 v45, v130, v45
.LBB29_273:
	s_or_b32 exec_lo, exec_lo, s4
	v_cmp_lt_u32_e64 s0, 10, v0
	ds_store_b32 v129, v44
	s_wait_dscnt 0x0
	s_barrier_signal -1
	s_barrier_wait -1
	s_and_saveexec_b32 s4, s0
	s_cbranch_execz .LBB29_289
; %bb.274:
	s_and_not1_b32 vcc_lo, exec_lo, s33
	s_cbranch_vccnz .LBB29_276
; %bb.275:
	v_cmp_eq_u32_e32 vcc_lo, 1, v0
	ds_load_b32 v127, v129
	v_cndmask_b32_e32 v126, v34, v35, vcc_lo
	v_cmp_eq_u32_e32 vcc_lo, 2, v0
	s_delay_alu instid0(VALU_DEP_2) | instskip(SKIP_1) | instid1(VALU_DEP_2)
	v_cndmask_b32_e32 v126, v126, v36, vcc_lo
	v_cmp_eq_u32_e32 vcc_lo, 3, v0
	v_cndmask_b32_e32 v126, v126, v37, vcc_lo
	v_cmp_eq_u32_e32 vcc_lo, 4, v0
	s_delay_alu instid0(VALU_DEP_2) | instskip(SKIP_1) | instid1(VALU_DEP_2)
	v_cndmask_b32_e32 v126, v126, v38, vcc_lo
	v_cmp_eq_u32_e32 vcc_lo, 5, v0
	;; [unrolled: 5-line block ×14, first 2 shown]
	v_cndmask_b32_e32 v126, v126, v63, vcc_lo
	s_wait_dscnt 0x0
	s_delay_alu instid0(VALU_DEP_1)
	v_mul_f32_e32 v130, v126, v127
	s_cbranch_execz .LBB29_277
	s_branch .LBB29_278
.LBB29_276:
                                        ; implicit-def: $vgpr130
.LBB29_277:
	ds_load_b32 v130, v129
.LBB29_278:
	s_and_saveexec_b32 s5, s1
	s_cbranch_execz .LBB29_288
; %bb.279:
	v_dual_add_nc_u32 v126, -12, v0 :: v_dual_add_nc_u32 v127, -11, v0
	s_delay_alu instid0(VALU_DEP_1)
	v_cmp_lt_u32_e32 vcc_lo, 6, v126
	v_mov_b32_e32 v126, 11
	s_and_saveexec_b32 s1, vcc_lo
	s_cbranch_execz .LBB29_283
; %bb.280:
	v_and_b32_e32 v126, -8, v127
	s_mov_b32 s6, 0
	s_mov_b64 s[2:3], 18
	s_movk_i32 s7, 0xac
	s_delay_alu instid0(VALU_DEP_1)
	v_sub_nc_u32_e32 v128, 0, v126
.LBB29_281:                             ; =>This Inner Loop Header: Depth=1
	s_add_co_i32 m0, s2, -7
	v_movrels_b32_e32 v131, v34
	v_mov_b32_e32 v126, s7
	s_add_co_i32 m0, s2, -6
	s_add_co_i32 s7, s7, 32
	v_movrels_b32_e32 v140, v34
	ds_load_2addr_b32 v[132:133], v126 offset1:1
	ds_load_2addr_b32 v[134:135], v126 offset0:2 offset1:3
	s_add_co_i32 m0, s2, -5
	s_wait_dscnt 0x1
	v_fmac_f32_e32 v130, v131, v132
	ds_load_2addr_b32 v[136:137], v126 offset0:4 offset1:5
	ds_load_2addr_b32 v[138:139], v126 offset0:6 offset1:7
	v_movrels_b32_e32 v126, v34
	s_add_co_i32 m0, s2, -4
	v_fmac_f32_e32 v130, v140, v133
	v_movrels_b32_e32 v131, v34
	s_add_co_i32 m0, s2, -3
	s_wait_dscnt 0x2
	s_delay_alu instid0(VALU_DEP_2) | instskip(SKIP_2) | instid1(VALU_DEP_2)
	v_fmac_f32_e32 v130, v126, v134
	v_movrels_b32_e32 v126, v34
	s_add_co_i32 m0, s2, -2
	v_fmac_f32_e32 v130, v131, v135
	v_movrels_b32_e32 v131, v34
	s_add_co_i32 m0, s2, -1
	s_wait_dscnt 0x1
	s_delay_alu instid0(VALU_DEP_2)
	v_fmac_f32_e32 v130, v126, v136
	v_movrels_b32_e32 v126, v34
	s_mov_b32 m0, s2
	s_add_nc_u64 s[2:3], s[2:3], 8
	v_movrels_b32_e32 v132, v34
	v_dual_fmac_f32 v130, v131, v137 :: v_dual_add_nc_u32 v131, s2, v128
	s_add_co_i32 s8, s2, -7
	s_wait_dscnt 0x0
	s_delay_alu instid0(VALU_DEP_1) | instskip(NEXT) | instid1(VALU_DEP_2)
	v_fmac_f32_e32 v130, v126, v138
	v_cmp_eq_u32_e32 vcc_lo, 18, v131
	s_delay_alu instid0(VALU_DEP_2) | instskip(SKIP_1) | instid1(SALU_CYCLE_1)
	v_dual_mov_b32 v126, s8 :: v_dual_fmac_f32 v130, v132, v139
	s_or_b32 s6, vcc_lo, s6
	s_and_not1_b32 exec_lo, exec_lo, s6
	s_cbranch_execnz .LBB29_281
; %bb.282:
	s_or_b32 exec_lo, exec_lo, s6
.LBB29_283:
	s_delay_alu instid0(SALU_CYCLE_1) | instskip(SKIP_3) | instid1(VALU_DEP_1)
	s_or_b32 exec_lo, exec_lo, s1
	v_and_b32_e32 v64, 7, v127
	s_mov_b32 s2, 0
	s_mov_b32 s1, exec_lo
	v_cmpx_ne_u32_e32 0, v64
	s_cbranch_execz .LBB29_287
; %bb.284:
	v_lshl_add_u32 v65, v126, 2, 0x80
	v_mov_b32_e32 v127, 0
.LBB29_285:                             ; =>This Inner Loop Header: Depth=1
	v_cmp_eq_u32_e32 vcc_lo, 1, v126
	ds_load_b32 v131, v65
	v_dual_add_nc_u32 v64, -1, v64 :: v_dual_add_nc_u32 v65, 4, v65
	v_cndmask_b32_e32 v128, v34, v35, vcc_lo
	v_cmp_eq_u32_e32 vcc_lo, 2, v126
	s_delay_alu instid0(VALU_DEP_2) | instskip(SKIP_1) | instid1(VALU_DEP_2)
	v_cndmask_b32_e32 v128, v128, v36, vcc_lo
	v_cmp_eq_u32_e32 vcc_lo, 3, v126
	v_cndmask_b32_e32 v128, v128, v37, vcc_lo
	v_cmp_eq_u32_e32 vcc_lo, 4, v126
	s_delay_alu instid0(VALU_DEP_2) | instskip(SKIP_1) | instid1(VALU_DEP_2)
	v_cndmask_b32_e32 v128, v128, v38, vcc_lo
	v_cmp_eq_u32_e32 vcc_lo, 5, v126
	;; [unrolled: 5-line block ×13, first 2 shown]
	v_cndmask_b32_e32 v128, v128, v61, vcc_lo
	v_cmp_eq_u32_e32 vcc_lo, 28, v126
	s_delay_alu instid0(VALU_DEP_2) | instskip(SKIP_2) | instid1(VALU_DEP_3)
	v_cndmask_b32_e32 v128, v128, v62, vcc_lo
	v_cmp_eq_u32_e32 vcc_lo, 29, v126
	v_add_nc_u64_e32 v[126:127], 1, v[126:127]
	v_cndmask_b32_e32 v128, v128, v63, vcc_lo
	v_cmp_eq_u32_e32 vcc_lo, 0, v64
	s_wait_dscnt 0x0
	s_delay_alu instid0(VALU_DEP_2) | instskip(SKIP_1) | instid1(SALU_CYCLE_1)
	v_fmac_f32_e32 v130, v128, v131
	s_or_b32 s2, vcc_lo, s2
	s_and_not1_b32 exec_lo, exec_lo, s2
	s_cbranch_execnz .LBB29_285
; %bb.286:
	s_or_b32 exec_lo, exec_lo, s2
.LBB29_287:
	s_delay_alu instid0(SALU_CYCLE_1)
	s_or_b32 exec_lo, exec_lo, s1
.LBB29_288:
	s_delay_alu instid0(SALU_CYCLE_1)
	s_or_b32 exec_lo, exec_lo, s5
	v_mov_b32_e32 v44, 0
	ds_load_b32 v44, v44 offset:40
	s_wait_dscnt 0x0
	v_mul_f32_e32 v44, v130, v44
.LBB29_289:
	s_or_b32 exec_lo, exec_lo, s4
	v_cmp_lt_u32_e64 s1, 9, v0
	ds_store_b32 v129, v43
	s_wait_dscnt 0x0
	s_barrier_signal -1
	s_barrier_wait -1
	s_and_saveexec_b32 s4, s1
	s_cbranch_execz .LBB29_305
; %bb.290:
	s_and_not1_b32 vcc_lo, exec_lo, s33
	s_cbranch_vccnz .LBB29_292
; %bb.291:
	v_cmp_eq_u32_e32 vcc_lo, 1, v0
	ds_load_b32 v127, v129
	v_cndmask_b32_e32 v126, v34, v35, vcc_lo
	v_cmp_eq_u32_e32 vcc_lo, 2, v0
	s_delay_alu instid0(VALU_DEP_2) | instskip(SKIP_1) | instid1(VALU_DEP_2)
	v_cndmask_b32_e32 v126, v126, v36, vcc_lo
	v_cmp_eq_u32_e32 vcc_lo, 3, v0
	v_cndmask_b32_e32 v126, v126, v37, vcc_lo
	v_cmp_eq_u32_e32 vcc_lo, 4, v0
	s_delay_alu instid0(VALU_DEP_2) | instskip(SKIP_1) | instid1(VALU_DEP_2)
	v_cndmask_b32_e32 v126, v126, v38, vcc_lo
	v_cmp_eq_u32_e32 vcc_lo, 5, v0
	;; [unrolled: 5-line block ×14, first 2 shown]
	v_cndmask_b32_e32 v126, v126, v63, vcc_lo
	s_wait_dscnt 0x0
	s_delay_alu instid0(VALU_DEP_1)
	v_mul_f32_e32 v130, v126, v127
	s_cbranch_execz .LBB29_293
	s_branch .LBB29_294
.LBB29_292:
                                        ; implicit-def: $vgpr130
.LBB29_293:
	ds_load_b32 v130, v129
.LBB29_294:
	s_and_saveexec_b32 s5, s0
	s_cbranch_execz .LBB29_304
; %bb.295:
	v_dual_add_nc_u32 v126, -11, v0 :: v_dual_add_nc_u32 v127, -10, v0
	s_delay_alu instid0(VALU_DEP_1)
	v_cmp_lt_u32_e32 vcc_lo, 6, v126
	v_mov_b32_e32 v126, 10
	s_and_saveexec_b32 s0, vcc_lo
	s_cbranch_execz .LBB29_299
; %bb.296:
	v_and_b32_e32 v126, -8, v127
	s_mov_b32 s6, 0
	s_mov_b64 s[2:3], 17
	s_movk_i32 s7, 0xa8
	s_delay_alu instid0(VALU_DEP_1)
	v_sub_nc_u32_e32 v128, 0, v126
.LBB29_297:                             ; =>This Inner Loop Header: Depth=1
	s_add_co_i32 m0, s2, -7
	v_movrels_b32_e32 v131, v34
	v_mov_b32_e32 v126, s7
	s_add_co_i32 m0, s2, -6
	s_add_co_i32 s7, s7, 32
	v_movrels_b32_e32 v140, v34
	s_add_co_i32 m0, s2, -5
	ds_load_2addr_b64 v[132:135], v126 offset1:1
	ds_load_2addr_b64 v[136:139], v126 offset0:2 offset1:3
	v_movrels_b32_e32 v126, v34
	s_add_co_i32 m0, s2, -4
	s_wait_dscnt 0x1
	v_fmac_f32_e32 v130, v131, v132
	v_movrels_b32_e32 v131, v34
	s_add_co_i32 m0, s2, -3
	s_delay_alu instid0(VALU_DEP_2) | instskip(NEXT) | instid1(VALU_DEP_1)
	v_fmac_f32_e32 v130, v140, v133
	v_fmac_f32_e32 v130, v126, v134
	v_movrels_b32_e32 v126, v34
	s_add_co_i32 m0, s2, -2
	s_delay_alu instid0(VALU_DEP_2) | instskip(SKIP_3) | instid1(VALU_DEP_2)
	v_fmac_f32_e32 v130, v131, v135
	v_movrels_b32_e32 v131, v34
	s_add_co_i32 m0, s2, -1
	s_wait_dscnt 0x0
	v_fmac_f32_e32 v130, v126, v136
	v_movrels_b32_e32 v126, v34
	s_mov_b32 m0, s2
	s_add_nc_u64 s[2:3], s[2:3], 8
	v_movrels_b32_e32 v132, v34
	v_dual_fmac_f32 v130, v131, v137 :: v_dual_add_nc_u32 v131, s2, v128
	s_add_co_i32 s8, s2, -7
	s_delay_alu instid0(VALU_DEP_1) | instskip(NEXT) | instid1(VALU_DEP_2)
	v_fmac_f32_e32 v130, v126, v138
	v_cmp_eq_u32_e32 vcc_lo, 17, v131
	s_delay_alu instid0(VALU_DEP_2) | instskip(SKIP_1) | instid1(SALU_CYCLE_1)
	v_dual_mov_b32 v126, s8 :: v_dual_fmac_f32 v130, v132, v139
	s_or_b32 s6, vcc_lo, s6
	s_and_not1_b32 exec_lo, exec_lo, s6
	s_cbranch_execnz .LBB29_297
; %bb.298:
	s_or_b32 exec_lo, exec_lo, s6
.LBB29_299:
	s_delay_alu instid0(SALU_CYCLE_1) | instskip(SKIP_3) | instid1(VALU_DEP_1)
	s_or_b32 exec_lo, exec_lo, s0
	v_and_b32_e32 v64, 7, v127
	s_mov_b32 s2, 0
	s_mov_b32 s0, exec_lo
	v_cmpx_ne_u32_e32 0, v64
	s_cbranch_execz .LBB29_303
; %bb.300:
	v_lshl_add_u32 v65, v126, 2, 0x80
	v_mov_b32_e32 v127, 0
.LBB29_301:                             ; =>This Inner Loop Header: Depth=1
	v_cmp_eq_u32_e32 vcc_lo, 1, v126
	ds_load_b32 v131, v65
	v_dual_add_nc_u32 v64, -1, v64 :: v_dual_add_nc_u32 v65, 4, v65
	v_cndmask_b32_e32 v128, v34, v35, vcc_lo
	v_cmp_eq_u32_e32 vcc_lo, 2, v126
	s_delay_alu instid0(VALU_DEP_2) | instskip(SKIP_1) | instid1(VALU_DEP_2)
	v_cndmask_b32_e32 v128, v128, v36, vcc_lo
	v_cmp_eq_u32_e32 vcc_lo, 3, v126
	v_cndmask_b32_e32 v128, v128, v37, vcc_lo
	v_cmp_eq_u32_e32 vcc_lo, 4, v126
	s_delay_alu instid0(VALU_DEP_2) | instskip(SKIP_1) | instid1(VALU_DEP_2)
	v_cndmask_b32_e32 v128, v128, v38, vcc_lo
	v_cmp_eq_u32_e32 vcc_lo, 5, v126
	;; [unrolled: 5-line block ×13, first 2 shown]
	v_cndmask_b32_e32 v128, v128, v61, vcc_lo
	v_cmp_eq_u32_e32 vcc_lo, 28, v126
	s_delay_alu instid0(VALU_DEP_2) | instskip(SKIP_2) | instid1(VALU_DEP_3)
	v_cndmask_b32_e32 v128, v128, v62, vcc_lo
	v_cmp_eq_u32_e32 vcc_lo, 29, v126
	v_add_nc_u64_e32 v[126:127], 1, v[126:127]
	v_cndmask_b32_e32 v128, v128, v63, vcc_lo
	v_cmp_eq_u32_e32 vcc_lo, 0, v64
	s_wait_dscnt 0x0
	s_delay_alu instid0(VALU_DEP_2) | instskip(SKIP_1) | instid1(SALU_CYCLE_1)
	v_fmac_f32_e32 v130, v128, v131
	s_or_b32 s2, vcc_lo, s2
	s_and_not1_b32 exec_lo, exec_lo, s2
	s_cbranch_execnz .LBB29_301
; %bb.302:
	s_or_b32 exec_lo, exec_lo, s2
.LBB29_303:
	s_delay_alu instid0(SALU_CYCLE_1)
	s_or_b32 exec_lo, exec_lo, s0
.LBB29_304:
	s_delay_alu instid0(SALU_CYCLE_1)
	s_or_b32 exec_lo, exec_lo, s5
	v_mov_b32_e32 v43, 0
	ds_load_b32 v43, v43 offset:36
	s_wait_dscnt 0x0
	v_mul_f32_e32 v43, v130, v43
.LBB29_305:
	s_or_b32 exec_lo, exec_lo, s4
	v_cmp_lt_u32_e64 s0, 8, v0
	ds_store_b32 v129, v42
	s_wait_dscnt 0x0
	s_barrier_signal -1
	s_barrier_wait -1
	s_and_saveexec_b32 s4, s0
	s_cbranch_execz .LBB29_321
; %bb.306:
	s_and_not1_b32 vcc_lo, exec_lo, s33
	s_cbranch_vccnz .LBB29_308
; %bb.307:
	v_cmp_eq_u32_e32 vcc_lo, 1, v0
	ds_load_b32 v127, v129
	v_cndmask_b32_e32 v126, v34, v35, vcc_lo
	v_cmp_eq_u32_e32 vcc_lo, 2, v0
	s_delay_alu instid0(VALU_DEP_2) | instskip(SKIP_1) | instid1(VALU_DEP_2)
	v_cndmask_b32_e32 v126, v126, v36, vcc_lo
	v_cmp_eq_u32_e32 vcc_lo, 3, v0
	v_cndmask_b32_e32 v126, v126, v37, vcc_lo
	v_cmp_eq_u32_e32 vcc_lo, 4, v0
	s_delay_alu instid0(VALU_DEP_2) | instskip(SKIP_1) | instid1(VALU_DEP_2)
	v_cndmask_b32_e32 v126, v126, v38, vcc_lo
	v_cmp_eq_u32_e32 vcc_lo, 5, v0
	;; [unrolled: 5-line block ×14, first 2 shown]
	v_cndmask_b32_e32 v126, v126, v63, vcc_lo
	s_wait_dscnt 0x0
	s_delay_alu instid0(VALU_DEP_1)
	v_mul_f32_e32 v130, v126, v127
	s_cbranch_execz .LBB29_309
	s_branch .LBB29_310
.LBB29_308:
                                        ; implicit-def: $vgpr130
.LBB29_309:
	ds_load_b32 v130, v129
.LBB29_310:
	s_and_saveexec_b32 s5, s1
	s_cbranch_execz .LBB29_320
; %bb.311:
	v_dual_add_nc_u32 v126, -10, v0 :: v_dual_add_nc_u32 v127, -9, v0
	s_delay_alu instid0(VALU_DEP_1)
	v_cmp_lt_u32_e32 vcc_lo, 6, v126
	v_mov_b32_e32 v126, 9
	s_and_saveexec_b32 s1, vcc_lo
	s_cbranch_execz .LBB29_315
; %bb.312:
	v_and_b32_e32 v126, -8, v127
	s_mov_b32 s6, 0
	s_mov_b64 s[2:3], 16
	s_movk_i32 s7, 0xa4
	s_delay_alu instid0(VALU_DEP_1)
	v_sub_nc_u32_e32 v128, 0, v126
.LBB29_313:                             ; =>This Inner Loop Header: Depth=1
	s_add_co_i32 m0, s2, -7
	v_movrels_b32_e32 v131, v34
	v_mov_b32_e32 v126, s7
	s_add_co_i32 m0, s2, -6
	s_add_co_i32 s7, s7, 32
	v_movrels_b32_e32 v140, v34
	ds_load_2addr_b32 v[132:133], v126 offset1:1
	ds_load_2addr_b32 v[134:135], v126 offset0:2 offset1:3
	s_add_co_i32 m0, s2, -5
	s_wait_dscnt 0x1
	v_fmac_f32_e32 v130, v131, v132
	ds_load_2addr_b32 v[136:137], v126 offset0:4 offset1:5
	ds_load_2addr_b32 v[138:139], v126 offset0:6 offset1:7
	v_movrels_b32_e32 v126, v34
	s_add_co_i32 m0, s2, -4
	v_fmac_f32_e32 v130, v140, v133
	v_movrels_b32_e32 v131, v34
	s_add_co_i32 m0, s2, -3
	s_wait_dscnt 0x2
	s_delay_alu instid0(VALU_DEP_2) | instskip(SKIP_2) | instid1(VALU_DEP_2)
	v_fmac_f32_e32 v130, v126, v134
	v_movrels_b32_e32 v126, v34
	s_add_co_i32 m0, s2, -2
	v_fmac_f32_e32 v130, v131, v135
	v_movrels_b32_e32 v131, v34
	s_add_co_i32 m0, s2, -1
	s_wait_dscnt 0x1
	s_delay_alu instid0(VALU_DEP_2)
	v_fmac_f32_e32 v130, v126, v136
	v_movrels_b32_e32 v126, v34
	s_mov_b32 m0, s2
	s_add_nc_u64 s[2:3], s[2:3], 8
	v_movrels_b32_e32 v132, v34
	v_dual_fmac_f32 v130, v131, v137 :: v_dual_add_nc_u32 v131, s2, v128
	s_add_co_i32 s8, s2, -7
	s_wait_dscnt 0x0
	s_delay_alu instid0(VALU_DEP_1) | instskip(NEXT) | instid1(VALU_DEP_2)
	v_fmac_f32_e32 v130, v126, v138
	v_cmp_eq_u32_e32 vcc_lo, 16, v131
	s_delay_alu instid0(VALU_DEP_2) | instskip(SKIP_1) | instid1(SALU_CYCLE_1)
	v_dual_mov_b32 v126, s8 :: v_dual_fmac_f32 v130, v132, v139
	s_or_b32 s6, vcc_lo, s6
	s_and_not1_b32 exec_lo, exec_lo, s6
	s_cbranch_execnz .LBB29_313
; %bb.314:
	s_or_b32 exec_lo, exec_lo, s6
.LBB29_315:
	s_delay_alu instid0(SALU_CYCLE_1) | instskip(SKIP_3) | instid1(VALU_DEP_1)
	s_or_b32 exec_lo, exec_lo, s1
	v_and_b32_e32 v64, 7, v127
	s_mov_b32 s2, 0
	s_mov_b32 s1, exec_lo
	v_cmpx_ne_u32_e32 0, v64
	s_cbranch_execz .LBB29_319
; %bb.316:
	v_lshl_add_u32 v65, v126, 2, 0x80
	v_mov_b32_e32 v127, 0
.LBB29_317:                             ; =>This Inner Loop Header: Depth=1
	v_cmp_eq_u32_e32 vcc_lo, 1, v126
	ds_load_b32 v131, v65
	v_dual_add_nc_u32 v64, -1, v64 :: v_dual_add_nc_u32 v65, 4, v65
	v_cndmask_b32_e32 v128, v34, v35, vcc_lo
	v_cmp_eq_u32_e32 vcc_lo, 2, v126
	s_delay_alu instid0(VALU_DEP_2) | instskip(SKIP_1) | instid1(VALU_DEP_2)
	v_cndmask_b32_e32 v128, v128, v36, vcc_lo
	v_cmp_eq_u32_e32 vcc_lo, 3, v126
	v_cndmask_b32_e32 v128, v128, v37, vcc_lo
	v_cmp_eq_u32_e32 vcc_lo, 4, v126
	s_delay_alu instid0(VALU_DEP_2) | instskip(SKIP_1) | instid1(VALU_DEP_2)
	v_cndmask_b32_e32 v128, v128, v38, vcc_lo
	v_cmp_eq_u32_e32 vcc_lo, 5, v126
	;; [unrolled: 5-line block ×13, first 2 shown]
	v_cndmask_b32_e32 v128, v128, v61, vcc_lo
	v_cmp_eq_u32_e32 vcc_lo, 28, v126
	s_delay_alu instid0(VALU_DEP_2) | instskip(SKIP_2) | instid1(VALU_DEP_3)
	v_cndmask_b32_e32 v128, v128, v62, vcc_lo
	v_cmp_eq_u32_e32 vcc_lo, 29, v126
	v_add_nc_u64_e32 v[126:127], 1, v[126:127]
	v_cndmask_b32_e32 v128, v128, v63, vcc_lo
	v_cmp_eq_u32_e32 vcc_lo, 0, v64
	s_wait_dscnt 0x0
	s_delay_alu instid0(VALU_DEP_2) | instskip(SKIP_1) | instid1(SALU_CYCLE_1)
	v_fmac_f32_e32 v130, v128, v131
	s_or_b32 s2, vcc_lo, s2
	s_and_not1_b32 exec_lo, exec_lo, s2
	s_cbranch_execnz .LBB29_317
; %bb.318:
	s_or_b32 exec_lo, exec_lo, s2
.LBB29_319:
	s_delay_alu instid0(SALU_CYCLE_1)
	s_or_b32 exec_lo, exec_lo, s1
.LBB29_320:
	s_delay_alu instid0(SALU_CYCLE_1)
	s_or_b32 exec_lo, exec_lo, s5
	v_mov_b32_e32 v42, 0
	ds_load_b32 v42, v42 offset:32
	s_wait_dscnt 0x0
	v_mul_f32_e32 v42, v130, v42
.LBB29_321:
	s_or_b32 exec_lo, exec_lo, s4
	v_cmp_lt_u32_e64 s1, 7, v0
	ds_store_b32 v129, v41
	s_wait_dscnt 0x0
	s_barrier_signal -1
	s_barrier_wait -1
	s_and_saveexec_b32 s4, s1
	s_cbranch_execz .LBB29_337
; %bb.322:
	s_and_not1_b32 vcc_lo, exec_lo, s33
	s_cbranch_vccnz .LBB29_324
; %bb.323:
	v_cmp_eq_u32_e32 vcc_lo, 1, v0
	ds_load_b32 v127, v129
	v_cndmask_b32_e32 v126, v34, v35, vcc_lo
	v_cmp_eq_u32_e32 vcc_lo, 2, v0
	s_delay_alu instid0(VALU_DEP_2) | instskip(SKIP_1) | instid1(VALU_DEP_2)
	v_cndmask_b32_e32 v126, v126, v36, vcc_lo
	v_cmp_eq_u32_e32 vcc_lo, 3, v0
	v_cndmask_b32_e32 v126, v126, v37, vcc_lo
	v_cmp_eq_u32_e32 vcc_lo, 4, v0
	s_delay_alu instid0(VALU_DEP_2) | instskip(SKIP_1) | instid1(VALU_DEP_2)
	v_cndmask_b32_e32 v126, v126, v38, vcc_lo
	v_cmp_eq_u32_e32 vcc_lo, 5, v0
	;; [unrolled: 5-line block ×14, first 2 shown]
	v_cndmask_b32_e32 v126, v126, v63, vcc_lo
	s_wait_dscnt 0x0
	s_delay_alu instid0(VALU_DEP_1)
	v_mul_f32_e32 v130, v126, v127
	s_cbranch_execz .LBB29_325
	s_branch .LBB29_326
.LBB29_324:
                                        ; implicit-def: $vgpr130
.LBB29_325:
	ds_load_b32 v130, v129
.LBB29_326:
	s_and_saveexec_b32 s5, s0
	s_cbranch_execz .LBB29_336
; %bb.327:
	v_add_nc_u32_e32 v126, -9, v0
	s_delay_alu instid0(VALU_DEP_1)
	v_cmp_lt_u32_e32 vcc_lo, 6, v126
	v_mov_b32_e32 v126, 8
	s_and_saveexec_b32 s0, vcc_lo
	s_cbranch_execz .LBB29_331
; %bb.328:
	v_and_b32_e32 v126, 24, v0
	s_mov_b32 s6, 0
	s_mov_b64 s[2:3], 15
	s_movk_i32 s7, 0xa0
	s_delay_alu instid0(VALU_DEP_1)
	v_sub_nc_u32_e32 v128, 0, v126
.LBB29_329:                             ; =>This Inner Loop Header: Depth=1
	s_add_co_i32 m0, s2, -7
	v_movrels_b32_e32 v127, v34
	v_mov_b32_e32 v126, s7
	s_add_co_i32 m0, s2, -6
	s_add_co_i32 s7, s7, 32
	v_movrels_b32_e32 v131, v34
	s_add_co_i32 m0, s2, -5
	ds_load_b128 v[132:135], v126
	ds_load_b128 v[136:139], v126 offset:16
	v_movrels_b32_e32 v126, v34
	s_add_co_i32 m0, s2, -4
	s_wait_dscnt 0x1
	v_fmac_f32_e32 v130, v127, v132
	v_movrels_b32_e32 v127, v34
	s_add_co_i32 m0, s2, -3
	s_delay_alu instid0(VALU_DEP_2) | instskip(NEXT) | instid1(VALU_DEP_1)
	v_fmac_f32_e32 v130, v131, v133
	v_fmac_f32_e32 v130, v126, v134
	v_movrels_b32_e32 v126, v34
	s_add_co_i32 m0, s2, -2
	s_delay_alu instid0(VALU_DEP_2) | instskip(SKIP_3) | instid1(VALU_DEP_2)
	v_fmac_f32_e32 v130, v127, v135
	v_movrels_b32_e32 v127, v34
	s_add_co_i32 m0, s2, -1
	s_wait_dscnt 0x0
	v_fmac_f32_e32 v130, v126, v136
	v_movrels_b32_e32 v126, v34
	s_mov_b32 m0, s2
	s_add_nc_u64 s[2:3], s[2:3], 8
	v_movrels_b32_e32 v131, v34
	v_dual_fmac_f32 v130, v127, v137 :: v_dual_add_nc_u32 v127, s2, v128
	s_add_co_i32 s8, s2, -7
	s_delay_alu instid0(VALU_DEP_1) | instskip(NEXT) | instid1(VALU_DEP_2)
	v_fmac_f32_e32 v130, v126, v138
	v_cmp_eq_u32_e32 vcc_lo, 7, v127
	s_delay_alu instid0(VALU_DEP_2) | instskip(SKIP_1) | instid1(SALU_CYCLE_1)
	v_dual_mov_b32 v126, s8 :: v_dual_fmac_f32 v130, v131, v139
	s_or_b32 s6, vcc_lo, s6
	s_and_not1_b32 exec_lo, exec_lo, s6
	s_cbranch_execnz .LBB29_329
; %bb.330:
	s_or_b32 exec_lo, exec_lo, s6
.LBB29_331:
	s_delay_alu instid0(SALU_CYCLE_1) | instskip(SKIP_3) | instid1(VALU_DEP_1)
	s_or_b32 exec_lo, exec_lo, s0
	v_and_b32_e32 v64, 7, v0
	s_mov_b32 s2, 0
	s_mov_b32 s0, exec_lo
	v_cmpx_ne_u32_e32 0, v64
	s_cbranch_execz .LBB29_335
; %bb.332:
	v_lshl_add_u32 v65, v126, 2, 0x80
	v_mov_b32_e32 v127, 0
.LBB29_333:                             ; =>This Inner Loop Header: Depth=1
	v_cmp_eq_u32_e32 vcc_lo, 1, v126
	ds_load_b32 v131, v65
	v_dual_add_nc_u32 v64, -1, v64 :: v_dual_add_nc_u32 v65, 4, v65
	v_cndmask_b32_e32 v128, v34, v35, vcc_lo
	v_cmp_eq_u32_e32 vcc_lo, 2, v126
	s_delay_alu instid0(VALU_DEP_2) | instskip(SKIP_1) | instid1(VALU_DEP_2)
	v_cndmask_b32_e32 v128, v128, v36, vcc_lo
	v_cmp_eq_u32_e32 vcc_lo, 3, v126
	v_cndmask_b32_e32 v128, v128, v37, vcc_lo
	v_cmp_eq_u32_e32 vcc_lo, 4, v126
	s_delay_alu instid0(VALU_DEP_2) | instskip(SKIP_1) | instid1(VALU_DEP_2)
	v_cndmask_b32_e32 v128, v128, v38, vcc_lo
	v_cmp_eq_u32_e32 vcc_lo, 5, v126
	;; [unrolled: 5-line block ×13, first 2 shown]
	v_cndmask_b32_e32 v128, v128, v61, vcc_lo
	v_cmp_eq_u32_e32 vcc_lo, 28, v126
	s_delay_alu instid0(VALU_DEP_2) | instskip(SKIP_2) | instid1(VALU_DEP_3)
	v_cndmask_b32_e32 v128, v128, v62, vcc_lo
	v_cmp_eq_u32_e32 vcc_lo, 29, v126
	v_add_nc_u64_e32 v[126:127], 1, v[126:127]
	v_cndmask_b32_e32 v128, v128, v63, vcc_lo
	v_cmp_eq_u32_e32 vcc_lo, 0, v64
	s_wait_dscnt 0x0
	s_delay_alu instid0(VALU_DEP_2) | instskip(SKIP_1) | instid1(SALU_CYCLE_1)
	v_fmac_f32_e32 v130, v128, v131
	s_or_b32 s2, vcc_lo, s2
	s_and_not1_b32 exec_lo, exec_lo, s2
	s_cbranch_execnz .LBB29_333
; %bb.334:
	s_or_b32 exec_lo, exec_lo, s2
.LBB29_335:
	s_delay_alu instid0(SALU_CYCLE_1)
	s_or_b32 exec_lo, exec_lo, s0
.LBB29_336:
	s_delay_alu instid0(SALU_CYCLE_1)
	s_or_b32 exec_lo, exec_lo, s5
	v_mov_b32_e32 v41, 0
	ds_load_b32 v41, v41 offset:28
	s_wait_dscnt 0x0
	v_mul_f32_e32 v41, v130, v41
.LBB29_337:
	s_or_b32 exec_lo, exec_lo, s4
	v_cmp_lt_u32_e64 s0, 6, v0
	ds_store_b32 v129, v40
	s_wait_dscnt 0x0
	s_barrier_signal -1
	s_barrier_wait -1
	s_and_saveexec_b32 s4, s0
	s_cbranch_execz .LBB29_353
; %bb.338:
	s_and_not1_b32 vcc_lo, exec_lo, s33
	s_cbranch_vccnz .LBB29_340
; %bb.339:
	v_cmp_eq_u32_e32 vcc_lo, 1, v0
	ds_load_b32 v127, v129
	v_cndmask_b32_e32 v126, v34, v35, vcc_lo
	v_cmp_eq_u32_e32 vcc_lo, 2, v0
	s_delay_alu instid0(VALU_DEP_2) | instskip(SKIP_1) | instid1(VALU_DEP_2)
	v_cndmask_b32_e32 v126, v126, v36, vcc_lo
	v_cmp_eq_u32_e32 vcc_lo, 3, v0
	v_cndmask_b32_e32 v126, v126, v37, vcc_lo
	v_cmp_eq_u32_e32 vcc_lo, 4, v0
	s_delay_alu instid0(VALU_DEP_2) | instskip(SKIP_1) | instid1(VALU_DEP_2)
	v_cndmask_b32_e32 v126, v126, v38, vcc_lo
	v_cmp_eq_u32_e32 vcc_lo, 5, v0
	;; [unrolled: 5-line block ×14, first 2 shown]
	v_cndmask_b32_e32 v126, v126, v63, vcc_lo
	s_wait_dscnt 0x0
	s_delay_alu instid0(VALU_DEP_1)
	v_mul_f32_e32 v130, v126, v127
	s_cbranch_execz .LBB29_341
	s_branch .LBB29_342
.LBB29_340:
                                        ; implicit-def: $vgpr130
.LBB29_341:
	ds_load_b32 v130, v129
.LBB29_342:
	s_and_saveexec_b32 s5, s1
	s_cbranch_execz .LBB29_352
; %bb.343:
	v_dual_add_nc_u32 v126, -8, v0 :: v_dual_add_nc_u32 v127, -7, v0
	s_delay_alu instid0(VALU_DEP_1)
	v_cmp_lt_u32_e32 vcc_lo, 6, v126
	v_mov_b32_e32 v126, 7
	s_and_saveexec_b32 s1, vcc_lo
	s_cbranch_execz .LBB29_347
; %bb.344:
	v_and_b32_e32 v126, -8, v127
	s_mov_b32 s6, 0
	s_mov_b64 s[2:3], 14
	s_movk_i32 s7, 0x9c
	s_delay_alu instid0(VALU_DEP_1)
	v_sub_nc_u32_e32 v128, 0, v126
.LBB29_345:                             ; =>This Inner Loop Header: Depth=1
	s_add_co_i32 m0, s2, -7
	v_movrels_b32_e32 v131, v34
	v_mov_b32_e32 v126, s7
	s_add_co_i32 m0, s2, -6
	s_add_co_i32 s7, s7, 32
	v_movrels_b32_e32 v140, v34
	ds_load_2addr_b32 v[132:133], v126 offset1:1
	ds_load_2addr_b32 v[134:135], v126 offset0:2 offset1:3
	s_add_co_i32 m0, s2, -5
	s_wait_dscnt 0x1
	v_fmac_f32_e32 v130, v131, v132
	ds_load_2addr_b32 v[136:137], v126 offset0:4 offset1:5
	ds_load_2addr_b32 v[138:139], v126 offset0:6 offset1:7
	v_movrels_b32_e32 v126, v34
	s_add_co_i32 m0, s2, -4
	v_fmac_f32_e32 v130, v140, v133
	v_movrels_b32_e32 v131, v34
	s_add_co_i32 m0, s2, -3
	s_wait_dscnt 0x2
	s_delay_alu instid0(VALU_DEP_2) | instskip(SKIP_2) | instid1(VALU_DEP_2)
	v_fmac_f32_e32 v130, v126, v134
	v_movrels_b32_e32 v126, v34
	s_add_co_i32 m0, s2, -2
	v_fmac_f32_e32 v130, v131, v135
	v_movrels_b32_e32 v131, v34
	s_add_co_i32 m0, s2, -1
	s_wait_dscnt 0x1
	s_delay_alu instid0(VALU_DEP_2)
	v_fmac_f32_e32 v130, v126, v136
	v_movrels_b32_e32 v126, v34
	s_mov_b32 m0, s2
	s_add_nc_u64 s[2:3], s[2:3], 8
	v_movrels_b32_e32 v132, v34
	v_dual_fmac_f32 v130, v131, v137 :: v_dual_add_nc_u32 v131, s2, v128
	s_add_co_i32 s8, s2, -7
	s_wait_dscnt 0x0
	s_delay_alu instid0(VALU_DEP_1) | instskip(NEXT) | instid1(VALU_DEP_2)
	v_fmac_f32_e32 v130, v126, v138
	v_cmp_eq_u32_e32 vcc_lo, 14, v131
	s_delay_alu instid0(VALU_DEP_2) | instskip(SKIP_1) | instid1(SALU_CYCLE_1)
	v_dual_mov_b32 v126, s8 :: v_dual_fmac_f32 v130, v132, v139
	s_or_b32 s6, vcc_lo, s6
	s_and_not1_b32 exec_lo, exec_lo, s6
	s_cbranch_execnz .LBB29_345
; %bb.346:
	s_or_b32 exec_lo, exec_lo, s6
.LBB29_347:
	s_delay_alu instid0(SALU_CYCLE_1) | instskip(SKIP_3) | instid1(VALU_DEP_1)
	s_or_b32 exec_lo, exec_lo, s1
	v_and_b32_e32 v64, 7, v127
	s_mov_b32 s2, 0
	s_mov_b32 s1, exec_lo
	v_cmpx_ne_u32_e32 0, v64
	s_cbranch_execz .LBB29_351
; %bb.348:
	v_lshl_add_u32 v65, v126, 2, 0x80
	v_mov_b32_e32 v127, 0
.LBB29_349:                             ; =>This Inner Loop Header: Depth=1
	v_cmp_eq_u32_e32 vcc_lo, 1, v126
	ds_load_b32 v131, v65
	v_dual_add_nc_u32 v64, -1, v64 :: v_dual_add_nc_u32 v65, 4, v65
	v_cndmask_b32_e32 v128, v34, v35, vcc_lo
	v_cmp_eq_u32_e32 vcc_lo, 2, v126
	s_delay_alu instid0(VALU_DEP_2) | instskip(SKIP_1) | instid1(VALU_DEP_2)
	v_cndmask_b32_e32 v128, v128, v36, vcc_lo
	v_cmp_eq_u32_e32 vcc_lo, 3, v126
	v_cndmask_b32_e32 v128, v128, v37, vcc_lo
	v_cmp_eq_u32_e32 vcc_lo, 4, v126
	s_delay_alu instid0(VALU_DEP_2) | instskip(SKIP_1) | instid1(VALU_DEP_2)
	v_cndmask_b32_e32 v128, v128, v38, vcc_lo
	v_cmp_eq_u32_e32 vcc_lo, 5, v126
	;; [unrolled: 5-line block ×13, first 2 shown]
	v_cndmask_b32_e32 v128, v128, v61, vcc_lo
	v_cmp_eq_u32_e32 vcc_lo, 28, v126
	s_delay_alu instid0(VALU_DEP_2) | instskip(SKIP_2) | instid1(VALU_DEP_3)
	v_cndmask_b32_e32 v128, v128, v62, vcc_lo
	v_cmp_eq_u32_e32 vcc_lo, 29, v126
	v_add_nc_u64_e32 v[126:127], 1, v[126:127]
	v_cndmask_b32_e32 v128, v128, v63, vcc_lo
	v_cmp_eq_u32_e32 vcc_lo, 0, v64
	s_wait_dscnt 0x0
	s_delay_alu instid0(VALU_DEP_2) | instskip(SKIP_1) | instid1(SALU_CYCLE_1)
	v_fmac_f32_e32 v130, v128, v131
	s_or_b32 s2, vcc_lo, s2
	s_and_not1_b32 exec_lo, exec_lo, s2
	s_cbranch_execnz .LBB29_349
; %bb.350:
	s_or_b32 exec_lo, exec_lo, s2
.LBB29_351:
	s_delay_alu instid0(SALU_CYCLE_1)
	s_or_b32 exec_lo, exec_lo, s1
.LBB29_352:
	s_delay_alu instid0(SALU_CYCLE_1)
	s_or_b32 exec_lo, exec_lo, s5
	v_mov_b32_e32 v40, 0
	ds_load_b32 v40, v40 offset:24
	s_wait_dscnt 0x0
	v_mul_f32_e32 v40, v130, v40
.LBB29_353:
	s_or_b32 exec_lo, exec_lo, s4
	v_cmp_lt_u32_e64 s1, 5, v0
	ds_store_b32 v129, v39
	s_wait_dscnt 0x0
	s_barrier_signal -1
	s_barrier_wait -1
	s_and_saveexec_b32 s4, s1
	s_cbranch_execz .LBB29_369
; %bb.354:
	s_and_not1_b32 vcc_lo, exec_lo, s33
	s_cbranch_vccnz .LBB29_356
; %bb.355:
	v_cmp_eq_u32_e32 vcc_lo, 1, v0
	ds_load_b32 v127, v129
	v_cndmask_b32_e32 v126, v34, v35, vcc_lo
	v_cmp_eq_u32_e32 vcc_lo, 2, v0
	s_delay_alu instid0(VALU_DEP_2) | instskip(SKIP_1) | instid1(VALU_DEP_2)
	v_cndmask_b32_e32 v126, v126, v36, vcc_lo
	v_cmp_eq_u32_e32 vcc_lo, 3, v0
	v_cndmask_b32_e32 v126, v126, v37, vcc_lo
	v_cmp_eq_u32_e32 vcc_lo, 4, v0
	s_delay_alu instid0(VALU_DEP_2) | instskip(SKIP_1) | instid1(VALU_DEP_2)
	v_cndmask_b32_e32 v126, v126, v38, vcc_lo
	v_cmp_eq_u32_e32 vcc_lo, 5, v0
	;; [unrolled: 5-line block ×14, first 2 shown]
	v_cndmask_b32_e32 v126, v126, v63, vcc_lo
	s_wait_dscnt 0x0
	s_delay_alu instid0(VALU_DEP_1)
	v_mul_f32_e32 v130, v126, v127
	s_cbranch_execz .LBB29_357
	s_branch .LBB29_358
.LBB29_356:
                                        ; implicit-def: $vgpr130
.LBB29_357:
	ds_load_b32 v130, v129
.LBB29_358:
	s_and_saveexec_b32 s5, s0
	s_cbranch_execz .LBB29_368
; %bb.359:
	v_dual_add_nc_u32 v128, -7, v0 :: v_dual_add_nc_u32 v127, -6, v0
	v_mov_b32_e32 v126, 6
	s_mov_b32 s0, exec_lo
	s_delay_alu instid0(VALU_DEP_2)
	v_cmpx_lt_u32_e32 6, v128
	s_cbranch_execz .LBB29_363
; %bb.360:
	v_and_b32_e32 v126, -8, v127
	s_mov_b32 s6, 0
	s_mov_b64 s[2:3], 13
	s_movk_i32 s7, 0x98
	s_delay_alu instid0(VALU_DEP_1)
	v_sub_nc_u32_e32 v128, 0, v126
.LBB29_361:                             ; =>This Inner Loop Header: Depth=1
	s_add_co_i32 m0, s2, -7
	v_movrels_b32_e32 v131, v34
	v_mov_b32_e32 v126, s7
	s_add_co_i32 m0, s2, -6
	s_add_co_i32 s7, s7, 32
	v_movrels_b32_e32 v140, v34
	s_add_co_i32 m0, s2, -5
	ds_load_2addr_b64 v[132:135], v126 offset1:1
	ds_load_2addr_b64 v[136:139], v126 offset0:2 offset1:3
	v_movrels_b32_e32 v126, v34
	s_add_co_i32 m0, s2, -4
	s_wait_dscnt 0x1
	v_fmac_f32_e32 v130, v131, v132
	v_movrels_b32_e32 v131, v34
	s_add_co_i32 m0, s2, -3
	s_delay_alu instid0(VALU_DEP_2) | instskip(NEXT) | instid1(VALU_DEP_1)
	v_fmac_f32_e32 v130, v140, v133
	v_fmac_f32_e32 v130, v126, v134
	v_movrels_b32_e32 v126, v34
	s_add_co_i32 m0, s2, -2
	s_delay_alu instid0(VALU_DEP_2) | instskip(SKIP_3) | instid1(VALU_DEP_2)
	v_fmac_f32_e32 v130, v131, v135
	v_movrels_b32_e32 v131, v34
	s_add_co_i32 m0, s2, -1
	s_wait_dscnt 0x0
	v_fmac_f32_e32 v130, v126, v136
	v_movrels_b32_e32 v126, v34
	s_mov_b32 m0, s2
	s_add_nc_u64 s[2:3], s[2:3], 8
	v_movrels_b32_e32 v132, v34
	v_dual_fmac_f32 v130, v131, v137 :: v_dual_add_nc_u32 v131, s2, v128
	s_add_co_i32 s8, s2, -7
	s_delay_alu instid0(VALU_DEP_1) | instskip(NEXT) | instid1(VALU_DEP_2)
	v_fmac_f32_e32 v130, v126, v138
	v_cmp_eq_u32_e32 vcc_lo, 13, v131
	s_delay_alu instid0(VALU_DEP_2) | instskip(SKIP_1) | instid1(SALU_CYCLE_1)
	v_dual_mov_b32 v126, s8 :: v_dual_fmac_f32 v130, v132, v139
	s_or_b32 s6, vcc_lo, s6
	s_and_not1_b32 exec_lo, exec_lo, s6
	s_cbranch_execnz .LBB29_361
; %bb.362:
	s_or_b32 exec_lo, exec_lo, s6
.LBB29_363:
	s_delay_alu instid0(SALU_CYCLE_1) | instskip(SKIP_3) | instid1(VALU_DEP_1)
	s_or_b32 exec_lo, exec_lo, s0
	v_and_b32_e32 v64, 7, v127
	s_mov_b32 s2, 0
	s_mov_b32 s0, exec_lo
	v_cmpx_ne_u32_e32 0, v64
	s_cbranch_execz .LBB29_367
; %bb.364:
	v_lshl_add_u32 v65, v126, 2, 0x80
	v_mov_b32_e32 v127, 0
.LBB29_365:                             ; =>This Inner Loop Header: Depth=1
	v_cmp_eq_u32_e32 vcc_lo, 1, v126
	ds_load_b32 v131, v65
	v_dual_add_nc_u32 v64, -1, v64 :: v_dual_add_nc_u32 v65, 4, v65
	v_cndmask_b32_e32 v128, v34, v35, vcc_lo
	v_cmp_eq_u32_e32 vcc_lo, 2, v126
	s_delay_alu instid0(VALU_DEP_2) | instskip(SKIP_1) | instid1(VALU_DEP_2)
	v_cndmask_b32_e32 v128, v128, v36, vcc_lo
	v_cmp_eq_u32_e32 vcc_lo, 3, v126
	v_cndmask_b32_e32 v128, v128, v37, vcc_lo
	v_cmp_eq_u32_e32 vcc_lo, 4, v126
	s_delay_alu instid0(VALU_DEP_2) | instskip(SKIP_1) | instid1(VALU_DEP_2)
	v_cndmask_b32_e32 v128, v128, v38, vcc_lo
	v_cmp_eq_u32_e32 vcc_lo, 5, v126
	;; [unrolled: 5-line block ×13, first 2 shown]
	v_cndmask_b32_e32 v128, v128, v61, vcc_lo
	v_cmp_eq_u32_e32 vcc_lo, 28, v126
	s_delay_alu instid0(VALU_DEP_2) | instskip(SKIP_2) | instid1(VALU_DEP_3)
	v_cndmask_b32_e32 v128, v128, v62, vcc_lo
	v_cmp_eq_u32_e32 vcc_lo, 29, v126
	v_add_nc_u64_e32 v[126:127], 1, v[126:127]
	v_cndmask_b32_e32 v128, v128, v63, vcc_lo
	v_cmp_eq_u32_e32 vcc_lo, 0, v64
	s_wait_dscnt 0x0
	s_delay_alu instid0(VALU_DEP_2) | instskip(SKIP_1) | instid1(SALU_CYCLE_1)
	v_fmac_f32_e32 v130, v128, v131
	s_or_b32 s2, vcc_lo, s2
	s_and_not1_b32 exec_lo, exec_lo, s2
	s_cbranch_execnz .LBB29_365
; %bb.366:
	s_or_b32 exec_lo, exec_lo, s2
.LBB29_367:
	s_delay_alu instid0(SALU_CYCLE_1)
	s_or_b32 exec_lo, exec_lo, s0
.LBB29_368:
	s_delay_alu instid0(SALU_CYCLE_1)
	s_or_b32 exec_lo, exec_lo, s5
	v_mov_b32_e32 v39, 0
	ds_load_b32 v39, v39 offset:20
	s_wait_dscnt 0x0
	v_mul_f32_e32 v39, v130, v39
.LBB29_369:
	s_or_b32 exec_lo, exec_lo, s4
	v_cmp_lt_u32_e64 s0, 4, v0
	ds_store_b32 v129, v38
	s_wait_dscnt 0x0
	s_barrier_signal -1
	s_barrier_wait -1
	s_and_saveexec_b32 s4, s0
	s_cbranch_execz .LBB29_385
; %bb.370:
	s_and_not1_b32 vcc_lo, exec_lo, s33
	s_cbranch_vccnz .LBB29_372
; %bb.371:
	v_cmp_eq_u32_e32 vcc_lo, 1, v0
	ds_load_b32 v127, v129
	v_cndmask_b32_e32 v126, v34, v35, vcc_lo
	v_cmp_eq_u32_e32 vcc_lo, 2, v0
	s_delay_alu instid0(VALU_DEP_2) | instskip(SKIP_1) | instid1(VALU_DEP_2)
	v_cndmask_b32_e32 v126, v126, v36, vcc_lo
	v_cmp_eq_u32_e32 vcc_lo, 3, v0
	v_cndmask_b32_e32 v126, v126, v37, vcc_lo
	v_cmp_eq_u32_e32 vcc_lo, 4, v0
	s_delay_alu instid0(VALU_DEP_2) | instskip(SKIP_1) | instid1(VALU_DEP_2)
	v_cndmask_b32_e32 v126, v126, v38, vcc_lo
	v_cmp_eq_u32_e32 vcc_lo, 5, v0
	v_cndmask_b32_e32 v126, v126, v39, vcc_lo
	v_cmp_eq_u32_e32 vcc_lo, 6, v0
	s_delay_alu instid0(VALU_DEP_2) | instskip(SKIP_1) | instid1(VALU_DEP_2)
	v_cndmask_b32_e32 v126, v126, v40, vcc_lo
	v_cmp_eq_u32_e32 vcc_lo, 7, v0
	v_cndmask_b32_e32 v126, v126, v41, vcc_lo
	v_cmp_eq_u32_e32 vcc_lo, 8, v0
	s_delay_alu instid0(VALU_DEP_2) | instskip(SKIP_1) | instid1(VALU_DEP_2)
	v_cndmask_b32_e32 v126, v126, v42, vcc_lo
	v_cmp_eq_u32_e32 vcc_lo, 9, v0
	v_cndmask_b32_e32 v126, v126, v43, vcc_lo
	v_cmp_eq_u32_e32 vcc_lo, 10, v0
	s_delay_alu instid0(VALU_DEP_2) | instskip(SKIP_1) | instid1(VALU_DEP_2)
	v_cndmask_b32_e32 v126, v126, v44, vcc_lo
	v_cmp_eq_u32_e32 vcc_lo, 11, v0
	v_cndmask_b32_e32 v126, v126, v45, vcc_lo
	v_cmp_eq_u32_e32 vcc_lo, 12, v0
	s_delay_alu instid0(VALU_DEP_2) | instskip(SKIP_1) | instid1(VALU_DEP_2)
	v_cndmask_b32_e32 v126, v126, v46, vcc_lo
	v_cmp_eq_u32_e32 vcc_lo, 13, v0
	v_cndmask_b32_e32 v126, v126, v47, vcc_lo
	v_cmp_eq_u32_e32 vcc_lo, 14, v0
	s_delay_alu instid0(VALU_DEP_2) | instskip(SKIP_1) | instid1(VALU_DEP_2)
	v_cndmask_b32_e32 v126, v126, v48, vcc_lo
	v_cmp_eq_u32_e32 vcc_lo, 15, v0
	v_cndmask_b32_e32 v126, v126, v49, vcc_lo
	v_cmp_eq_u32_e32 vcc_lo, 16, v0
	s_delay_alu instid0(VALU_DEP_2) | instskip(SKIP_1) | instid1(VALU_DEP_2)
	v_cndmask_b32_e32 v126, v126, v50, vcc_lo
	v_cmp_eq_u32_e32 vcc_lo, 17, v0
	v_cndmask_b32_e32 v126, v126, v51, vcc_lo
	v_cmp_eq_u32_e32 vcc_lo, 18, v0
	s_delay_alu instid0(VALU_DEP_2) | instskip(SKIP_1) | instid1(VALU_DEP_2)
	v_cndmask_b32_e32 v126, v126, v52, vcc_lo
	v_cmp_eq_u32_e32 vcc_lo, 19, v0
	v_cndmask_b32_e32 v126, v126, v53, vcc_lo
	v_cmp_eq_u32_e32 vcc_lo, 20, v0
	s_delay_alu instid0(VALU_DEP_2) | instskip(SKIP_1) | instid1(VALU_DEP_2)
	v_cndmask_b32_e32 v126, v126, v54, vcc_lo
	v_cmp_eq_u32_e32 vcc_lo, 21, v0
	v_cndmask_b32_e32 v126, v126, v55, vcc_lo
	v_cmp_eq_u32_e32 vcc_lo, 22, v0
	s_delay_alu instid0(VALU_DEP_2) | instskip(SKIP_1) | instid1(VALU_DEP_2)
	v_cndmask_b32_e32 v126, v126, v56, vcc_lo
	v_cmp_eq_u32_e32 vcc_lo, 23, v0
	v_cndmask_b32_e32 v126, v126, v57, vcc_lo
	v_cmp_eq_u32_e32 vcc_lo, 24, v0
	s_delay_alu instid0(VALU_DEP_2) | instskip(SKIP_1) | instid1(VALU_DEP_2)
	v_cndmask_b32_e32 v126, v126, v58, vcc_lo
	v_cmp_eq_u32_e32 vcc_lo, 25, v0
	v_cndmask_b32_e32 v126, v126, v59, vcc_lo
	v_cmp_eq_u32_e32 vcc_lo, 26, v0
	s_delay_alu instid0(VALU_DEP_2) | instskip(SKIP_1) | instid1(VALU_DEP_2)
	v_cndmask_b32_e32 v126, v126, v60, vcc_lo
	v_cmp_eq_u32_e32 vcc_lo, 27, v0
	v_cndmask_b32_e32 v126, v126, v61, vcc_lo
	v_cmp_eq_u32_e32 vcc_lo, 28, v0
	s_delay_alu instid0(VALU_DEP_2) | instskip(SKIP_1) | instid1(VALU_DEP_2)
	v_cndmask_b32_e32 v126, v126, v62, vcc_lo
	v_cmp_eq_u32_e32 vcc_lo, 29, v0
	v_cndmask_b32_e32 v126, v126, v63, vcc_lo
	s_wait_dscnt 0x0
	s_delay_alu instid0(VALU_DEP_1)
	v_mul_f32_e32 v130, v126, v127
	s_cbranch_execz .LBB29_373
	s_branch .LBB29_374
.LBB29_372:
                                        ; implicit-def: $vgpr130
.LBB29_373:
	ds_load_b32 v130, v129
.LBB29_374:
	s_and_saveexec_b32 s5, s1
	s_cbranch_execz .LBB29_384
; %bb.375:
	v_dual_add_nc_u32 v126, -6, v0 :: v_dual_add_nc_u32 v127, -5, v0
	s_delay_alu instid0(VALU_DEP_1)
	v_cmp_lt_u32_e32 vcc_lo, 6, v126
	v_mov_b32_e32 v126, 5
	s_and_saveexec_b32 s1, vcc_lo
	s_cbranch_execz .LBB29_379
; %bb.376:
	v_and_b32_e32 v126, -8, v127
	s_mov_b32 s6, 0
	s_mov_b64 s[2:3], 12
	s_movk_i32 s7, 0x94
	s_delay_alu instid0(VALU_DEP_1)
	v_sub_nc_u32_e32 v128, 0, v126
.LBB29_377:                             ; =>This Inner Loop Header: Depth=1
	s_add_co_i32 m0, s2, -7
	v_movrels_b32_e32 v131, v34
	v_mov_b32_e32 v126, s7
	s_add_co_i32 m0, s2, -6
	s_add_co_i32 s7, s7, 32
	v_movrels_b32_e32 v140, v34
	ds_load_2addr_b32 v[132:133], v126 offset1:1
	ds_load_2addr_b32 v[134:135], v126 offset0:2 offset1:3
	s_add_co_i32 m0, s2, -5
	s_wait_dscnt 0x1
	v_fmac_f32_e32 v130, v131, v132
	ds_load_2addr_b32 v[136:137], v126 offset0:4 offset1:5
	ds_load_2addr_b32 v[138:139], v126 offset0:6 offset1:7
	v_movrels_b32_e32 v126, v34
	s_add_co_i32 m0, s2, -4
	v_fmac_f32_e32 v130, v140, v133
	v_movrels_b32_e32 v131, v34
	s_add_co_i32 m0, s2, -3
	s_wait_dscnt 0x2
	s_delay_alu instid0(VALU_DEP_2) | instskip(SKIP_2) | instid1(VALU_DEP_2)
	v_fmac_f32_e32 v130, v126, v134
	v_movrels_b32_e32 v126, v34
	s_add_co_i32 m0, s2, -2
	v_fmac_f32_e32 v130, v131, v135
	v_movrels_b32_e32 v131, v34
	s_add_co_i32 m0, s2, -1
	s_wait_dscnt 0x1
	s_delay_alu instid0(VALU_DEP_2)
	v_fmac_f32_e32 v130, v126, v136
	v_movrels_b32_e32 v126, v34
	s_mov_b32 m0, s2
	s_add_nc_u64 s[2:3], s[2:3], 8
	v_movrels_b32_e32 v132, v34
	v_dual_fmac_f32 v130, v131, v137 :: v_dual_add_nc_u32 v131, s2, v128
	s_add_co_i32 s8, s2, -7
	s_wait_dscnt 0x0
	s_delay_alu instid0(VALU_DEP_1) | instskip(NEXT) | instid1(VALU_DEP_2)
	v_fmac_f32_e32 v130, v126, v138
	v_cmp_eq_u32_e32 vcc_lo, 12, v131
	s_delay_alu instid0(VALU_DEP_2) | instskip(SKIP_1) | instid1(SALU_CYCLE_1)
	v_dual_mov_b32 v126, s8 :: v_dual_fmac_f32 v130, v132, v139
	s_or_b32 s6, vcc_lo, s6
	s_and_not1_b32 exec_lo, exec_lo, s6
	s_cbranch_execnz .LBB29_377
; %bb.378:
	s_or_b32 exec_lo, exec_lo, s6
.LBB29_379:
	s_delay_alu instid0(SALU_CYCLE_1) | instskip(SKIP_3) | instid1(VALU_DEP_1)
	s_or_b32 exec_lo, exec_lo, s1
	v_and_b32_e32 v64, 7, v127
	s_mov_b32 s2, 0
	s_mov_b32 s1, exec_lo
	v_cmpx_ne_u32_e32 0, v64
	s_cbranch_execz .LBB29_383
; %bb.380:
	v_lshl_add_u32 v65, v126, 2, 0x80
	v_mov_b32_e32 v127, 0
.LBB29_381:                             ; =>This Inner Loop Header: Depth=1
	v_cmp_eq_u32_e32 vcc_lo, 1, v126
	ds_load_b32 v131, v65
	v_dual_add_nc_u32 v64, -1, v64 :: v_dual_add_nc_u32 v65, 4, v65
	v_cndmask_b32_e32 v128, v34, v35, vcc_lo
	v_cmp_eq_u32_e32 vcc_lo, 2, v126
	s_delay_alu instid0(VALU_DEP_2) | instskip(SKIP_1) | instid1(VALU_DEP_2)
	v_cndmask_b32_e32 v128, v128, v36, vcc_lo
	v_cmp_eq_u32_e32 vcc_lo, 3, v126
	v_cndmask_b32_e32 v128, v128, v37, vcc_lo
	v_cmp_eq_u32_e32 vcc_lo, 4, v126
	s_delay_alu instid0(VALU_DEP_2) | instskip(SKIP_1) | instid1(VALU_DEP_2)
	v_cndmask_b32_e32 v128, v128, v38, vcc_lo
	v_cmp_eq_u32_e32 vcc_lo, 5, v126
	;; [unrolled: 5-line block ×13, first 2 shown]
	v_cndmask_b32_e32 v128, v128, v61, vcc_lo
	v_cmp_eq_u32_e32 vcc_lo, 28, v126
	s_delay_alu instid0(VALU_DEP_2) | instskip(SKIP_2) | instid1(VALU_DEP_3)
	v_cndmask_b32_e32 v128, v128, v62, vcc_lo
	v_cmp_eq_u32_e32 vcc_lo, 29, v126
	v_add_nc_u64_e32 v[126:127], 1, v[126:127]
	v_cndmask_b32_e32 v128, v128, v63, vcc_lo
	v_cmp_eq_u32_e32 vcc_lo, 0, v64
	s_wait_dscnt 0x0
	s_delay_alu instid0(VALU_DEP_2) | instskip(SKIP_1) | instid1(SALU_CYCLE_1)
	v_fmac_f32_e32 v130, v128, v131
	s_or_b32 s2, vcc_lo, s2
	s_and_not1_b32 exec_lo, exec_lo, s2
	s_cbranch_execnz .LBB29_381
; %bb.382:
	s_or_b32 exec_lo, exec_lo, s2
.LBB29_383:
	s_delay_alu instid0(SALU_CYCLE_1)
	s_or_b32 exec_lo, exec_lo, s1
.LBB29_384:
	s_delay_alu instid0(SALU_CYCLE_1)
	s_or_b32 exec_lo, exec_lo, s5
	v_mov_b32_e32 v38, 0
	ds_load_b32 v38, v38 offset:16
	s_wait_dscnt 0x0
	v_mul_f32_e32 v38, v130, v38
.LBB29_385:
	s_or_b32 exec_lo, exec_lo, s4
	v_cmp_lt_u32_e64 s1, 3, v0
	ds_store_b32 v129, v37
	s_wait_dscnt 0x0
	s_barrier_signal -1
	s_barrier_wait -1
	s_and_saveexec_b32 s4, s1
	s_cbranch_execz .LBB29_401
; %bb.386:
	s_and_not1_b32 vcc_lo, exec_lo, s33
	s_cbranch_vccnz .LBB29_388
; %bb.387:
	v_cmp_eq_u32_e32 vcc_lo, 1, v0
	ds_load_b32 v127, v129
	v_cndmask_b32_e32 v126, v34, v35, vcc_lo
	v_cmp_eq_u32_e32 vcc_lo, 2, v0
	s_delay_alu instid0(VALU_DEP_2) | instskip(SKIP_1) | instid1(VALU_DEP_2)
	v_cndmask_b32_e32 v126, v126, v36, vcc_lo
	v_cmp_eq_u32_e32 vcc_lo, 3, v0
	v_cndmask_b32_e32 v126, v126, v37, vcc_lo
	v_cmp_eq_u32_e32 vcc_lo, 4, v0
	s_delay_alu instid0(VALU_DEP_2) | instskip(SKIP_1) | instid1(VALU_DEP_2)
	v_cndmask_b32_e32 v126, v126, v38, vcc_lo
	v_cmp_eq_u32_e32 vcc_lo, 5, v0
	;; [unrolled: 5-line block ×14, first 2 shown]
	v_cndmask_b32_e32 v126, v126, v63, vcc_lo
	s_wait_dscnt 0x0
	s_delay_alu instid0(VALU_DEP_1)
	v_mul_f32_e32 v130, v126, v127
	s_cbranch_execz .LBB29_389
	s_branch .LBB29_390
.LBB29_388:
                                        ; implicit-def: $vgpr130
.LBB29_389:
	ds_load_b32 v130, v129
.LBB29_390:
	s_and_saveexec_b32 s5, s0
	s_cbranch_execz .LBB29_400
; %bb.391:
	v_dual_add_nc_u32 v126, -5, v0 :: v_dual_add_nc_u32 v127, -4, v0
	s_delay_alu instid0(VALU_DEP_1)
	v_cmp_lt_u32_e32 vcc_lo, 6, v126
	v_mov_b32_e32 v126, 4
	s_and_saveexec_b32 s0, vcc_lo
	s_cbranch_execz .LBB29_395
; %bb.392:
	v_and_b32_e32 v126, -8, v127
	s_mov_b32 s6, 0
	s_mov_b64 s[2:3], 5
	s_movk_i32 s7, 0x90
	s_delay_alu instid0(VALU_DEP_1)
	v_sub_nc_u32_e32 v128, 0, v126
.LBB29_393:                             ; =>This Inner Loop Header: Depth=1
	s_add_co_i32 m0, s2, -1
	v_movrels_b32_e32 v131, v34
	v_mov_b32_e32 v126, s7
	s_mov_b32 m0, s2
	s_add_co_i32 s7, s7, 32
	v_movrels_b32_e32 v140, v34
	s_add_co_i32 m0, s2, 1
	ds_load_b128 v[132:135], v126
	ds_load_b128 v[136:139], v126 offset:16
	v_movrels_b32_e32 v126, v34
	s_add_co_i32 m0, s2, 2
	s_wait_dscnt 0x1
	v_fmac_f32_e32 v130, v131, v132
	v_movrels_b32_e32 v131, v34
	s_add_co_i32 m0, s2, 3
	s_delay_alu instid0(VALU_DEP_2) | instskip(NEXT) | instid1(VALU_DEP_1)
	v_fmac_f32_e32 v130, v140, v133
	v_fmac_f32_e32 v130, v126, v134
	v_movrels_b32_e32 v126, v34
	s_add_co_i32 m0, s2, 4
	s_delay_alu instid0(VALU_DEP_2) | instskip(SKIP_3) | instid1(VALU_DEP_2)
	v_fmac_f32_e32 v130, v131, v135
	v_movrels_b32_e32 v131, v34
	s_add_co_i32 m0, s2, 5
	s_wait_dscnt 0x0
	v_fmac_f32_e32 v130, v126, v136
	v_movrels_b32_e32 v126, v34
	s_add_co_i32 m0, s2, 6
	s_add_nc_u64 s[2:3], s[2:3], 8
	v_movrels_b32_e32 v132, v34
	v_dual_fmac_f32 v130, v131, v137 :: v_dual_add_nc_u32 v131, s2, v128
	s_add_co_i32 s8, s2, -1
	s_delay_alu instid0(VALU_DEP_1) | instskip(NEXT) | instid1(VALU_DEP_2)
	v_fmac_f32_e32 v130, v126, v138
	v_cmp_eq_u32_e32 vcc_lo, 5, v131
	s_delay_alu instid0(VALU_DEP_2) | instskip(SKIP_1) | instid1(SALU_CYCLE_1)
	v_dual_mov_b32 v126, s8 :: v_dual_fmac_f32 v130, v132, v139
	s_or_b32 s6, vcc_lo, s6
	s_and_not1_b32 exec_lo, exec_lo, s6
	s_cbranch_execnz .LBB29_393
; %bb.394:
	s_or_b32 exec_lo, exec_lo, s6
.LBB29_395:
	s_delay_alu instid0(SALU_CYCLE_1) | instskip(SKIP_3) | instid1(VALU_DEP_1)
	s_or_b32 exec_lo, exec_lo, s0
	v_and_b32_e32 v64, 7, v127
	s_mov_b32 s2, 0
	s_mov_b32 s0, exec_lo
	v_cmpx_ne_u32_e32 0, v64
	s_cbranch_execz .LBB29_399
; %bb.396:
	v_lshl_add_u32 v65, v126, 2, 0x80
	v_mov_b32_e32 v127, 0
.LBB29_397:                             ; =>This Inner Loop Header: Depth=1
	v_cmp_eq_u32_e32 vcc_lo, 1, v126
	ds_load_b32 v131, v65
	v_dual_add_nc_u32 v64, -1, v64 :: v_dual_add_nc_u32 v65, 4, v65
	v_cndmask_b32_e32 v128, v34, v35, vcc_lo
	v_cmp_eq_u32_e32 vcc_lo, 2, v126
	s_delay_alu instid0(VALU_DEP_2) | instskip(SKIP_1) | instid1(VALU_DEP_2)
	v_cndmask_b32_e32 v128, v128, v36, vcc_lo
	v_cmp_eq_u32_e32 vcc_lo, 3, v126
	v_cndmask_b32_e32 v128, v128, v37, vcc_lo
	v_cmp_eq_u32_e32 vcc_lo, 4, v126
	s_delay_alu instid0(VALU_DEP_2) | instskip(SKIP_1) | instid1(VALU_DEP_2)
	v_cndmask_b32_e32 v128, v128, v38, vcc_lo
	v_cmp_eq_u32_e32 vcc_lo, 5, v126
	;; [unrolled: 5-line block ×13, first 2 shown]
	v_cndmask_b32_e32 v128, v128, v61, vcc_lo
	v_cmp_eq_u32_e32 vcc_lo, 28, v126
	s_delay_alu instid0(VALU_DEP_2) | instskip(SKIP_2) | instid1(VALU_DEP_3)
	v_cndmask_b32_e32 v128, v128, v62, vcc_lo
	v_cmp_eq_u32_e32 vcc_lo, 29, v126
	v_add_nc_u64_e32 v[126:127], 1, v[126:127]
	v_cndmask_b32_e32 v128, v128, v63, vcc_lo
	v_cmp_eq_u32_e32 vcc_lo, 0, v64
	s_wait_dscnt 0x0
	s_delay_alu instid0(VALU_DEP_2) | instskip(SKIP_1) | instid1(SALU_CYCLE_1)
	v_fmac_f32_e32 v130, v128, v131
	s_or_b32 s2, vcc_lo, s2
	s_and_not1_b32 exec_lo, exec_lo, s2
	s_cbranch_execnz .LBB29_397
; %bb.398:
	s_or_b32 exec_lo, exec_lo, s2
.LBB29_399:
	s_delay_alu instid0(SALU_CYCLE_1)
	s_or_b32 exec_lo, exec_lo, s0
.LBB29_400:
	s_delay_alu instid0(SALU_CYCLE_1)
	s_or_b32 exec_lo, exec_lo, s5
	v_mov_b32_e32 v37, 0
	ds_load_b32 v37, v37 offset:12
	s_wait_dscnt 0x0
	v_mul_f32_e32 v37, v130, v37
.LBB29_401:
	s_or_b32 exec_lo, exec_lo, s4
	v_cmp_lt_u32_e64 s0, 2, v0
	ds_store_b32 v129, v36
	s_wait_dscnt 0x0
	s_barrier_signal -1
	s_barrier_wait -1
	s_and_saveexec_b32 s4, s0
	s_cbranch_execz .LBB29_417
; %bb.402:
	s_and_not1_b32 vcc_lo, exec_lo, s33
	s_cbranch_vccnz .LBB29_404
; %bb.403:
	v_cmp_eq_u32_e32 vcc_lo, 1, v0
	ds_load_b32 v127, v129
	v_cndmask_b32_e32 v126, v34, v35, vcc_lo
	v_cmp_eq_u32_e32 vcc_lo, 2, v0
	s_delay_alu instid0(VALU_DEP_2) | instskip(SKIP_1) | instid1(VALU_DEP_2)
	v_cndmask_b32_e32 v126, v126, v36, vcc_lo
	v_cmp_eq_u32_e32 vcc_lo, 3, v0
	v_cndmask_b32_e32 v126, v126, v37, vcc_lo
	v_cmp_eq_u32_e32 vcc_lo, 4, v0
	s_delay_alu instid0(VALU_DEP_2) | instskip(SKIP_1) | instid1(VALU_DEP_2)
	v_cndmask_b32_e32 v126, v126, v38, vcc_lo
	v_cmp_eq_u32_e32 vcc_lo, 5, v0
	v_cndmask_b32_e32 v126, v126, v39, vcc_lo
	v_cmp_eq_u32_e32 vcc_lo, 6, v0
	s_delay_alu instid0(VALU_DEP_2) | instskip(SKIP_1) | instid1(VALU_DEP_2)
	v_cndmask_b32_e32 v126, v126, v40, vcc_lo
	v_cmp_eq_u32_e32 vcc_lo, 7, v0
	v_cndmask_b32_e32 v126, v126, v41, vcc_lo
	v_cmp_eq_u32_e32 vcc_lo, 8, v0
	s_delay_alu instid0(VALU_DEP_2) | instskip(SKIP_1) | instid1(VALU_DEP_2)
	v_cndmask_b32_e32 v126, v126, v42, vcc_lo
	v_cmp_eq_u32_e32 vcc_lo, 9, v0
	v_cndmask_b32_e32 v126, v126, v43, vcc_lo
	v_cmp_eq_u32_e32 vcc_lo, 10, v0
	s_delay_alu instid0(VALU_DEP_2) | instskip(SKIP_1) | instid1(VALU_DEP_2)
	v_cndmask_b32_e32 v126, v126, v44, vcc_lo
	v_cmp_eq_u32_e32 vcc_lo, 11, v0
	v_cndmask_b32_e32 v126, v126, v45, vcc_lo
	v_cmp_eq_u32_e32 vcc_lo, 12, v0
	s_delay_alu instid0(VALU_DEP_2) | instskip(SKIP_1) | instid1(VALU_DEP_2)
	v_cndmask_b32_e32 v126, v126, v46, vcc_lo
	v_cmp_eq_u32_e32 vcc_lo, 13, v0
	v_cndmask_b32_e32 v126, v126, v47, vcc_lo
	v_cmp_eq_u32_e32 vcc_lo, 14, v0
	s_delay_alu instid0(VALU_DEP_2) | instskip(SKIP_1) | instid1(VALU_DEP_2)
	v_cndmask_b32_e32 v126, v126, v48, vcc_lo
	v_cmp_eq_u32_e32 vcc_lo, 15, v0
	v_cndmask_b32_e32 v126, v126, v49, vcc_lo
	v_cmp_eq_u32_e32 vcc_lo, 16, v0
	s_delay_alu instid0(VALU_DEP_2) | instskip(SKIP_1) | instid1(VALU_DEP_2)
	v_cndmask_b32_e32 v126, v126, v50, vcc_lo
	v_cmp_eq_u32_e32 vcc_lo, 17, v0
	v_cndmask_b32_e32 v126, v126, v51, vcc_lo
	v_cmp_eq_u32_e32 vcc_lo, 18, v0
	s_delay_alu instid0(VALU_DEP_2) | instskip(SKIP_1) | instid1(VALU_DEP_2)
	v_cndmask_b32_e32 v126, v126, v52, vcc_lo
	v_cmp_eq_u32_e32 vcc_lo, 19, v0
	v_cndmask_b32_e32 v126, v126, v53, vcc_lo
	v_cmp_eq_u32_e32 vcc_lo, 20, v0
	s_delay_alu instid0(VALU_DEP_2) | instskip(SKIP_1) | instid1(VALU_DEP_2)
	v_cndmask_b32_e32 v126, v126, v54, vcc_lo
	v_cmp_eq_u32_e32 vcc_lo, 21, v0
	v_cndmask_b32_e32 v126, v126, v55, vcc_lo
	v_cmp_eq_u32_e32 vcc_lo, 22, v0
	s_delay_alu instid0(VALU_DEP_2) | instskip(SKIP_1) | instid1(VALU_DEP_2)
	v_cndmask_b32_e32 v126, v126, v56, vcc_lo
	v_cmp_eq_u32_e32 vcc_lo, 23, v0
	v_cndmask_b32_e32 v126, v126, v57, vcc_lo
	v_cmp_eq_u32_e32 vcc_lo, 24, v0
	s_delay_alu instid0(VALU_DEP_2) | instskip(SKIP_1) | instid1(VALU_DEP_2)
	v_cndmask_b32_e32 v126, v126, v58, vcc_lo
	v_cmp_eq_u32_e32 vcc_lo, 25, v0
	v_cndmask_b32_e32 v126, v126, v59, vcc_lo
	v_cmp_eq_u32_e32 vcc_lo, 26, v0
	s_delay_alu instid0(VALU_DEP_2) | instskip(SKIP_1) | instid1(VALU_DEP_2)
	v_cndmask_b32_e32 v126, v126, v60, vcc_lo
	v_cmp_eq_u32_e32 vcc_lo, 27, v0
	v_cndmask_b32_e32 v126, v126, v61, vcc_lo
	v_cmp_eq_u32_e32 vcc_lo, 28, v0
	s_delay_alu instid0(VALU_DEP_2) | instskip(SKIP_1) | instid1(VALU_DEP_2)
	v_cndmask_b32_e32 v126, v126, v62, vcc_lo
	v_cmp_eq_u32_e32 vcc_lo, 29, v0
	v_cndmask_b32_e32 v126, v126, v63, vcc_lo
	s_wait_dscnt 0x0
	s_delay_alu instid0(VALU_DEP_1)
	v_mul_f32_e32 v130, v126, v127
	s_cbranch_execz .LBB29_405
	s_branch .LBB29_406
.LBB29_404:
                                        ; implicit-def: $vgpr130
.LBB29_405:
	ds_load_b32 v130, v129
.LBB29_406:
	s_and_saveexec_b32 s5, s1
	s_cbranch_execz .LBB29_416
; %bb.407:
	v_dual_add_nc_u32 v126, -4, v0 :: v_dual_add_nc_u32 v127, -3, v0
	s_delay_alu instid0(VALU_DEP_1)
	v_cmp_lt_u32_e32 vcc_lo, 6, v126
	v_mov_b32_e32 v126, 3
	s_and_saveexec_b32 s1, vcc_lo
	s_cbranch_execz .LBB29_411
; %bb.408:
	v_and_b32_e32 v126, -8, v127
	s_mov_b32 s6, 0
	s_mov_b64 s[2:3], 10
	s_movk_i32 s7, 0x8c
	s_delay_alu instid0(VALU_DEP_1)
	v_sub_nc_u32_e32 v128, 0, v126
.LBB29_409:                             ; =>This Inner Loop Header: Depth=1
	s_add_co_i32 m0, s2, -7
	v_movrels_b32_e32 v131, v34
	v_mov_b32_e32 v126, s7
	s_add_co_i32 m0, s2, -6
	s_add_co_i32 s7, s7, 32
	v_movrels_b32_e32 v140, v34
	ds_load_2addr_b32 v[132:133], v126 offset1:1
	ds_load_2addr_b32 v[134:135], v126 offset0:2 offset1:3
	s_add_co_i32 m0, s2, -5
	s_wait_dscnt 0x1
	v_fmac_f32_e32 v130, v131, v132
	ds_load_2addr_b32 v[136:137], v126 offset0:4 offset1:5
	ds_load_2addr_b32 v[138:139], v126 offset0:6 offset1:7
	v_movrels_b32_e32 v126, v34
	s_add_co_i32 m0, s2, -4
	v_fmac_f32_e32 v130, v140, v133
	v_movrels_b32_e32 v131, v34
	s_add_co_i32 m0, s2, -3
	s_wait_dscnt 0x2
	s_delay_alu instid0(VALU_DEP_2) | instskip(SKIP_2) | instid1(VALU_DEP_2)
	v_fmac_f32_e32 v130, v126, v134
	v_movrels_b32_e32 v126, v34
	s_add_co_i32 m0, s2, -2
	v_fmac_f32_e32 v130, v131, v135
	v_movrels_b32_e32 v131, v34
	s_add_co_i32 m0, s2, -1
	s_wait_dscnt 0x1
	s_delay_alu instid0(VALU_DEP_2)
	v_fmac_f32_e32 v130, v126, v136
	v_movrels_b32_e32 v126, v34
	s_mov_b32 m0, s2
	s_add_nc_u64 s[2:3], s[2:3], 8
	v_movrels_b32_e32 v132, v34
	v_dual_fmac_f32 v130, v131, v137 :: v_dual_add_nc_u32 v131, s2, v128
	s_add_co_i32 s8, s2, -7
	s_wait_dscnt 0x0
	s_delay_alu instid0(VALU_DEP_1) | instskip(NEXT) | instid1(VALU_DEP_2)
	v_fmac_f32_e32 v130, v126, v138
	v_cmp_eq_u32_e32 vcc_lo, 10, v131
	s_delay_alu instid0(VALU_DEP_2) | instskip(SKIP_1) | instid1(SALU_CYCLE_1)
	v_dual_mov_b32 v126, s8 :: v_dual_fmac_f32 v130, v132, v139
	s_or_b32 s6, vcc_lo, s6
	s_and_not1_b32 exec_lo, exec_lo, s6
	s_cbranch_execnz .LBB29_409
; %bb.410:
	s_or_b32 exec_lo, exec_lo, s6
.LBB29_411:
	s_delay_alu instid0(SALU_CYCLE_1) | instskip(SKIP_3) | instid1(VALU_DEP_1)
	s_or_b32 exec_lo, exec_lo, s1
	v_and_b32_e32 v64, 7, v127
	s_mov_b32 s2, 0
	s_mov_b32 s1, exec_lo
	v_cmpx_ne_u32_e32 0, v64
	s_cbranch_execz .LBB29_415
; %bb.412:
	v_lshl_add_u32 v65, v126, 2, 0x80
	v_mov_b32_e32 v127, 0
.LBB29_413:                             ; =>This Inner Loop Header: Depth=1
	v_cmp_eq_u32_e32 vcc_lo, 1, v126
	ds_load_b32 v131, v65
	v_dual_add_nc_u32 v64, -1, v64 :: v_dual_add_nc_u32 v65, 4, v65
	v_cndmask_b32_e32 v128, v34, v35, vcc_lo
	v_cmp_eq_u32_e32 vcc_lo, 2, v126
	s_delay_alu instid0(VALU_DEP_2) | instskip(SKIP_1) | instid1(VALU_DEP_2)
	v_cndmask_b32_e32 v128, v128, v36, vcc_lo
	v_cmp_eq_u32_e32 vcc_lo, 3, v126
	v_cndmask_b32_e32 v128, v128, v37, vcc_lo
	v_cmp_eq_u32_e32 vcc_lo, 4, v126
	s_delay_alu instid0(VALU_DEP_2) | instskip(SKIP_1) | instid1(VALU_DEP_2)
	v_cndmask_b32_e32 v128, v128, v38, vcc_lo
	v_cmp_eq_u32_e32 vcc_lo, 5, v126
	;; [unrolled: 5-line block ×13, first 2 shown]
	v_cndmask_b32_e32 v128, v128, v61, vcc_lo
	v_cmp_eq_u32_e32 vcc_lo, 28, v126
	s_delay_alu instid0(VALU_DEP_2) | instskip(SKIP_2) | instid1(VALU_DEP_3)
	v_cndmask_b32_e32 v128, v128, v62, vcc_lo
	v_cmp_eq_u32_e32 vcc_lo, 29, v126
	v_add_nc_u64_e32 v[126:127], 1, v[126:127]
	v_cndmask_b32_e32 v128, v128, v63, vcc_lo
	v_cmp_eq_u32_e32 vcc_lo, 0, v64
	s_wait_dscnt 0x0
	s_delay_alu instid0(VALU_DEP_2) | instskip(SKIP_1) | instid1(SALU_CYCLE_1)
	v_fmac_f32_e32 v130, v128, v131
	s_or_b32 s2, vcc_lo, s2
	s_and_not1_b32 exec_lo, exec_lo, s2
	s_cbranch_execnz .LBB29_413
; %bb.414:
	s_or_b32 exec_lo, exec_lo, s2
.LBB29_415:
	s_delay_alu instid0(SALU_CYCLE_1)
	s_or_b32 exec_lo, exec_lo, s1
.LBB29_416:
	s_delay_alu instid0(SALU_CYCLE_1)
	s_or_b32 exec_lo, exec_lo, s5
	v_mov_b32_e32 v36, 0
	ds_load_b32 v36, v36 offset:8
	s_wait_dscnt 0x0
	v_mul_f32_e32 v36, v130, v36
.LBB29_417:
	s_or_b32 exec_lo, exec_lo, s4
	v_cmp_lt_u32_e64 s1, 1, v0
	ds_store_b32 v129, v35
	s_wait_dscnt 0x0
	s_barrier_signal -1
	s_barrier_wait -1
	s_and_saveexec_b32 s4, s1
	s_cbranch_execz .LBB29_433
; %bb.418:
	s_and_not1_b32 vcc_lo, exec_lo, s33
	s_cbranch_vccnz .LBB29_420
; %bb.419:
	v_cmp_eq_u32_e32 vcc_lo, 1, v0
	ds_load_b32 v127, v129
	v_cndmask_b32_e32 v126, v34, v35, vcc_lo
	v_cmp_eq_u32_e32 vcc_lo, 2, v0
	s_delay_alu instid0(VALU_DEP_2) | instskip(SKIP_1) | instid1(VALU_DEP_2)
	v_cndmask_b32_e32 v126, v126, v36, vcc_lo
	v_cmp_eq_u32_e32 vcc_lo, 3, v0
	v_cndmask_b32_e32 v126, v126, v37, vcc_lo
	v_cmp_eq_u32_e32 vcc_lo, 4, v0
	s_delay_alu instid0(VALU_DEP_2) | instskip(SKIP_1) | instid1(VALU_DEP_2)
	v_cndmask_b32_e32 v126, v126, v38, vcc_lo
	v_cmp_eq_u32_e32 vcc_lo, 5, v0
	;; [unrolled: 5-line block ×14, first 2 shown]
	v_cndmask_b32_e32 v126, v126, v63, vcc_lo
	s_wait_dscnt 0x0
	s_delay_alu instid0(VALU_DEP_1)
	v_mul_f32_e32 v130, v126, v127
	s_cbranch_execz .LBB29_421
	s_branch .LBB29_422
.LBB29_420:
                                        ; implicit-def: $vgpr130
.LBB29_421:
	ds_load_b32 v130, v129
.LBB29_422:
	s_and_saveexec_b32 s5, s0
	s_cbranch_execz .LBB29_432
; %bb.423:
	v_dual_add_nc_u32 v126, -3, v0 :: v_dual_add_nc_u32 v127, -2, v0
	s_delay_alu instid0(VALU_DEP_1)
	v_cmp_lt_u32_e32 vcc_lo, 6, v126
	v_mov_b32_e32 v126, 2
	s_and_saveexec_b32 s0, vcc_lo
	s_cbranch_execz .LBB29_427
; %bb.424:
	v_and_b32_e32 v126, -8, v127
	s_mov_b32 s6, 0
	s_mov_b64 s[2:3], 9
	s_movk_i32 s7, 0x88
	s_delay_alu instid0(VALU_DEP_1)
	v_sub_nc_u32_e32 v128, 0, v126
.LBB29_425:                             ; =>This Inner Loop Header: Depth=1
	s_add_co_i32 m0, s2, -7
	v_movrels_b32_e32 v131, v34
	v_mov_b32_e32 v126, s7
	s_add_co_i32 m0, s2, -6
	s_add_co_i32 s7, s7, 32
	v_movrels_b32_e32 v140, v34
	s_add_co_i32 m0, s2, -5
	ds_load_2addr_b64 v[132:135], v126 offset1:1
	ds_load_2addr_b64 v[136:139], v126 offset0:2 offset1:3
	v_movrels_b32_e32 v126, v34
	s_add_co_i32 m0, s2, -4
	s_wait_dscnt 0x1
	v_fmac_f32_e32 v130, v131, v132
	v_movrels_b32_e32 v131, v34
	s_add_co_i32 m0, s2, -3
	s_delay_alu instid0(VALU_DEP_2) | instskip(NEXT) | instid1(VALU_DEP_1)
	v_fmac_f32_e32 v130, v140, v133
	v_fmac_f32_e32 v130, v126, v134
	v_movrels_b32_e32 v126, v34
	s_add_co_i32 m0, s2, -2
	s_delay_alu instid0(VALU_DEP_2) | instskip(SKIP_3) | instid1(VALU_DEP_2)
	v_fmac_f32_e32 v130, v131, v135
	v_movrels_b32_e32 v131, v34
	s_add_co_i32 m0, s2, -1
	s_wait_dscnt 0x0
	v_fmac_f32_e32 v130, v126, v136
	v_movrels_b32_e32 v126, v34
	s_mov_b32 m0, s2
	s_add_nc_u64 s[2:3], s[2:3], 8
	v_movrels_b32_e32 v132, v34
	v_dual_fmac_f32 v130, v131, v137 :: v_dual_add_nc_u32 v131, s2, v128
	s_add_co_i32 s8, s2, -7
	s_delay_alu instid0(VALU_DEP_1) | instskip(NEXT) | instid1(VALU_DEP_2)
	v_fmac_f32_e32 v130, v126, v138
	v_cmp_eq_u32_e32 vcc_lo, 9, v131
	s_delay_alu instid0(VALU_DEP_2) | instskip(SKIP_1) | instid1(SALU_CYCLE_1)
	v_dual_mov_b32 v126, s8 :: v_dual_fmac_f32 v130, v132, v139
	s_or_b32 s6, vcc_lo, s6
	s_and_not1_b32 exec_lo, exec_lo, s6
	s_cbranch_execnz .LBB29_425
; %bb.426:
	s_or_b32 exec_lo, exec_lo, s6
.LBB29_427:
	s_delay_alu instid0(SALU_CYCLE_1) | instskip(SKIP_3) | instid1(VALU_DEP_1)
	s_or_b32 exec_lo, exec_lo, s0
	v_and_b32_e32 v64, 7, v127
	s_mov_b32 s2, 0
	s_mov_b32 s0, exec_lo
	v_cmpx_ne_u32_e32 0, v64
	s_cbranch_execz .LBB29_431
; %bb.428:
	v_lshl_add_u32 v65, v126, 2, 0x80
	v_mov_b32_e32 v127, 0
.LBB29_429:                             ; =>This Inner Loop Header: Depth=1
	v_cmp_eq_u32_e32 vcc_lo, 1, v126
	ds_load_b32 v131, v65
	v_dual_add_nc_u32 v64, -1, v64 :: v_dual_add_nc_u32 v65, 4, v65
	v_cndmask_b32_e32 v128, v34, v35, vcc_lo
	v_cmp_eq_u32_e32 vcc_lo, 2, v126
	s_delay_alu instid0(VALU_DEP_2) | instskip(SKIP_1) | instid1(VALU_DEP_2)
	v_cndmask_b32_e32 v128, v128, v36, vcc_lo
	v_cmp_eq_u32_e32 vcc_lo, 3, v126
	v_cndmask_b32_e32 v128, v128, v37, vcc_lo
	v_cmp_eq_u32_e32 vcc_lo, 4, v126
	s_delay_alu instid0(VALU_DEP_2) | instskip(SKIP_1) | instid1(VALU_DEP_2)
	v_cndmask_b32_e32 v128, v128, v38, vcc_lo
	v_cmp_eq_u32_e32 vcc_lo, 5, v126
	;; [unrolled: 5-line block ×13, first 2 shown]
	v_cndmask_b32_e32 v128, v128, v61, vcc_lo
	v_cmp_eq_u32_e32 vcc_lo, 28, v126
	s_delay_alu instid0(VALU_DEP_2) | instskip(SKIP_2) | instid1(VALU_DEP_3)
	v_cndmask_b32_e32 v128, v128, v62, vcc_lo
	v_cmp_eq_u32_e32 vcc_lo, 29, v126
	v_add_nc_u64_e32 v[126:127], 1, v[126:127]
	v_cndmask_b32_e32 v128, v128, v63, vcc_lo
	v_cmp_eq_u32_e32 vcc_lo, 0, v64
	s_wait_dscnt 0x0
	s_delay_alu instid0(VALU_DEP_2) | instskip(SKIP_1) | instid1(SALU_CYCLE_1)
	v_fmac_f32_e32 v130, v128, v131
	s_or_b32 s2, vcc_lo, s2
	s_and_not1_b32 exec_lo, exec_lo, s2
	s_cbranch_execnz .LBB29_429
; %bb.430:
	s_or_b32 exec_lo, exec_lo, s2
.LBB29_431:
	s_delay_alu instid0(SALU_CYCLE_1)
	s_or_b32 exec_lo, exec_lo, s0
.LBB29_432:
	s_delay_alu instid0(SALU_CYCLE_1)
	s_or_b32 exec_lo, exec_lo, s5
	v_mov_b32_e32 v35, 0
	ds_load_b32 v35, v35 offset:4
	s_wait_dscnt 0x0
	v_mul_f32_e32 v35, v130, v35
.LBB29_433:
	s_or_b32 exec_lo, exec_lo, s4
	s_mov_b32 s2, 0
	s_mov_b32 s3, exec_lo
	ds_store_b32 v129, v34
	s_wait_dscnt 0x0
	s_barrier_signal -1
	s_barrier_wait -1
	v_cmpx_ne_u32_e32 0, v0
	s_cbranch_execz .LBB29_449
; %bb.434:
	s_and_not1_b32 vcc_lo, exec_lo, s33
	s_cbranch_vccnz .LBB29_436
; %bb.435:
	v_cmp_eq_u32_e32 vcc_lo, 1, v0
	ds_load_b32 v127, v129
	v_cndmask_b32_e32 v126, v34, v35, vcc_lo
	v_cmp_eq_u32_e32 vcc_lo, 2, v0
	s_delay_alu instid0(VALU_DEP_2) | instskip(SKIP_1) | instid1(VALU_DEP_2)
	v_cndmask_b32_e32 v126, v126, v36, vcc_lo
	v_cmp_eq_u32_e32 vcc_lo, 3, v0
	v_cndmask_b32_e32 v126, v126, v37, vcc_lo
	v_cmp_eq_u32_e32 vcc_lo, 4, v0
	s_delay_alu instid0(VALU_DEP_2) | instskip(SKIP_1) | instid1(VALU_DEP_2)
	v_cndmask_b32_e32 v126, v126, v38, vcc_lo
	v_cmp_eq_u32_e32 vcc_lo, 5, v0
	;; [unrolled: 5-line block ×14, first 2 shown]
	v_cndmask_b32_e32 v126, v126, v63, vcc_lo
	s_wait_dscnt 0x0
	s_delay_alu instid0(VALU_DEP_1)
	v_mul_f32_e32 v130, v126, v127
	s_cbranch_execz .LBB29_437
	s_branch .LBB29_438
.LBB29_436:
                                        ; implicit-def: $vgpr130
.LBB29_437:
	ds_load_b32 v130, v129
.LBB29_438:
	s_and_saveexec_b32 s4, s1
	s_cbranch_execz .LBB29_448
; %bb.439:
	v_dual_add_nc_u32 v126, -2, v0 :: v_dual_add_nc_u32 v127, -1, v0
	s_delay_alu instid0(VALU_DEP_1)
	v_cmp_lt_u32_e32 vcc_lo, 6, v126
	v_mov_b32_e32 v126, 1
	s_and_saveexec_b32 s5, vcc_lo
	s_cbranch_execz .LBB29_443
; %bb.440:
	v_and_b32_e32 v126, -8, v127
	s_mov_b32 s6, 0
	s_mov_b64 s[0:1], 8
	s_movk_i32 s7, 0x84
	s_delay_alu instid0(VALU_DEP_1)
	v_sub_nc_u32_e32 v128, 0, v126
.LBB29_441:                             ; =>This Inner Loop Header: Depth=1
	s_add_co_i32 m0, s0, -7
	v_movrels_b32_e32 v131, v34
	v_mov_b32_e32 v126, s7
	s_add_co_i32 m0, s0, -6
	s_add_co_i32 s7, s7, 32
	v_movrels_b32_e32 v140, v34
	ds_load_2addr_b32 v[132:133], v126 offset1:1
	ds_load_2addr_b32 v[134:135], v126 offset0:2 offset1:3
	s_add_co_i32 m0, s0, -5
	s_wait_dscnt 0x1
	v_fmac_f32_e32 v130, v131, v132
	ds_load_2addr_b32 v[136:137], v126 offset0:4 offset1:5
	ds_load_2addr_b32 v[138:139], v126 offset0:6 offset1:7
	v_movrels_b32_e32 v126, v34
	s_add_co_i32 m0, s0, -4
	v_fmac_f32_e32 v130, v140, v133
	v_movrels_b32_e32 v131, v34
	s_add_co_i32 m0, s0, -3
	s_wait_dscnt 0x2
	s_delay_alu instid0(VALU_DEP_2) | instskip(SKIP_2) | instid1(VALU_DEP_2)
	v_fmac_f32_e32 v130, v126, v134
	v_movrels_b32_e32 v126, v34
	s_add_co_i32 m0, s0, -2
	v_fmac_f32_e32 v130, v131, v135
	v_movrels_b32_e32 v131, v34
	s_add_co_i32 m0, s0, -1
	s_wait_dscnt 0x1
	s_delay_alu instid0(VALU_DEP_2)
	v_fmac_f32_e32 v130, v126, v136
	v_movrels_b32_e32 v126, v34
	s_mov_b32 m0, s0
	s_add_nc_u64 s[0:1], s[0:1], 8
	v_movrels_b32_e32 v132, v34
	v_dual_fmac_f32 v130, v131, v137 :: v_dual_add_nc_u32 v131, s0, v128
	s_add_co_i32 s8, s0, -7
	s_wait_dscnt 0x0
	s_delay_alu instid0(VALU_DEP_1) | instskip(NEXT) | instid1(VALU_DEP_2)
	v_fmac_f32_e32 v130, v126, v138
	v_cmp_eq_u32_e32 vcc_lo, 8, v131
	s_delay_alu instid0(VALU_DEP_2) | instskip(SKIP_1) | instid1(SALU_CYCLE_1)
	v_dual_mov_b32 v126, s8 :: v_dual_fmac_f32 v130, v132, v139
	s_or_b32 s6, vcc_lo, s6
	s_and_not1_b32 exec_lo, exec_lo, s6
	s_cbranch_execnz .LBB29_441
; %bb.442:
	s_or_b32 exec_lo, exec_lo, s6
.LBB29_443:
	s_delay_alu instid0(SALU_CYCLE_1) | instskip(SKIP_3) | instid1(VALU_DEP_1)
	s_or_b32 exec_lo, exec_lo, s5
	v_and_b32_e32 v64, 7, v127
	s_mov_b32 s1, 0
	s_mov_b32 s0, exec_lo
	v_cmpx_ne_u32_e32 0, v64
	s_cbranch_execz .LBB29_447
; %bb.444:
	v_lshl_add_u32 v65, v126, 2, 0x80
	v_mov_b32_e32 v127, 0
.LBB29_445:                             ; =>This Inner Loop Header: Depth=1
	v_cmp_eq_u32_e32 vcc_lo, 1, v126
	ds_load_b32 v131, v65
	v_dual_add_nc_u32 v64, -1, v64 :: v_dual_add_nc_u32 v65, 4, v65
	v_cndmask_b32_e32 v128, v34, v35, vcc_lo
	v_cmp_eq_u32_e32 vcc_lo, 2, v126
	s_delay_alu instid0(VALU_DEP_2) | instskip(SKIP_1) | instid1(VALU_DEP_2)
	v_cndmask_b32_e32 v128, v128, v36, vcc_lo
	v_cmp_eq_u32_e32 vcc_lo, 3, v126
	v_cndmask_b32_e32 v128, v128, v37, vcc_lo
	v_cmp_eq_u32_e32 vcc_lo, 4, v126
	s_delay_alu instid0(VALU_DEP_2) | instskip(SKIP_1) | instid1(VALU_DEP_2)
	v_cndmask_b32_e32 v128, v128, v38, vcc_lo
	v_cmp_eq_u32_e32 vcc_lo, 5, v126
	;; [unrolled: 5-line block ×13, first 2 shown]
	v_cndmask_b32_e32 v128, v128, v61, vcc_lo
	v_cmp_eq_u32_e32 vcc_lo, 28, v126
	s_delay_alu instid0(VALU_DEP_2) | instskip(SKIP_2) | instid1(VALU_DEP_3)
	v_cndmask_b32_e32 v128, v128, v62, vcc_lo
	v_cmp_eq_u32_e32 vcc_lo, 29, v126
	v_add_nc_u64_e32 v[126:127], 1, v[126:127]
	v_cndmask_b32_e32 v128, v128, v63, vcc_lo
	v_cmp_eq_u32_e32 vcc_lo, 0, v64
	s_wait_dscnt 0x0
	s_delay_alu instid0(VALU_DEP_2) | instskip(SKIP_1) | instid1(SALU_CYCLE_1)
	v_fmac_f32_e32 v130, v128, v131
	s_or_b32 s1, vcc_lo, s1
	s_and_not1_b32 exec_lo, exec_lo, s1
	s_cbranch_execnz .LBB29_445
; %bb.446:
	s_or_b32 exec_lo, exec_lo, s1
.LBB29_447:
	s_delay_alu instid0(SALU_CYCLE_1)
	s_or_b32 exec_lo, exec_lo, s0
.LBB29_448:
	s_delay_alu instid0(SALU_CYCLE_1)
	s_or_b32 exec_lo, exec_lo, s4
	v_mov_b32_e32 v34, 0
	ds_load_b32 v34, v34
	s_wait_dscnt 0x0
	v_mul_f32_e32 v34, v130, v34
.LBB29_449:
	s_or_b32 exec_lo, exec_lo, s3
	s_delay_alu instid0(SALU_CYCLE_1)
	s_and_b32 vcc_lo, exec_lo, s2
	s_cbranch_vccz .LBB29_743
.LBB29_450:
	v_cmp_eq_u32_e64 s0, 0, v0
	s_wait_loadcnt 0x1d
	ds_store_b32 v129, v3
	s_wait_loadcnt_dscnt 0x0
	s_barrier_signal -1
	s_barrier_wait -1
	s_and_saveexec_b32 s1, s0
	s_cbranch_execz .LBB29_456
; %bb.451:
	s_and_b32 vcc_lo, exec_lo, s33
	s_cbranch_vccz .LBB29_453
; %bb.452:
	v_cmp_eq_u32_e32 vcc_lo, 1, v0
	ds_load_b32 v32, v129
	v_cndmask_b32_e32 v3, v2, v3, vcc_lo
	v_cmp_eq_u32_e32 vcc_lo, 2, v0
	s_delay_alu instid0(VALU_DEP_2) | instskip(SKIP_1) | instid1(VALU_DEP_2)
	v_cndmask_b32_e32 v3, v3, v4, vcc_lo
	v_cmp_eq_u32_e32 vcc_lo, 3, v0
	v_cndmask_b32_e32 v3, v3, v5, vcc_lo
	v_cmp_eq_u32_e32 vcc_lo, 4, v0
	s_delay_alu instid0(VALU_DEP_2) | instskip(SKIP_1) | instid1(VALU_DEP_2)
	v_cndmask_b32_e32 v3, v3, v6, vcc_lo
	v_cmp_eq_u32_e32 vcc_lo, 5, v0
	;; [unrolled: 5-line block ×14, first 2 shown]
	v_cndmask_b32_e32 v3, v3, v31, vcc_lo
	s_wait_dscnt 0x0
	s_delay_alu instid0(VALU_DEP_1)
	v_mul_f32_e32 v3, v3, v32
	s_cbranch_execz .LBB29_454
	s_branch .LBB29_455
.LBB29_453:
                                        ; implicit-def: $vgpr3
.LBB29_454:
	ds_load_b32 v3, v129
.LBB29_455:
	v_mov_b32_e32 v32, 0
	ds_load_b32 v32, v32 offset:4
	s_wait_dscnt 0x0
	v_mul_f32_e32 v3, v3, v32
.LBB29_456:
	s_or_b32 exec_lo, exec_lo, s1
	v_cndmask_b32_e64 v34, 0, 1, s33
	s_mov_b32 s1, exec_lo
	ds_store_b32 v129, v4
	s_wait_dscnt 0x0
	s_barrier_signal -1
	s_barrier_wait -1
	v_cmpx_gt_u32_e32 2, v0
	s_cbranch_execz .LBB29_462
; %bb.457:
	s_and_not1_b32 vcc_lo, exec_lo, s33
	s_cbranch_vccnz .LBB29_459
; %bb.458:
	v_cmp_eq_u32_e32 vcc_lo, 1, v0
	v_cndmask_b32_e32 v32, v2, v3, vcc_lo
	v_cmp_eq_u32_e32 vcc_lo, 2, v0
	s_delay_alu instid0(VALU_DEP_2) | instskip(SKIP_4) | instid1(VALU_DEP_2)
	v_cndmask_b32_e32 v4, v32, v4, vcc_lo
	v_cmp_eq_u32_e32 vcc_lo, 3, v0
	ds_load_b32 v32, v129
	v_cndmask_b32_e32 v4, v4, v5, vcc_lo
	v_cmp_eq_u32_e32 vcc_lo, 4, v0
	v_cndmask_b32_e32 v4, v4, v6, vcc_lo
	v_cmp_eq_u32_e32 vcc_lo, 5, v0
	s_delay_alu instid0(VALU_DEP_2) | instskip(SKIP_1) | instid1(VALU_DEP_2)
	v_cndmask_b32_e32 v4, v4, v7, vcc_lo
	v_cmp_eq_u32_e32 vcc_lo, 6, v0
	v_cndmask_b32_e32 v4, v4, v8, vcc_lo
	v_cmp_eq_u32_e32 vcc_lo, 7, v0
	s_delay_alu instid0(VALU_DEP_2) | instskip(SKIP_1) | instid1(VALU_DEP_2)
	;; [unrolled: 5-line block ×12, first 2 shown]
	v_cndmask_b32_e32 v4, v4, v29, vcc_lo
	v_cmp_eq_u32_e32 vcc_lo, 28, v0
	v_cndmask_b32_e32 v4, v4, v30, vcc_lo
	v_cmp_eq_u32_e32 vcc_lo, 29, v0
	s_delay_alu instid0(VALU_DEP_2) | instskip(SKIP_1) | instid1(VALU_DEP_1)
	v_cndmask_b32_e32 v4, v4, v31, vcc_lo
	s_wait_dscnt 0x0
	v_mul_f32_e32 v4, v4, v32
	s_cbranch_execz .LBB29_460
	s_branch .LBB29_461
.LBB29_459:
                                        ; implicit-def: $vgpr4
.LBB29_460:
	ds_load_b32 v4, v129
.LBB29_461:
	v_mov_b32_e32 v32, 0
	ds_load_2addr_b32 v[32:33], v32 offset0:2 offset1:33
	s_wait_dscnt 0x0
	v_fma_f32 v33, v3, v33, v4
	s_delay_alu instid0(VALU_DEP_1) | instskip(NEXT) | instid1(VALU_DEP_1)
	v_cndmask_b32_e64 v4, v4, v33, s0
	v_mul_f32_e32 v4, v4, v32
.LBB29_462:
	s_or_b32 exec_lo, exec_lo, s1
	v_add_nc_u32_e32 v35, 1, v0
	v_cmp_gt_u32_e64 s1, 3, v0
	ds_store_b32 v129, v5
	s_wait_dscnt 0x0
	s_barrier_signal -1
	s_barrier_wait -1
	s_and_saveexec_b32 s2, s1
	s_cbranch_execz .LBB29_470
; %bb.463:
	v_cmp_ne_u32_e32 vcc_lo, 1, v34
	s_cbranch_vccnz .LBB29_465
; %bb.464:
	v_cmp_eq_u32_e32 vcc_lo, 1, v0
	ds_load_b32 v33, v129
	v_cndmask_b32_e32 v32, v2, v3, vcc_lo
	v_cmp_eq_u32_e32 vcc_lo, 2, v0
	s_delay_alu instid0(VALU_DEP_2) | instskip(SKIP_1) | instid1(VALU_DEP_2)
	v_cndmask_b32_e32 v32, v32, v4, vcc_lo
	v_cmp_eq_u32_e32 vcc_lo, 3, v0
	v_cndmask_b32_e32 v32, v32, v5, vcc_lo
	v_cmp_eq_u32_e32 vcc_lo, 4, v0
	s_delay_alu instid0(VALU_DEP_2) | instskip(SKIP_1) | instid1(VALU_DEP_2)
	v_cndmask_b32_e32 v32, v32, v6, vcc_lo
	v_cmp_eq_u32_e32 vcc_lo, 5, v0
	;; [unrolled: 5-line block ×14, first 2 shown]
	v_cndmask_b32_e32 v32, v32, v31, vcc_lo
	s_wait_dscnt 0x0
	s_delay_alu instid0(VALU_DEP_1)
	v_mul_f32_e32 v32, v32, v33
	s_cbranch_execz .LBB29_466
	s_branch .LBB29_467
.LBB29_465:
                                        ; implicit-def: $vgpr32
.LBB29_466:
	ds_load_b32 v32, v129
.LBB29_467:
	s_mov_b32 s3, exec_lo
	v_cmpx_ne_u32_e32 2, v0
	s_cbranch_execz .LBB29_469
; %bb.468:
	v_cmp_eq_u32_e32 vcc_lo, 1, v35
	v_dual_mov_b32 v36, 0 :: v_dual_cndmask_b32 v33, v2, v3
	v_cmp_eq_u32_e32 vcc_lo, 2, v35
	ds_load_b32 v36, v36 offset:136
	v_cndmask_b32_e32 v33, v33, v4, vcc_lo
	v_cmp_eq_u32_e32 vcc_lo, 3, v35
	s_delay_alu instid0(VALU_DEP_2) | instskip(SKIP_4) | instid1(VALU_DEP_2)
	v_cndmask_b32_e32 v5, v33, v5, vcc_lo
	v_cmp_eq_u32_e32 vcc_lo, 4, v35
	ds_load_b32 v33, v129 offset:4
	v_cndmask_b32_e32 v5, v5, v6, vcc_lo
	v_cmp_eq_u32_e32 vcc_lo, 5, v35
	v_cndmask_b32_e32 v5, v5, v7, vcc_lo
	v_cmp_eq_u32_e32 vcc_lo, 6, v35
	s_delay_alu instid0(VALU_DEP_2) | instskip(SKIP_1) | instid1(VALU_DEP_2)
	v_cndmask_b32_e32 v5, v5, v8, vcc_lo
	v_cmp_eq_u32_e32 vcc_lo, 7, v35
	v_cndmask_b32_e32 v5, v5, v9, vcc_lo
	v_cmp_eq_u32_e32 vcc_lo, 8, v35
	s_delay_alu instid0(VALU_DEP_2) | instskip(SKIP_1) | instid1(VALU_DEP_2)
	;; [unrolled: 5-line block ×12, first 2 shown]
	v_cndmask_b32_e32 v5, v5, v30, vcc_lo
	v_cmp_eq_u32_e32 vcc_lo, 29, v35
	v_cndmask_b32_e32 v5, v5, v31, vcc_lo
	s_wait_dscnt 0x0
	s_delay_alu instid0(VALU_DEP_1) | instskip(NEXT) | instid1(VALU_DEP_1)
	v_fmac_f32_e32 v32, v5, v33
	v_fma_f32 v5, v4, v36, v32
	s_delay_alu instid0(VALU_DEP_1)
	v_cndmask_b32_e64 v32, v32, v5, s0
.LBB29_469:
	s_or_b32 exec_lo, exec_lo, s3
	v_mov_b32_e32 v5, 0
	ds_load_b32 v5, v5 offset:12
	s_wait_dscnt 0x0
	v_mul_f32_e32 v5, v32, v5
.LBB29_470:
	s_or_b32 exec_lo, exec_lo, s2
	s_delay_alu instid0(SALU_CYCLE_1)
	s_mov_b32 s2, exec_lo
	ds_store_b32 v129, v6
	s_wait_dscnt 0x0
	s_barrier_signal -1
	s_barrier_wait -1
	v_cmpx_gt_u32_e32 4, v0
	s_cbranch_execz .LBB29_480
; %bb.471:
	v_cmp_ne_u32_e32 vcc_lo, 1, v34
	s_cbranch_vccnz .LBB29_473
; %bb.472:
	v_cmp_eq_u32_e32 vcc_lo, 1, v0
	ds_load_b32 v33, v129
	v_cndmask_b32_e32 v32, v2, v3, vcc_lo
	v_cmp_eq_u32_e32 vcc_lo, 2, v0
	s_delay_alu instid0(VALU_DEP_2) | instskip(SKIP_1) | instid1(VALU_DEP_2)
	v_cndmask_b32_e32 v32, v32, v4, vcc_lo
	v_cmp_eq_u32_e32 vcc_lo, 3, v0
	v_cndmask_b32_e32 v32, v32, v5, vcc_lo
	v_cmp_eq_u32_e32 vcc_lo, 4, v0
	s_delay_alu instid0(VALU_DEP_2) | instskip(SKIP_1) | instid1(VALU_DEP_2)
	v_cndmask_b32_e32 v32, v32, v6, vcc_lo
	v_cmp_eq_u32_e32 vcc_lo, 5, v0
	v_cndmask_b32_e32 v32, v32, v7, vcc_lo
	v_cmp_eq_u32_e32 vcc_lo, 6, v0
	s_delay_alu instid0(VALU_DEP_2) | instskip(SKIP_1) | instid1(VALU_DEP_2)
	v_cndmask_b32_e32 v32, v32, v8, vcc_lo
	v_cmp_eq_u32_e32 vcc_lo, 7, v0
	v_cndmask_b32_e32 v32, v32, v9, vcc_lo
	v_cmp_eq_u32_e32 vcc_lo, 8, v0
	s_delay_alu instid0(VALU_DEP_2) | instskip(SKIP_1) | instid1(VALU_DEP_2)
	v_cndmask_b32_e32 v32, v32, v10, vcc_lo
	v_cmp_eq_u32_e32 vcc_lo, 9, v0
	v_cndmask_b32_e32 v32, v32, v11, vcc_lo
	v_cmp_eq_u32_e32 vcc_lo, 10, v0
	s_delay_alu instid0(VALU_DEP_2) | instskip(SKIP_1) | instid1(VALU_DEP_2)
	v_cndmask_b32_e32 v32, v32, v12, vcc_lo
	v_cmp_eq_u32_e32 vcc_lo, 11, v0
	v_cndmask_b32_e32 v32, v32, v13, vcc_lo
	v_cmp_eq_u32_e32 vcc_lo, 12, v0
	s_delay_alu instid0(VALU_DEP_2) | instskip(SKIP_1) | instid1(VALU_DEP_2)
	v_cndmask_b32_e32 v32, v32, v14, vcc_lo
	v_cmp_eq_u32_e32 vcc_lo, 13, v0
	v_cndmask_b32_e32 v32, v32, v15, vcc_lo
	v_cmp_eq_u32_e32 vcc_lo, 14, v0
	s_delay_alu instid0(VALU_DEP_2) | instskip(SKIP_1) | instid1(VALU_DEP_2)
	v_cndmask_b32_e32 v32, v32, v16, vcc_lo
	v_cmp_eq_u32_e32 vcc_lo, 15, v0
	v_cndmask_b32_e32 v32, v32, v17, vcc_lo
	v_cmp_eq_u32_e32 vcc_lo, 16, v0
	s_delay_alu instid0(VALU_DEP_2) | instskip(SKIP_1) | instid1(VALU_DEP_2)
	v_cndmask_b32_e32 v32, v32, v18, vcc_lo
	v_cmp_eq_u32_e32 vcc_lo, 17, v0
	v_cndmask_b32_e32 v32, v32, v19, vcc_lo
	v_cmp_eq_u32_e32 vcc_lo, 18, v0
	s_delay_alu instid0(VALU_DEP_2) | instskip(SKIP_1) | instid1(VALU_DEP_2)
	v_cndmask_b32_e32 v32, v32, v20, vcc_lo
	v_cmp_eq_u32_e32 vcc_lo, 19, v0
	v_cndmask_b32_e32 v32, v32, v21, vcc_lo
	v_cmp_eq_u32_e32 vcc_lo, 20, v0
	s_delay_alu instid0(VALU_DEP_2) | instskip(SKIP_1) | instid1(VALU_DEP_2)
	v_cndmask_b32_e32 v32, v32, v22, vcc_lo
	v_cmp_eq_u32_e32 vcc_lo, 21, v0
	v_cndmask_b32_e32 v32, v32, v23, vcc_lo
	v_cmp_eq_u32_e32 vcc_lo, 22, v0
	s_delay_alu instid0(VALU_DEP_2) | instskip(SKIP_1) | instid1(VALU_DEP_2)
	v_cndmask_b32_e32 v32, v32, v24, vcc_lo
	v_cmp_eq_u32_e32 vcc_lo, 23, v0
	v_cndmask_b32_e32 v32, v32, v25, vcc_lo
	v_cmp_eq_u32_e32 vcc_lo, 24, v0
	s_delay_alu instid0(VALU_DEP_2) | instskip(SKIP_1) | instid1(VALU_DEP_2)
	v_cndmask_b32_e32 v32, v32, v26, vcc_lo
	v_cmp_eq_u32_e32 vcc_lo, 25, v0
	v_cndmask_b32_e32 v32, v32, v27, vcc_lo
	v_cmp_eq_u32_e32 vcc_lo, 26, v0
	s_delay_alu instid0(VALU_DEP_2) | instskip(SKIP_1) | instid1(VALU_DEP_2)
	v_cndmask_b32_e32 v32, v32, v28, vcc_lo
	v_cmp_eq_u32_e32 vcc_lo, 27, v0
	v_cndmask_b32_e32 v32, v32, v29, vcc_lo
	v_cmp_eq_u32_e32 vcc_lo, 28, v0
	s_delay_alu instid0(VALU_DEP_2) | instskip(SKIP_1) | instid1(VALU_DEP_2)
	v_cndmask_b32_e32 v32, v32, v30, vcc_lo
	v_cmp_eq_u32_e32 vcc_lo, 29, v0
	v_cndmask_b32_e32 v32, v32, v31, vcc_lo
	s_wait_dscnt 0x0
	s_delay_alu instid0(VALU_DEP_1)
	v_mul_f32_e32 v36, v32, v33
	s_cbranch_execz .LBB29_474
	s_branch .LBB29_475
.LBB29_473:
                                        ; implicit-def: $vgpr36
.LBB29_474:
	ds_load_b32 v36, v129
.LBB29_475:
	s_mov_b32 s3, exec_lo
	v_cmpx_ne_u32_e32 3, v0
	s_cbranch_execz .LBB29_479
; %bb.476:
	v_mov_b64_e32 v[32:33], v[0:1]
	v_lshl_add_u32 v37, v0, 2, 0x84
	s_mov_b32 s4, 0
.LBB29_477:                             ; =>This Inner Loop Header: Depth=1
	s_delay_alu instid0(VALU_DEP_2)
	v_add_nc_u64_e32 v[32:33], 1, v[32:33]
	ds_load_b32 v39, v37
	v_add_nc_u32_e32 v37, 4, v37
	v_cmp_eq_u32_e32 vcc_lo, 1, v32
	v_cndmask_b32_e32 v38, v2, v3, vcc_lo
	v_cmp_eq_u32_e32 vcc_lo, 2, v32
	s_delay_alu instid0(VALU_DEP_2) | instskip(SKIP_1) | instid1(VALU_DEP_2)
	v_cndmask_b32_e32 v38, v38, v4, vcc_lo
	v_cmp_eq_u32_e32 vcc_lo, 3, v32
	v_cndmask_b32_e32 v38, v38, v5, vcc_lo
	v_cmp_eq_u32_e32 vcc_lo, 4, v32
	s_delay_alu instid0(VALU_DEP_2) | instskip(SKIP_1) | instid1(VALU_DEP_2)
	v_cndmask_b32_e32 v38, v38, v6, vcc_lo
	v_cmp_eq_u32_e32 vcc_lo, 5, v32
	v_cndmask_b32_e32 v38, v38, v7, vcc_lo
	v_cmp_eq_u32_e32 vcc_lo, 6, v32
	s_delay_alu instid0(VALU_DEP_2) | instskip(SKIP_1) | instid1(VALU_DEP_2)
	v_cndmask_b32_e32 v38, v38, v8, vcc_lo
	v_cmp_eq_u32_e32 vcc_lo, 7, v32
	v_cndmask_b32_e32 v38, v38, v9, vcc_lo
	v_cmp_eq_u32_e32 vcc_lo, 8, v32
	s_delay_alu instid0(VALU_DEP_2) | instskip(SKIP_1) | instid1(VALU_DEP_2)
	v_cndmask_b32_e32 v38, v38, v10, vcc_lo
	v_cmp_eq_u32_e32 vcc_lo, 9, v32
	v_cndmask_b32_e32 v38, v38, v11, vcc_lo
	v_cmp_eq_u32_e32 vcc_lo, 10, v32
	s_delay_alu instid0(VALU_DEP_2) | instskip(SKIP_1) | instid1(VALU_DEP_2)
	v_cndmask_b32_e32 v38, v38, v12, vcc_lo
	v_cmp_eq_u32_e32 vcc_lo, 11, v32
	v_cndmask_b32_e32 v38, v38, v13, vcc_lo
	v_cmp_eq_u32_e32 vcc_lo, 12, v32
	s_delay_alu instid0(VALU_DEP_2) | instskip(SKIP_1) | instid1(VALU_DEP_2)
	v_cndmask_b32_e32 v38, v38, v14, vcc_lo
	v_cmp_eq_u32_e32 vcc_lo, 13, v32
	v_cndmask_b32_e32 v38, v38, v15, vcc_lo
	v_cmp_eq_u32_e32 vcc_lo, 14, v32
	s_delay_alu instid0(VALU_DEP_2) | instskip(SKIP_1) | instid1(VALU_DEP_2)
	v_cndmask_b32_e32 v38, v38, v16, vcc_lo
	v_cmp_eq_u32_e32 vcc_lo, 15, v32
	v_cndmask_b32_e32 v38, v38, v17, vcc_lo
	v_cmp_eq_u32_e32 vcc_lo, 16, v32
	s_delay_alu instid0(VALU_DEP_2) | instskip(SKIP_1) | instid1(VALU_DEP_2)
	v_cndmask_b32_e32 v38, v38, v18, vcc_lo
	v_cmp_eq_u32_e32 vcc_lo, 17, v32
	v_cndmask_b32_e32 v38, v38, v19, vcc_lo
	v_cmp_eq_u32_e32 vcc_lo, 18, v32
	s_delay_alu instid0(VALU_DEP_2) | instskip(SKIP_1) | instid1(VALU_DEP_2)
	v_cndmask_b32_e32 v38, v38, v20, vcc_lo
	v_cmp_eq_u32_e32 vcc_lo, 19, v32
	v_cndmask_b32_e32 v38, v38, v21, vcc_lo
	v_cmp_eq_u32_e32 vcc_lo, 20, v32
	s_delay_alu instid0(VALU_DEP_2) | instskip(SKIP_1) | instid1(VALU_DEP_2)
	v_cndmask_b32_e32 v38, v38, v22, vcc_lo
	v_cmp_eq_u32_e32 vcc_lo, 21, v32
	v_cndmask_b32_e32 v38, v38, v23, vcc_lo
	v_cmp_eq_u32_e32 vcc_lo, 22, v32
	s_delay_alu instid0(VALU_DEP_2) | instskip(SKIP_1) | instid1(VALU_DEP_2)
	v_cndmask_b32_e32 v38, v38, v24, vcc_lo
	v_cmp_eq_u32_e32 vcc_lo, 23, v32
	v_cndmask_b32_e32 v38, v38, v25, vcc_lo
	v_cmp_eq_u32_e32 vcc_lo, 24, v32
	s_delay_alu instid0(VALU_DEP_2) | instskip(SKIP_1) | instid1(VALU_DEP_2)
	v_cndmask_b32_e32 v38, v38, v26, vcc_lo
	v_cmp_eq_u32_e32 vcc_lo, 25, v32
	v_cndmask_b32_e32 v38, v38, v27, vcc_lo
	v_cmp_eq_u32_e32 vcc_lo, 26, v32
	s_delay_alu instid0(VALU_DEP_2) | instskip(SKIP_1) | instid1(VALU_DEP_2)
	v_cndmask_b32_e32 v38, v38, v28, vcc_lo
	v_cmp_eq_u32_e32 vcc_lo, 27, v32
	v_cndmask_b32_e32 v38, v38, v29, vcc_lo
	v_cmp_eq_u32_e32 vcc_lo, 28, v32
	s_delay_alu instid0(VALU_DEP_2) | instskip(SKIP_1) | instid1(VALU_DEP_2)
	v_cndmask_b32_e32 v38, v38, v30, vcc_lo
	v_cmp_eq_u32_e32 vcc_lo, 29, v32
	v_cndmask_b32_e32 v38, v38, v31, vcc_lo
	v_cmp_lt_u32_e32 vcc_lo, 2, v32
	s_wait_dscnt 0x0
	s_delay_alu instid0(VALU_DEP_2) | instskip(SKIP_1) | instid1(SALU_CYCLE_1)
	v_fmac_f32_e32 v36, v38, v39
	s_or_b32 s4, vcc_lo, s4
	s_and_not1_b32 exec_lo, exec_lo, s4
	s_cbranch_execnz .LBB29_477
; %bb.478:
	s_or_b32 exec_lo, exec_lo, s4
.LBB29_479:
	s_delay_alu instid0(SALU_CYCLE_1)
	s_or_b32 exec_lo, exec_lo, s3
	v_mov_b32_e32 v6, 0
	ds_load_b32 v6, v6 offset:16
	s_wait_dscnt 0x0
	v_mul_f32_e32 v6, v36, v6
.LBB29_480:
	s_or_b32 exec_lo, exec_lo, s2
	v_cmp_gt_u32_e64 s2, 5, v0
	ds_store_b32 v129, v7
	s_wait_dscnt 0x0
	s_barrier_signal -1
	s_barrier_wait -1
	s_and_saveexec_b32 s3, s2
	s_cbranch_execz .LBB29_490
; %bb.481:
	v_cmp_ne_u32_e32 vcc_lo, 1, v34
	s_cbranch_vccnz .LBB29_483
; %bb.482:
	v_cmp_eq_u32_e32 vcc_lo, 1, v0
	ds_load_b32 v33, v129
	v_cndmask_b32_e32 v32, v2, v3, vcc_lo
	v_cmp_eq_u32_e32 vcc_lo, 2, v0
	s_delay_alu instid0(VALU_DEP_2) | instskip(SKIP_1) | instid1(VALU_DEP_2)
	v_cndmask_b32_e32 v32, v32, v4, vcc_lo
	v_cmp_eq_u32_e32 vcc_lo, 3, v0
	v_cndmask_b32_e32 v32, v32, v5, vcc_lo
	v_cmp_eq_u32_e32 vcc_lo, 4, v0
	s_delay_alu instid0(VALU_DEP_2) | instskip(SKIP_1) | instid1(VALU_DEP_2)
	v_cndmask_b32_e32 v32, v32, v6, vcc_lo
	v_cmp_eq_u32_e32 vcc_lo, 5, v0
	;; [unrolled: 5-line block ×14, first 2 shown]
	v_cndmask_b32_e32 v32, v32, v31, vcc_lo
	s_wait_dscnt 0x0
	s_delay_alu instid0(VALU_DEP_1)
	v_mul_f32_e32 v36, v32, v33
	s_cbranch_execz .LBB29_484
	s_branch .LBB29_485
.LBB29_483:
                                        ; implicit-def: $vgpr36
.LBB29_484:
	ds_load_b32 v36, v129
.LBB29_485:
	s_mov_b32 s4, exec_lo
	v_cmpx_ne_u32_e32 4, v0
	s_cbranch_execz .LBB29_489
; %bb.486:
	v_mov_b64_e32 v[32:33], v[0:1]
	v_lshl_add_u32 v37, v0, 2, 0x84
	s_mov_b32 s5, 0
.LBB29_487:                             ; =>This Inner Loop Header: Depth=1
	s_delay_alu instid0(VALU_DEP_2)
	v_add_nc_u64_e32 v[32:33], 1, v[32:33]
	ds_load_b32 v39, v37
	v_add_nc_u32_e32 v37, 4, v37
	v_cmp_eq_u32_e32 vcc_lo, 1, v32
	v_cndmask_b32_e32 v38, v2, v3, vcc_lo
	v_cmp_eq_u32_e32 vcc_lo, 2, v32
	s_delay_alu instid0(VALU_DEP_2) | instskip(SKIP_1) | instid1(VALU_DEP_2)
	v_cndmask_b32_e32 v38, v38, v4, vcc_lo
	v_cmp_eq_u32_e32 vcc_lo, 3, v32
	v_cndmask_b32_e32 v38, v38, v5, vcc_lo
	v_cmp_eq_u32_e32 vcc_lo, 4, v32
	s_delay_alu instid0(VALU_DEP_2) | instskip(SKIP_1) | instid1(VALU_DEP_2)
	v_cndmask_b32_e32 v38, v38, v6, vcc_lo
	;; [unrolled: 5-line block ×14, first 2 shown]
	v_cmp_eq_u32_e32 vcc_lo, 29, v32
	v_cndmask_b32_e32 v38, v38, v31, vcc_lo
	v_cmp_lt_u32_e32 vcc_lo, 3, v32
	s_wait_dscnt 0x0
	s_delay_alu instid0(VALU_DEP_2) | instskip(SKIP_1) | instid1(SALU_CYCLE_1)
	v_fmac_f32_e32 v36, v38, v39
	s_or_b32 s5, vcc_lo, s5
	s_and_not1_b32 exec_lo, exec_lo, s5
	s_cbranch_execnz .LBB29_487
; %bb.488:
	s_or_b32 exec_lo, exec_lo, s5
.LBB29_489:
	s_delay_alu instid0(SALU_CYCLE_1)
	s_or_b32 exec_lo, exec_lo, s4
	v_mov_b32_e32 v7, 0
	ds_load_b32 v7, v7 offset:20
	s_wait_dscnt 0x0
	v_mul_f32_e32 v7, v36, v7
.LBB29_490:
	s_or_b32 exec_lo, exec_lo, s3
	s_delay_alu instid0(SALU_CYCLE_1)
	s_mov_b32 s3, exec_lo
	ds_store_b32 v129, v8
	s_wait_dscnt 0x0
	s_barrier_signal -1
	s_barrier_wait -1
	v_cmpx_gt_u32_e32 6, v0
	s_cbranch_execz .LBB29_500
; %bb.491:
	v_cmp_ne_u32_e32 vcc_lo, 1, v34
	s_cbranch_vccnz .LBB29_493
; %bb.492:
	v_cmp_eq_u32_e32 vcc_lo, 1, v0
	ds_load_b32 v33, v129
	v_cndmask_b32_e32 v32, v2, v3, vcc_lo
	v_cmp_eq_u32_e32 vcc_lo, 2, v0
	s_delay_alu instid0(VALU_DEP_2) | instskip(SKIP_1) | instid1(VALU_DEP_2)
	v_cndmask_b32_e32 v32, v32, v4, vcc_lo
	v_cmp_eq_u32_e32 vcc_lo, 3, v0
	v_cndmask_b32_e32 v32, v32, v5, vcc_lo
	v_cmp_eq_u32_e32 vcc_lo, 4, v0
	s_delay_alu instid0(VALU_DEP_2) | instskip(SKIP_1) | instid1(VALU_DEP_2)
	v_cndmask_b32_e32 v32, v32, v6, vcc_lo
	v_cmp_eq_u32_e32 vcc_lo, 5, v0
	;; [unrolled: 5-line block ×14, first 2 shown]
	v_cndmask_b32_e32 v32, v32, v31, vcc_lo
	s_wait_dscnt 0x0
	s_delay_alu instid0(VALU_DEP_1)
	v_mul_f32_e32 v36, v32, v33
	s_cbranch_execz .LBB29_494
	s_branch .LBB29_495
.LBB29_493:
                                        ; implicit-def: $vgpr36
.LBB29_494:
	ds_load_b32 v36, v129
.LBB29_495:
	s_mov_b32 s4, exec_lo
	v_cmpx_ne_u32_e32 5, v0
	s_cbranch_execz .LBB29_499
; %bb.496:
	v_mov_b64_e32 v[32:33], v[0:1]
	v_lshl_add_u32 v37, v0, 2, 0x84
	s_mov_b32 s5, 0
.LBB29_497:                             ; =>This Inner Loop Header: Depth=1
	s_delay_alu instid0(VALU_DEP_2)
	v_add_nc_u64_e32 v[32:33], 1, v[32:33]
	ds_load_b32 v39, v37
	v_add_nc_u32_e32 v37, 4, v37
	v_cmp_eq_u32_e32 vcc_lo, 1, v32
	v_cndmask_b32_e32 v38, v2, v3, vcc_lo
	v_cmp_eq_u32_e32 vcc_lo, 2, v32
	s_delay_alu instid0(VALU_DEP_2) | instskip(SKIP_1) | instid1(VALU_DEP_2)
	v_cndmask_b32_e32 v38, v38, v4, vcc_lo
	v_cmp_eq_u32_e32 vcc_lo, 3, v32
	v_cndmask_b32_e32 v38, v38, v5, vcc_lo
	v_cmp_eq_u32_e32 vcc_lo, 4, v32
	s_delay_alu instid0(VALU_DEP_2) | instskip(SKIP_1) | instid1(VALU_DEP_2)
	v_cndmask_b32_e32 v38, v38, v6, vcc_lo
	;; [unrolled: 5-line block ×14, first 2 shown]
	v_cmp_eq_u32_e32 vcc_lo, 29, v32
	v_cndmask_b32_e32 v38, v38, v31, vcc_lo
	v_cmp_lt_u32_e32 vcc_lo, 4, v32
	s_wait_dscnt 0x0
	s_delay_alu instid0(VALU_DEP_2) | instskip(SKIP_1) | instid1(SALU_CYCLE_1)
	v_fmac_f32_e32 v36, v38, v39
	s_or_b32 s5, vcc_lo, s5
	s_and_not1_b32 exec_lo, exec_lo, s5
	s_cbranch_execnz .LBB29_497
; %bb.498:
	s_or_b32 exec_lo, exec_lo, s5
.LBB29_499:
	s_delay_alu instid0(SALU_CYCLE_1)
	s_or_b32 exec_lo, exec_lo, s4
	v_mov_b32_e32 v8, 0
	ds_load_b32 v8, v8 offset:24
	s_wait_dscnt 0x0
	v_mul_f32_e32 v8, v36, v8
.LBB29_500:
	s_or_b32 exec_lo, exec_lo, s3
	v_cmp_gt_u32_e64 s3, 7, v0
	ds_store_b32 v129, v9
	s_wait_dscnt 0x0
	s_barrier_signal -1
	s_barrier_wait -1
	s_and_saveexec_b32 s4, s3
	s_cbranch_execz .LBB29_510
; %bb.501:
	v_cmp_ne_u32_e32 vcc_lo, 1, v34
	s_cbranch_vccnz .LBB29_503
; %bb.502:
	v_cmp_eq_u32_e32 vcc_lo, 1, v0
	ds_load_b32 v33, v129
	v_cndmask_b32_e32 v32, v2, v3, vcc_lo
	v_cmp_eq_u32_e32 vcc_lo, 2, v0
	s_delay_alu instid0(VALU_DEP_2) | instskip(SKIP_1) | instid1(VALU_DEP_2)
	v_cndmask_b32_e32 v32, v32, v4, vcc_lo
	v_cmp_eq_u32_e32 vcc_lo, 3, v0
	v_cndmask_b32_e32 v32, v32, v5, vcc_lo
	v_cmp_eq_u32_e32 vcc_lo, 4, v0
	s_delay_alu instid0(VALU_DEP_2) | instskip(SKIP_1) | instid1(VALU_DEP_2)
	v_cndmask_b32_e32 v32, v32, v6, vcc_lo
	v_cmp_eq_u32_e32 vcc_lo, 5, v0
	v_cndmask_b32_e32 v32, v32, v7, vcc_lo
	v_cmp_eq_u32_e32 vcc_lo, 6, v0
	s_delay_alu instid0(VALU_DEP_2) | instskip(SKIP_1) | instid1(VALU_DEP_2)
	v_cndmask_b32_e32 v32, v32, v8, vcc_lo
	v_cmp_eq_u32_e32 vcc_lo, 7, v0
	v_cndmask_b32_e32 v32, v32, v9, vcc_lo
	v_cmp_eq_u32_e32 vcc_lo, 8, v0
	s_delay_alu instid0(VALU_DEP_2) | instskip(SKIP_1) | instid1(VALU_DEP_2)
	v_cndmask_b32_e32 v32, v32, v10, vcc_lo
	v_cmp_eq_u32_e32 vcc_lo, 9, v0
	v_cndmask_b32_e32 v32, v32, v11, vcc_lo
	v_cmp_eq_u32_e32 vcc_lo, 10, v0
	s_delay_alu instid0(VALU_DEP_2) | instskip(SKIP_1) | instid1(VALU_DEP_2)
	v_cndmask_b32_e32 v32, v32, v12, vcc_lo
	v_cmp_eq_u32_e32 vcc_lo, 11, v0
	v_cndmask_b32_e32 v32, v32, v13, vcc_lo
	v_cmp_eq_u32_e32 vcc_lo, 12, v0
	s_delay_alu instid0(VALU_DEP_2) | instskip(SKIP_1) | instid1(VALU_DEP_2)
	v_cndmask_b32_e32 v32, v32, v14, vcc_lo
	v_cmp_eq_u32_e32 vcc_lo, 13, v0
	v_cndmask_b32_e32 v32, v32, v15, vcc_lo
	v_cmp_eq_u32_e32 vcc_lo, 14, v0
	s_delay_alu instid0(VALU_DEP_2) | instskip(SKIP_1) | instid1(VALU_DEP_2)
	v_cndmask_b32_e32 v32, v32, v16, vcc_lo
	v_cmp_eq_u32_e32 vcc_lo, 15, v0
	v_cndmask_b32_e32 v32, v32, v17, vcc_lo
	v_cmp_eq_u32_e32 vcc_lo, 16, v0
	s_delay_alu instid0(VALU_DEP_2) | instskip(SKIP_1) | instid1(VALU_DEP_2)
	v_cndmask_b32_e32 v32, v32, v18, vcc_lo
	v_cmp_eq_u32_e32 vcc_lo, 17, v0
	v_cndmask_b32_e32 v32, v32, v19, vcc_lo
	v_cmp_eq_u32_e32 vcc_lo, 18, v0
	s_delay_alu instid0(VALU_DEP_2) | instskip(SKIP_1) | instid1(VALU_DEP_2)
	v_cndmask_b32_e32 v32, v32, v20, vcc_lo
	v_cmp_eq_u32_e32 vcc_lo, 19, v0
	v_cndmask_b32_e32 v32, v32, v21, vcc_lo
	v_cmp_eq_u32_e32 vcc_lo, 20, v0
	s_delay_alu instid0(VALU_DEP_2) | instskip(SKIP_1) | instid1(VALU_DEP_2)
	v_cndmask_b32_e32 v32, v32, v22, vcc_lo
	v_cmp_eq_u32_e32 vcc_lo, 21, v0
	v_cndmask_b32_e32 v32, v32, v23, vcc_lo
	v_cmp_eq_u32_e32 vcc_lo, 22, v0
	s_delay_alu instid0(VALU_DEP_2) | instskip(SKIP_1) | instid1(VALU_DEP_2)
	v_cndmask_b32_e32 v32, v32, v24, vcc_lo
	v_cmp_eq_u32_e32 vcc_lo, 23, v0
	v_cndmask_b32_e32 v32, v32, v25, vcc_lo
	v_cmp_eq_u32_e32 vcc_lo, 24, v0
	s_delay_alu instid0(VALU_DEP_2) | instskip(SKIP_1) | instid1(VALU_DEP_2)
	v_cndmask_b32_e32 v32, v32, v26, vcc_lo
	v_cmp_eq_u32_e32 vcc_lo, 25, v0
	v_cndmask_b32_e32 v32, v32, v27, vcc_lo
	v_cmp_eq_u32_e32 vcc_lo, 26, v0
	s_delay_alu instid0(VALU_DEP_2) | instskip(SKIP_1) | instid1(VALU_DEP_2)
	v_cndmask_b32_e32 v32, v32, v28, vcc_lo
	v_cmp_eq_u32_e32 vcc_lo, 27, v0
	v_cndmask_b32_e32 v32, v32, v29, vcc_lo
	v_cmp_eq_u32_e32 vcc_lo, 28, v0
	s_delay_alu instid0(VALU_DEP_2) | instskip(SKIP_1) | instid1(VALU_DEP_2)
	v_cndmask_b32_e32 v32, v32, v30, vcc_lo
	v_cmp_eq_u32_e32 vcc_lo, 29, v0
	v_cndmask_b32_e32 v32, v32, v31, vcc_lo
	s_wait_dscnt 0x0
	s_delay_alu instid0(VALU_DEP_1)
	v_mul_f32_e32 v36, v32, v33
	s_cbranch_execz .LBB29_504
	s_branch .LBB29_505
.LBB29_503:
                                        ; implicit-def: $vgpr36
.LBB29_504:
	ds_load_b32 v36, v129
.LBB29_505:
	s_mov_b32 s5, exec_lo
	v_cmpx_ne_u32_e32 6, v0
	s_cbranch_execz .LBB29_509
; %bb.506:
	v_mov_b64_e32 v[32:33], v[0:1]
	v_lshl_add_u32 v37, v0, 2, 0x84
	s_mov_b32 s6, 0
.LBB29_507:                             ; =>This Inner Loop Header: Depth=1
	s_delay_alu instid0(VALU_DEP_2)
	v_add_nc_u64_e32 v[32:33], 1, v[32:33]
	ds_load_b32 v39, v37
	v_add_nc_u32_e32 v37, 4, v37
	v_cmp_eq_u32_e32 vcc_lo, 1, v32
	v_cndmask_b32_e32 v38, v2, v3, vcc_lo
	v_cmp_eq_u32_e32 vcc_lo, 2, v32
	s_delay_alu instid0(VALU_DEP_2) | instskip(SKIP_1) | instid1(VALU_DEP_2)
	v_cndmask_b32_e32 v38, v38, v4, vcc_lo
	v_cmp_eq_u32_e32 vcc_lo, 3, v32
	v_cndmask_b32_e32 v38, v38, v5, vcc_lo
	v_cmp_eq_u32_e32 vcc_lo, 4, v32
	s_delay_alu instid0(VALU_DEP_2) | instskip(SKIP_1) | instid1(VALU_DEP_2)
	v_cndmask_b32_e32 v38, v38, v6, vcc_lo
	;; [unrolled: 5-line block ×14, first 2 shown]
	v_cmp_eq_u32_e32 vcc_lo, 29, v32
	v_cndmask_b32_e32 v38, v38, v31, vcc_lo
	v_cmp_lt_u32_e32 vcc_lo, 5, v32
	s_wait_dscnt 0x0
	s_delay_alu instid0(VALU_DEP_2) | instskip(SKIP_1) | instid1(SALU_CYCLE_1)
	v_fmac_f32_e32 v36, v38, v39
	s_or_b32 s6, vcc_lo, s6
	s_and_not1_b32 exec_lo, exec_lo, s6
	s_cbranch_execnz .LBB29_507
; %bb.508:
	s_or_b32 exec_lo, exec_lo, s6
.LBB29_509:
	s_delay_alu instid0(SALU_CYCLE_1)
	s_or_b32 exec_lo, exec_lo, s5
	v_mov_b32_e32 v9, 0
	ds_load_b32 v9, v9 offset:28
	s_wait_dscnt 0x0
	v_mul_f32_e32 v9, v36, v9
.LBB29_510:
	s_or_b32 exec_lo, exec_lo, s4
	s_delay_alu instid0(SALU_CYCLE_1)
	s_mov_b32 s4, exec_lo
	ds_store_b32 v129, v10
	s_wait_dscnt 0x0
	s_barrier_signal -1
	s_barrier_wait -1
	v_cmpx_gt_u32_e32 8, v0
	s_cbranch_execz .LBB29_520
; %bb.511:
	v_cmp_ne_u32_e32 vcc_lo, 1, v34
	s_cbranch_vccnz .LBB29_513
; %bb.512:
	v_cmp_eq_u32_e32 vcc_lo, 1, v0
	ds_load_b32 v33, v129
	v_cndmask_b32_e32 v32, v2, v3, vcc_lo
	v_cmp_eq_u32_e32 vcc_lo, 2, v0
	s_delay_alu instid0(VALU_DEP_2) | instskip(SKIP_1) | instid1(VALU_DEP_2)
	v_cndmask_b32_e32 v32, v32, v4, vcc_lo
	v_cmp_eq_u32_e32 vcc_lo, 3, v0
	v_cndmask_b32_e32 v32, v32, v5, vcc_lo
	v_cmp_eq_u32_e32 vcc_lo, 4, v0
	s_delay_alu instid0(VALU_DEP_2) | instskip(SKIP_1) | instid1(VALU_DEP_2)
	v_cndmask_b32_e32 v32, v32, v6, vcc_lo
	v_cmp_eq_u32_e32 vcc_lo, 5, v0
	;; [unrolled: 5-line block ×14, first 2 shown]
	v_cndmask_b32_e32 v32, v32, v31, vcc_lo
	s_wait_dscnt 0x0
	s_delay_alu instid0(VALU_DEP_1)
	v_mul_f32_e32 v36, v32, v33
	s_cbranch_execz .LBB29_514
	s_branch .LBB29_515
.LBB29_513:
                                        ; implicit-def: $vgpr36
.LBB29_514:
	ds_load_b32 v36, v129
.LBB29_515:
	s_mov_b32 s5, exec_lo
	v_cmpx_ne_u32_e32 7, v0
	s_cbranch_execz .LBB29_519
; %bb.516:
	v_mov_b64_e32 v[32:33], v[0:1]
	v_lshl_add_u32 v37, v0, 2, 0x84
	s_mov_b32 s6, 0
.LBB29_517:                             ; =>This Inner Loop Header: Depth=1
	s_delay_alu instid0(VALU_DEP_2)
	v_add_nc_u64_e32 v[32:33], 1, v[32:33]
	ds_load_b32 v39, v37
	v_add_nc_u32_e32 v37, 4, v37
	v_cmp_eq_u32_e32 vcc_lo, 1, v32
	v_cndmask_b32_e32 v38, v2, v3, vcc_lo
	v_cmp_eq_u32_e32 vcc_lo, 2, v32
	s_delay_alu instid0(VALU_DEP_2) | instskip(SKIP_1) | instid1(VALU_DEP_2)
	v_cndmask_b32_e32 v38, v38, v4, vcc_lo
	v_cmp_eq_u32_e32 vcc_lo, 3, v32
	v_cndmask_b32_e32 v38, v38, v5, vcc_lo
	v_cmp_eq_u32_e32 vcc_lo, 4, v32
	s_delay_alu instid0(VALU_DEP_2) | instskip(SKIP_1) | instid1(VALU_DEP_2)
	v_cndmask_b32_e32 v38, v38, v6, vcc_lo
	;; [unrolled: 5-line block ×14, first 2 shown]
	v_cmp_eq_u32_e32 vcc_lo, 29, v32
	v_cndmask_b32_e32 v38, v38, v31, vcc_lo
	v_cmp_lt_u32_e32 vcc_lo, 6, v32
	s_wait_dscnt 0x0
	s_delay_alu instid0(VALU_DEP_2) | instskip(SKIP_1) | instid1(SALU_CYCLE_1)
	v_fmac_f32_e32 v36, v38, v39
	s_or_b32 s6, vcc_lo, s6
	s_and_not1_b32 exec_lo, exec_lo, s6
	s_cbranch_execnz .LBB29_517
; %bb.518:
	s_or_b32 exec_lo, exec_lo, s6
.LBB29_519:
	s_delay_alu instid0(SALU_CYCLE_1)
	s_or_b32 exec_lo, exec_lo, s5
	v_mov_b32_e32 v10, 0
	ds_load_b32 v10, v10 offset:32
	s_wait_dscnt 0x0
	v_mul_f32_e32 v10, v36, v10
.LBB29_520:
	s_or_b32 exec_lo, exec_lo, s4
	s_delay_alu instid0(SALU_CYCLE_1)
	s_mov_b32 s4, exec_lo
	ds_store_b32 v129, v11
	s_wait_dscnt 0x0
	s_barrier_signal -1
	s_barrier_wait -1
	v_cmpx_gt_u32_e32 9, v0
	s_cbranch_execz .LBB29_542
; %bb.521:
	v_cmp_ne_u32_e32 vcc_lo, 1, v34
	s_cbranch_vccnz .LBB29_523
; %bb.522:
	v_cmp_eq_u32_e32 vcc_lo, 1, v0
	ds_load_b32 v33, v129
	v_cndmask_b32_e32 v32, v2, v3, vcc_lo
	v_cmp_eq_u32_e32 vcc_lo, 2, v0
	s_delay_alu instid0(VALU_DEP_2) | instskip(SKIP_1) | instid1(VALU_DEP_2)
	v_cndmask_b32_e32 v32, v32, v4, vcc_lo
	v_cmp_eq_u32_e32 vcc_lo, 3, v0
	v_cndmask_b32_e32 v32, v32, v5, vcc_lo
	v_cmp_eq_u32_e32 vcc_lo, 4, v0
	s_delay_alu instid0(VALU_DEP_2) | instskip(SKIP_1) | instid1(VALU_DEP_2)
	v_cndmask_b32_e32 v32, v32, v6, vcc_lo
	v_cmp_eq_u32_e32 vcc_lo, 5, v0
	;; [unrolled: 5-line block ×14, first 2 shown]
	v_cndmask_b32_e32 v32, v32, v31, vcc_lo
	s_wait_dscnt 0x0
	s_delay_alu instid0(VALU_DEP_1)
	v_mul_f32_e32 v32, v32, v33
	s_cbranch_execz .LBB29_524
	s_branch .LBB29_525
.LBB29_523:
                                        ; implicit-def: $vgpr32
.LBB29_524:
	ds_load_b32 v32, v129
.LBB29_525:
	s_mov_b32 s5, exec_lo
	v_cmpx_ne_u32_e32 8, v0
	s_cbranch_execz .LBB29_541
; %bb.526:
	v_cmp_eq_u32_e32 vcc_lo, 1, v35
	ds_load_b32 v36, v129 offset:4
	v_cndmask_b32_e32 v33, v2, v3, vcc_lo
	v_cmp_eq_u32_e32 vcc_lo, 2, v35
	s_delay_alu instid0(VALU_DEP_2) | instskip(SKIP_1) | instid1(VALU_DEP_2)
	v_cndmask_b32_e32 v33, v33, v4, vcc_lo
	v_cmp_eq_u32_e32 vcc_lo, 3, v35
	v_cndmask_b32_e32 v33, v33, v5, vcc_lo
	v_cmp_eq_u32_e32 vcc_lo, 4, v35
	s_delay_alu instid0(VALU_DEP_2) | instskip(SKIP_1) | instid1(VALU_DEP_2)
	v_cndmask_b32_e32 v33, v33, v6, vcc_lo
	v_cmp_eq_u32_e32 vcc_lo, 5, v35
	;; [unrolled: 5-line block ×14, first 2 shown]
	v_cndmask_b32_e32 v33, v33, v31, vcc_lo
	s_wait_dscnt 0x0
	s_delay_alu instid0(VALU_DEP_1)
	v_fmac_f32_e32 v32, v33, v36
	s_and_saveexec_b32 s6, s3
	s_cbranch_execz .LBB29_540
; %bb.527:
	v_add_nc_u32_e32 v33, 2, v0
	ds_load_b32 v36, v129 offset:8
	s_mov_b32 s3, exec_lo
	v_cmp_eq_u32_e32 vcc_lo, 1, v33
	v_cndmask_b32_e32 v35, v2, v3, vcc_lo
	v_cmp_eq_u32_e32 vcc_lo, 2, v33
	s_delay_alu instid0(VALU_DEP_2) | instskip(SKIP_1) | instid1(VALU_DEP_2)
	v_cndmask_b32_e32 v35, v35, v4, vcc_lo
	v_cmp_eq_u32_e32 vcc_lo, 3, v33
	v_cndmask_b32_e32 v35, v35, v5, vcc_lo
	v_cmp_eq_u32_e32 vcc_lo, 4, v33
	s_delay_alu instid0(VALU_DEP_2) | instskip(SKIP_1) | instid1(VALU_DEP_2)
	v_cndmask_b32_e32 v35, v35, v6, vcc_lo
	;; [unrolled: 5-line block ×14, first 2 shown]
	v_cmp_eq_u32_e32 vcc_lo, 29, v33
	v_cndmask_b32_e32 v33, v35, v31, vcc_lo
	s_wait_dscnt 0x0
	s_delay_alu instid0(VALU_DEP_1)
	v_fmac_f32_e32 v32, v33, v36
	v_cmpx_ne_u32_e32 6, v0
	s_cbranch_execz .LBB29_539
; %bb.528:
	v_add_nc_u32_e32 v33, 3, v0
	ds_load_b32 v36, v129 offset:12
	v_cmp_eq_u32_e32 vcc_lo, 1, v33
	v_cndmask_b32_e32 v35, v2, v3, vcc_lo
	v_cmp_eq_u32_e32 vcc_lo, 2, v33
	s_delay_alu instid0(VALU_DEP_2) | instskip(SKIP_1) | instid1(VALU_DEP_2)
	v_cndmask_b32_e32 v35, v35, v4, vcc_lo
	v_cmp_eq_u32_e32 vcc_lo, 3, v33
	v_cndmask_b32_e32 v35, v35, v5, vcc_lo
	v_cmp_eq_u32_e32 vcc_lo, 4, v33
	s_delay_alu instid0(VALU_DEP_2) | instskip(SKIP_1) | instid1(VALU_DEP_2)
	v_cndmask_b32_e32 v35, v35, v6, vcc_lo
	;; [unrolled: 5-line block ×14, first 2 shown]
	v_cmp_eq_u32_e32 vcc_lo, 29, v33
	v_cndmask_b32_e32 v33, v35, v31, vcc_lo
	s_wait_dscnt 0x0
	s_delay_alu instid0(VALU_DEP_1)
	v_fmac_f32_e32 v32, v33, v36
	s_and_saveexec_b32 s7, s2
	s_cbranch_execz .LBB29_538
; %bb.529:
	v_add_nc_u32_e32 v33, 4, v0
	ds_load_b32 v36, v129 offset:16
	s_mov_b32 s2, exec_lo
	v_cmp_eq_u32_e32 vcc_lo, 1, v33
	v_cndmask_b32_e32 v35, v2, v3, vcc_lo
	v_cmp_eq_u32_e32 vcc_lo, 2, v33
	s_delay_alu instid0(VALU_DEP_2) | instskip(SKIP_1) | instid1(VALU_DEP_2)
	v_cndmask_b32_e32 v35, v35, v4, vcc_lo
	v_cmp_eq_u32_e32 vcc_lo, 3, v33
	v_cndmask_b32_e32 v35, v35, v5, vcc_lo
	v_cmp_eq_u32_e32 vcc_lo, 4, v33
	s_delay_alu instid0(VALU_DEP_2) | instskip(SKIP_1) | instid1(VALU_DEP_2)
	v_cndmask_b32_e32 v35, v35, v6, vcc_lo
	;; [unrolled: 5-line block ×14, first 2 shown]
	v_cmp_eq_u32_e32 vcc_lo, 29, v33
	v_cndmask_b32_e32 v33, v35, v31, vcc_lo
	s_wait_dscnt 0x0
	s_delay_alu instid0(VALU_DEP_1)
	v_fmac_f32_e32 v32, v33, v36
	v_cmpx_ne_u32_e32 4, v0
	s_cbranch_execz .LBB29_537
; %bb.530:
	v_add_nc_u32_e32 v33, 5, v0
	ds_load_b32 v36, v129 offset:20
	v_cmp_eq_u32_e32 vcc_lo, 1, v33
	v_cndmask_b32_e32 v35, v2, v3, vcc_lo
	v_cmp_eq_u32_e32 vcc_lo, 2, v33
	s_delay_alu instid0(VALU_DEP_2) | instskip(SKIP_1) | instid1(VALU_DEP_2)
	v_cndmask_b32_e32 v35, v35, v4, vcc_lo
	v_cmp_eq_u32_e32 vcc_lo, 3, v33
	v_cndmask_b32_e32 v35, v35, v5, vcc_lo
	v_cmp_eq_u32_e32 vcc_lo, 4, v33
	s_delay_alu instid0(VALU_DEP_2) | instskip(SKIP_1) | instid1(VALU_DEP_2)
	v_cndmask_b32_e32 v35, v35, v6, vcc_lo
	;; [unrolled: 5-line block ×14, first 2 shown]
	v_cmp_eq_u32_e32 vcc_lo, 29, v33
	v_cndmask_b32_e32 v33, v35, v31, vcc_lo
	s_wait_dscnt 0x0
	s_delay_alu instid0(VALU_DEP_1)
	v_fmac_f32_e32 v32, v33, v36
	s_and_saveexec_b32 s8, s1
	s_cbranch_execz .LBB29_536
; %bb.531:
	v_add_nc_u32_e32 v33, 6, v0
	ds_load_b32 v36, v129 offset:24
	s_mov_b32 s1, exec_lo
	v_cmp_eq_u32_e32 vcc_lo, 1, v33
	v_cndmask_b32_e32 v35, v2, v3, vcc_lo
	v_cmp_eq_u32_e32 vcc_lo, 2, v33
	s_delay_alu instid0(VALU_DEP_2) | instskip(SKIP_1) | instid1(VALU_DEP_2)
	v_cndmask_b32_e32 v35, v35, v4, vcc_lo
	v_cmp_eq_u32_e32 vcc_lo, 3, v33
	v_cndmask_b32_e32 v35, v35, v5, vcc_lo
	v_cmp_eq_u32_e32 vcc_lo, 4, v33
	s_delay_alu instid0(VALU_DEP_2) | instskip(SKIP_1) | instid1(VALU_DEP_2)
	v_cndmask_b32_e32 v35, v35, v6, vcc_lo
	;; [unrolled: 5-line block ×14, first 2 shown]
	v_cmp_eq_u32_e32 vcc_lo, 29, v33
	v_cndmask_b32_e32 v33, v35, v31, vcc_lo
	s_wait_dscnt 0x0
	s_delay_alu instid0(VALU_DEP_1)
	v_fmac_f32_e32 v32, v33, v36
	v_cmpx_ne_u32_e32 2, v0
	s_cbranch_execz .LBB29_535
; %bb.532:
	v_add_nc_u32_e32 v33, 7, v0
	s_delay_alu instid0(VALU_DEP_1) | instskip(SKIP_2) | instid1(VALU_DEP_2)
	v_cmp_eq_u32_e32 vcc_lo, 1, v33
	v_cndmask_b32_e32 v35, v2, v3, vcc_lo
	v_cmp_eq_u32_e32 vcc_lo, 2, v33
	v_cndmask_b32_e32 v35, v35, v4, vcc_lo
	v_cmp_eq_u32_e32 vcc_lo, 3, v33
	s_delay_alu instid0(VALU_DEP_2) | instskip(SKIP_1) | instid1(VALU_DEP_2)
	v_cndmask_b32_e32 v35, v35, v5, vcc_lo
	v_cmp_eq_u32_e32 vcc_lo, 4, v33
	v_cndmask_b32_e32 v35, v35, v6, vcc_lo
	v_cmp_eq_u32_e32 vcc_lo, 5, v33
	s_delay_alu instid0(VALU_DEP_2) | instskip(SKIP_1) | instid1(VALU_DEP_2)
	;; [unrolled: 5-line block ×3, first 2 shown]
	v_cndmask_b32_e32 v35, v35, v9, vcc_lo
	v_cmp_eq_u32_e32 vcc_lo, 8, v33
	v_cndmask_b32_e32 v35, v35, v10, vcc_lo
	v_cmp_eq_u32_e32 vcc_lo, 9, v33
	s_delay_alu instid0(VALU_DEP_2) | instskip(SKIP_4) | instid1(VALU_DEP_2)
	v_cndmask_b32_e32 v11, v35, v11, vcc_lo
	v_cmp_eq_u32_e32 vcc_lo, 10, v33
	ds_load_b32 v35, v129 offset:28
	v_cndmask_b32_e32 v11, v11, v12, vcc_lo
	v_cmp_eq_u32_e32 vcc_lo, 11, v33
	v_cndmask_b32_e32 v11, v11, v13, vcc_lo
	v_cmp_eq_u32_e32 vcc_lo, 12, v33
	s_delay_alu instid0(VALU_DEP_2) | instskip(SKIP_1) | instid1(VALU_DEP_2)
	v_cndmask_b32_e32 v11, v11, v14, vcc_lo
	v_cmp_eq_u32_e32 vcc_lo, 13, v33
	v_cndmask_b32_e32 v11, v11, v15, vcc_lo
	v_cmp_eq_u32_e32 vcc_lo, 14, v33
	s_delay_alu instid0(VALU_DEP_2) | instskip(SKIP_1) | instid1(VALU_DEP_2)
	;; [unrolled: 5-line block ×9, first 2 shown]
	v_cndmask_b32_e32 v11, v11, v30, vcc_lo
	v_cmp_eq_u32_e32 vcc_lo, 29, v33
	v_cndmask_b32_e32 v11, v11, v31, vcc_lo
	s_wait_dscnt 0x0
	s_delay_alu instid0(VALU_DEP_1)
	v_fmac_f32_e32 v32, v11, v35
	s_and_saveexec_b32 s9, s0
	s_cbranch_execz .LBB29_534
; %bb.533:
	ds_load_b32 v11, v129 offset:32
	s_wait_dscnt 0x0
	v_fmac_f32_e32 v32, v10, v11
.LBB29_534:
	s_or_b32 exec_lo, exec_lo, s9
.LBB29_535:
	s_delay_alu instid0(SALU_CYCLE_1)
	s_or_b32 exec_lo, exec_lo, s1
.LBB29_536:
	s_delay_alu instid0(SALU_CYCLE_1)
	s_or_b32 exec_lo, exec_lo, s8
.LBB29_537:
	s_delay_alu instid0(SALU_CYCLE_1)
	s_or_b32 exec_lo, exec_lo, s2
.LBB29_538:
	s_delay_alu instid0(SALU_CYCLE_1)
	s_or_b32 exec_lo, exec_lo, s7
.LBB29_539:
	s_delay_alu instid0(SALU_CYCLE_1)
	s_or_b32 exec_lo, exec_lo, s3
.LBB29_540:
	s_delay_alu instid0(SALU_CYCLE_1)
	s_or_b32 exec_lo, exec_lo, s6
.LBB29_541:
	s_delay_alu instid0(SALU_CYCLE_1)
	s_or_b32 exec_lo, exec_lo, s5
	v_mov_b32_e32 v11, 0
	ds_load_b32 v11, v11 offset:36
	s_wait_dscnt 0x0
	v_mul_f32_e32 v11, v32, v11
.LBB29_542:
	s_or_b32 exec_lo, exec_lo, s4
	s_delay_alu instid0(SALU_CYCLE_1)
	s_mov_b32 s0, exec_lo
	ds_store_b32 v129, v12
	s_wait_dscnt 0x0
	s_barrier_signal -1
	s_barrier_wait -1
	v_cmpx_gt_u32_e32 10, v0
	s_cbranch_execz .LBB29_552
; %bb.543:
	v_cmp_ne_u32_e32 vcc_lo, 1, v34
	s_cbranch_vccnz .LBB29_545
; %bb.544:
	v_cmp_eq_u32_e32 vcc_lo, 1, v0
	ds_load_b32 v33, v129
	v_cndmask_b32_e32 v32, v2, v3, vcc_lo
	v_cmp_eq_u32_e32 vcc_lo, 2, v0
	s_delay_alu instid0(VALU_DEP_2) | instskip(SKIP_1) | instid1(VALU_DEP_2)
	v_cndmask_b32_e32 v32, v32, v4, vcc_lo
	v_cmp_eq_u32_e32 vcc_lo, 3, v0
	v_cndmask_b32_e32 v32, v32, v5, vcc_lo
	v_cmp_eq_u32_e32 vcc_lo, 4, v0
	s_delay_alu instid0(VALU_DEP_2) | instskip(SKIP_1) | instid1(VALU_DEP_2)
	v_cndmask_b32_e32 v32, v32, v6, vcc_lo
	v_cmp_eq_u32_e32 vcc_lo, 5, v0
	;; [unrolled: 5-line block ×14, first 2 shown]
	v_cndmask_b32_e32 v32, v32, v31, vcc_lo
	s_wait_dscnt 0x0
	s_delay_alu instid0(VALU_DEP_1)
	v_mul_f32_e32 v35, v32, v33
	s_cbranch_execz .LBB29_546
	s_branch .LBB29_547
.LBB29_545:
                                        ; implicit-def: $vgpr35
.LBB29_546:
	ds_load_b32 v35, v129
.LBB29_547:
	s_mov_b32 s1, exec_lo
	v_cmpx_ne_u32_e32 9, v0
	s_cbranch_execz .LBB29_551
; %bb.548:
	v_mov_b64_e32 v[32:33], v[0:1]
	v_lshl_add_u32 v36, v0, 2, 0x84
	s_mov_b32 s2, 0
.LBB29_549:                             ; =>This Inner Loop Header: Depth=1
	s_delay_alu instid0(VALU_DEP_2)
	v_add_nc_u64_e32 v[32:33], 1, v[32:33]
	ds_load_b32 v38, v36
	v_add_nc_u32_e32 v36, 4, v36
	v_cmp_eq_u32_e32 vcc_lo, 1, v32
	v_cndmask_b32_e32 v37, v2, v3, vcc_lo
	v_cmp_eq_u32_e32 vcc_lo, 2, v32
	s_delay_alu instid0(VALU_DEP_2) | instskip(SKIP_1) | instid1(VALU_DEP_2)
	v_cndmask_b32_e32 v37, v37, v4, vcc_lo
	v_cmp_eq_u32_e32 vcc_lo, 3, v32
	v_cndmask_b32_e32 v37, v37, v5, vcc_lo
	v_cmp_eq_u32_e32 vcc_lo, 4, v32
	s_delay_alu instid0(VALU_DEP_2) | instskip(SKIP_1) | instid1(VALU_DEP_2)
	v_cndmask_b32_e32 v37, v37, v6, vcc_lo
	;; [unrolled: 5-line block ×14, first 2 shown]
	v_cmp_eq_u32_e32 vcc_lo, 29, v32
	v_cndmask_b32_e32 v37, v37, v31, vcc_lo
	v_cmp_lt_u32_e32 vcc_lo, 8, v32
	s_wait_dscnt 0x0
	s_delay_alu instid0(VALU_DEP_2) | instskip(SKIP_1) | instid1(SALU_CYCLE_1)
	v_fmac_f32_e32 v35, v37, v38
	s_or_b32 s2, vcc_lo, s2
	s_and_not1_b32 exec_lo, exec_lo, s2
	s_cbranch_execnz .LBB29_549
; %bb.550:
	s_or_b32 exec_lo, exec_lo, s2
.LBB29_551:
	s_delay_alu instid0(SALU_CYCLE_1)
	s_or_b32 exec_lo, exec_lo, s1
	v_mov_b32_e32 v12, 0
	ds_load_b32 v12, v12 offset:40
	s_wait_dscnt 0x0
	v_mul_f32_e32 v12, v35, v12
.LBB29_552:
	s_or_b32 exec_lo, exec_lo, s0
	s_delay_alu instid0(SALU_CYCLE_1)
	s_mov_b32 s0, exec_lo
	ds_store_b32 v129, v13
	s_wait_dscnt 0x0
	s_barrier_signal -1
	s_barrier_wait -1
	v_cmpx_gt_u32_e32 11, v0
	s_cbranch_execz .LBB29_562
; %bb.553:
	v_cmp_ne_u32_e32 vcc_lo, 1, v34
	s_cbranch_vccnz .LBB29_555
; %bb.554:
	v_cmp_eq_u32_e32 vcc_lo, 1, v0
	ds_load_b32 v33, v129
	v_cndmask_b32_e32 v32, v2, v3, vcc_lo
	v_cmp_eq_u32_e32 vcc_lo, 2, v0
	s_delay_alu instid0(VALU_DEP_2) | instskip(SKIP_1) | instid1(VALU_DEP_2)
	v_cndmask_b32_e32 v32, v32, v4, vcc_lo
	v_cmp_eq_u32_e32 vcc_lo, 3, v0
	v_cndmask_b32_e32 v32, v32, v5, vcc_lo
	v_cmp_eq_u32_e32 vcc_lo, 4, v0
	s_delay_alu instid0(VALU_DEP_2) | instskip(SKIP_1) | instid1(VALU_DEP_2)
	v_cndmask_b32_e32 v32, v32, v6, vcc_lo
	v_cmp_eq_u32_e32 vcc_lo, 5, v0
	;; [unrolled: 5-line block ×14, first 2 shown]
	v_cndmask_b32_e32 v32, v32, v31, vcc_lo
	s_wait_dscnt 0x0
	s_delay_alu instid0(VALU_DEP_1)
	v_mul_f32_e32 v35, v32, v33
	s_cbranch_execz .LBB29_556
	s_branch .LBB29_557
.LBB29_555:
                                        ; implicit-def: $vgpr35
.LBB29_556:
	ds_load_b32 v35, v129
.LBB29_557:
	s_mov_b32 s1, exec_lo
	v_cmpx_ne_u32_e32 10, v0
	s_cbranch_execz .LBB29_561
; %bb.558:
	v_mov_b64_e32 v[32:33], v[0:1]
	v_lshl_add_u32 v36, v0, 2, 0x84
	s_mov_b32 s2, 0
.LBB29_559:                             ; =>This Inner Loop Header: Depth=1
	s_delay_alu instid0(VALU_DEP_2)
	v_add_nc_u64_e32 v[32:33], 1, v[32:33]
	ds_load_b32 v38, v36
	v_add_nc_u32_e32 v36, 4, v36
	v_cmp_eq_u32_e32 vcc_lo, 1, v32
	v_cndmask_b32_e32 v37, v2, v3, vcc_lo
	v_cmp_eq_u32_e32 vcc_lo, 2, v32
	s_delay_alu instid0(VALU_DEP_2) | instskip(SKIP_1) | instid1(VALU_DEP_2)
	v_cndmask_b32_e32 v37, v37, v4, vcc_lo
	v_cmp_eq_u32_e32 vcc_lo, 3, v32
	v_cndmask_b32_e32 v37, v37, v5, vcc_lo
	v_cmp_eq_u32_e32 vcc_lo, 4, v32
	s_delay_alu instid0(VALU_DEP_2) | instskip(SKIP_1) | instid1(VALU_DEP_2)
	v_cndmask_b32_e32 v37, v37, v6, vcc_lo
	;; [unrolled: 5-line block ×14, first 2 shown]
	v_cmp_eq_u32_e32 vcc_lo, 29, v32
	v_cndmask_b32_e32 v37, v37, v31, vcc_lo
	v_cmp_lt_u32_e32 vcc_lo, 9, v32
	s_wait_dscnt 0x0
	s_delay_alu instid0(VALU_DEP_2) | instskip(SKIP_1) | instid1(SALU_CYCLE_1)
	v_fmac_f32_e32 v35, v37, v38
	s_or_b32 s2, vcc_lo, s2
	s_and_not1_b32 exec_lo, exec_lo, s2
	s_cbranch_execnz .LBB29_559
; %bb.560:
	s_or_b32 exec_lo, exec_lo, s2
.LBB29_561:
	s_delay_alu instid0(SALU_CYCLE_1)
	s_or_b32 exec_lo, exec_lo, s1
	v_mov_b32_e32 v13, 0
	ds_load_b32 v13, v13 offset:44
	s_wait_dscnt 0x0
	v_mul_f32_e32 v13, v35, v13
.LBB29_562:
	s_or_b32 exec_lo, exec_lo, s0
	s_delay_alu instid0(SALU_CYCLE_1)
	s_mov_b32 s0, exec_lo
	ds_store_b32 v129, v14
	s_wait_dscnt 0x0
	s_barrier_signal -1
	s_barrier_wait -1
	v_cmpx_gt_u32_e32 12, v0
	s_cbranch_execz .LBB29_572
; %bb.563:
	v_cmp_ne_u32_e32 vcc_lo, 1, v34
	s_cbranch_vccnz .LBB29_565
; %bb.564:
	v_cmp_eq_u32_e32 vcc_lo, 1, v0
	ds_load_b32 v33, v129
	v_cndmask_b32_e32 v32, v2, v3, vcc_lo
	v_cmp_eq_u32_e32 vcc_lo, 2, v0
	s_delay_alu instid0(VALU_DEP_2) | instskip(SKIP_1) | instid1(VALU_DEP_2)
	v_cndmask_b32_e32 v32, v32, v4, vcc_lo
	v_cmp_eq_u32_e32 vcc_lo, 3, v0
	v_cndmask_b32_e32 v32, v32, v5, vcc_lo
	v_cmp_eq_u32_e32 vcc_lo, 4, v0
	s_delay_alu instid0(VALU_DEP_2) | instskip(SKIP_1) | instid1(VALU_DEP_2)
	v_cndmask_b32_e32 v32, v32, v6, vcc_lo
	v_cmp_eq_u32_e32 vcc_lo, 5, v0
	;; [unrolled: 5-line block ×14, first 2 shown]
	v_cndmask_b32_e32 v32, v32, v31, vcc_lo
	s_wait_dscnt 0x0
	s_delay_alu instid0(VALU_DEP_1)
	v_mul_f32_e32 v35, v32, v33
	s_cbranch_execz .LBB29_566
	s_branch .LBB29_567
.LBB29_565:
                                        ; implicit-def: $vgpr35
.LBB29_566:
	ds_load_b32 v35, v129
.LBB29_567:
	s_mov_b32 s1, exec_lo
	v_cmpx_ne_u32_e32 11, v0
	s_cbranch_execz .LBB29_571
; %bb.568:
	v_mov_b64_e32 v[32:33], v[0:1]
	v_lshl_add_u32 v36, v0, 2, 0x84
	s_mov_b32 s2, 0
.LBB29_569:                             ; =>This Inner Loop Header: Depth=1
	s_delay_alu instid0(VALU_DEP_2)
	v_add_nc_u64_e32 v[32:33], 1, v[32:33]
	ds_load_b32 v38, v36
	v_add_nc_u32_e32 v36, 4, v36
	v_cmp_eq_u32_e32 vcc_lo, 1, v32
	v_cndmask_b32_e32 v37, v2, v3, vcc_lo
	v_cmp_eq_u32_e32 vcc_lo, 2, v32
	s_delay_alu instid0(VALU_DEP_2) | instskip(SKIP_1) | instid1(VALU_DEP_2)
	v_cndmask_b32_e32 v37, v37, v4, vcc_lo
	v_cmp_eq_u32_e32 vcc_lo, 3, v32
	v_cndmask_b32_e32 v37, v37, v5, vcc_lo
	v_cmp_eq_u32_e32 vcc_lo, 4, v32
	s_delay_alu instid0(VALU_DEP_2) | instskip(SKIP_1) | instid1(VALU_DEP_2)
	v_cndmask_b32_e32 v37, v37, v6, vcc_lo
	v_cmp_eq_u32_e32 vcc_lo, 5, v32
	v_cndmask_b32_e32 v37, v37, v7, vcc_lo
	v_cmp_eq_u32_e32 vcc_lo, 6, v32
	s_delay_alu instid0(VALU_DEP_2) | instskip(SKIP_1) | instid1(VALU_DEP_2)
	v_cndmask_b32_e32 v37, v37, v8, vcc_lo
	v_cmp_eq_u32_e32 vcc_lo, 7, v32
	v_cndmask_b32_e32 v37, v37, v9, vcc_lo
	v_cmp_eq_u32_e32 vcc_lo, 8, v32
	s_delay_alu instid0(VALU_DEP_2) | instskip(SKIP_1) | instid1(VALU_DEP_2)
	v_cndmask_b32_e32 v37, v37, v10, vcc_lo
	v_cmp_eq_u32_e32 vcc_lo, 9, v32
	v_cndmask_b32_e32 v37, v37, v11, vcc_lo
	v_cmp_eq_u32_e32 vcc_lo, 10, v32
	s_delay_alu instid0(VALU_DEP_2) | instskip(SKIP_1) | instid1(VALU_DEP_2)
	v_cndmask_b32_e32 v37, v37, v12, vcc_lo
	v_cmp_eq_u32_e32 vcc_lo, 11, v32
	v_cndmask_b32_e32 v37, v37, v13, vcc_lo
	v_cmp_eq_u32_e32 vcc_lo, 12, v32
	s_delay_alu instid0(VALU_DEP_2) | instskip(SKIP_1) | instid1(VALU_DEP_2)
	v_cndmask_b32_e32 v37, v37, v14, vcc_lo
	v_cmp_eq_u32_e32 vcc_lo, 13, v32
	v_cndmask_b32_e32 v37, v37, v15, vcc_lo
	v_cmp_eq_u32_e32 vcc_lo, 14, v32
	s_delay_alu instid0(VALU_DEP_2) | instskip(SKIP_1) | instid1(VALU_DEP_2)
	v_cndmask_b32_e32 v37, v37, v16, vcc_lo
	v_cmp_eq_u32_e32 vcc_lo, 15, v32
	v_cndmask_b32_e32 v37, v37, v17, vcc_lo
	v_cmp_eq_u32_e32 vcc_lo, 16, v32
	s_delay_alu instid0(VALU_DEP_2) | instskip(SKIP_1) | instid1(VALU_DEP_2)
	v_cndmask_b32_e32 v37, v37, v18, vcc_lo
	v_cmp_eq_u32_e32 vcc_lo, 17, v32
	v_cndmask_b32_e32 v37, v37, v19, vcc_lo
	v_cmp_eq_u32_e32 vcc_lo, 18, v32
	s_delay_alu instid0(VALU_DEP_2) | instskip(SKIP_1) | instid1(VALU_DEP_2)
	v_cndmask_b32_e32 v37, v37, v20, vcc_lo
	v_cmp_eq_u32_e32 vcc_lo, 19, v32
	v_cndmask_b32_e32 v37, v37, v21, vcc_lo
	v_cmp_eq_u32_e32 vcc_lo, 20, v32
	s_delay_alu instid0(VALU_DEP_2) | instskip(SKIP_1) | instid1(VALU_DEP_2)
	v_cndmask_b32_e32 v37, v37, v22, vcc_lo
	v_cmp_eq_u32_e32 vcc_lo, 21, v32
	v_cndmask_b32_e32 v37, v37, v23, vcc_lo
	v_cmp_eq_u32_e32 vcc_lo, 22, v32
	s_delay_alu instid0(VALU_DEP_2) | instskip(SKIP_1) | instid1(VALU_DEP_2)
	v_cndmask_b32_e32 v37, v37, v24, vcc_lo
	v_cmp_eq_u32_e32 vcc_lo, 23, v32
	v_cndmask_b32_e32 v37, v37, v25, vcc_lo
	v_cmp_eq_u32_e32 vcc_lo, 24, v32
	s_delay_alu instid0(VALU_DEP_2) | instskip(SKIP_1) | instid1(VALU_DEP_2)
	v_cndmask_b32_e32 v37, v37, v26, vcc_lo
	v_cmp_eq_u32_e32 vcc_lo, 25, v32
	v_cndmask_b32_e32 v37, v37, v27, vcc_lo
	v_cmp_eq_u32_e32 vcc_lo, 26, v32
	s_delay_alu instid0(VALU_DEP_2) | instskip(SKIP_1) | instid1(VALU_DEP_2)
	v_cndmask_b32_e32 v37, v37, v28, vcc_lo
	v_cmp_eq_u32_e32 vcc_lo, 27, v32
	v_cndmask_b32_e32 v37, v37, v29, vcc_lo
	v_cmp_eq_u32_e32 vcc_lo, 28, v32
	s_delay_alu instid0(VALU_DEP_2) | instskip(SKIP_1) | instid1(VALU_DEP_2)
	v_cndmask_b32_e32 v37, v37, v30, vcc_lo
	v_cmp_eq_u32_e32 vcc_lo, 29, v32
	v_cndmask_b32_e32 v37, v37, v31, vcc_lo
	v_cmp_lt_u32_e32 vcc_lo, 10, v32
	s_wait_dscnt 0x0
	s_delay_alu instid0(VALU_DEP_2) | instskip(SKIP_1) | instid1(SALU_CYCLE_1)
	v_fmac_f32_e32 v35, v37, v38
	s_or_b32 s2, vcc_lo, s2
	s_and_not1_b32 exec_lo, exec_lo, s2
	s_cbranch_execnz .LBB29_569
; %bb.570:
	s_or_b32 exec_lo, exec_lo, s2
.LBB29_571:
	s_delay_alu instid0(SALU_CYCLE_1)
	s_or_b32 exec_lo, exec_lo, s1
	v_mov_b32_e32 v14, 0
	ds_load_b32 v14, v14 offset:48
	s_wait_dscnt 0x0
	v_mul_f32_e32 v14, v35, v14
.LBB29_572:
	s_or_b32 exec_lo, exec_lo, s0
	s_delay_alu instid0(SALU_CYCLE_1)
	s_mov_b32 s0, exec_lo
	ds_store_b32 v129, v15
	s_wait_dscnt 0x0
	s_barrier_signal -1
	s_barrier_wait -1
	v_cmpx_gt_u32_e32 13, v0
	s_cbranch_execz .LBB29_582
; %bb.573:
	v_cmp_ne_u32_e32 vcc_lo, 1, v34
	s_cbranch_vccnz .LBB29_575
; %bb.574:
	v_cmp_eq_u32_e32 vcc_lo, 1, v0
	ds_load_b32 v33, v129
	v_cndmask_b32_e32 v32, v2, v3, vcc_lo
	v_cmp_eq_u32_e32 vcc_lo, 2, v0
	s_delay_alu instid0(VALU_DEP_2) | instskip(SKIP_1) | instid1(VALU_DEP_2)
	v_cndmask_b32_e32 v32, v32, v4, vcc_lo
	v_cmp_eq_u32_e32 vcc_lo, 3, v0
	v_cndmask_b32_e32 v32, v32, v5, vcc_lo
	v_cmp_eq_u32_e32 vcc_lo, 4, v0
	s_delay_alu instid0(VALU_DEP_2) | instskip(SKIP_1) | instid1(VALU_DEP_2)
	v_cndmask_b32_e32 v32, v32, v6, vcc_lo
	v_cmp_eq_u32_e32 vcc_lo, 5, v0
	;; [unrolled: 5-line block ×14, first 2 shown]
	v_cndmask_b32_e32 v32, v32, v31, vcc_lo
	s_wait_dscnt 0x0
	s_delay_alu instid0(VALU_DEP_1)
	v_mul_f32_e32 v35, v32, v33
	s_cbranch_execz .LBB29_576
	s_branch .LBB29_577
.LBB29_575:
                                        ; implicit-def: $vgpr35
.LBB29_576:
	ds_load_b32 v35, v129
.LBB29_577:
	s_mov_b32 s1, exec_lo
	v_cmpx_ne_u32_e32 12, v0
	s_cbranch_execz .LBB29_581
; %bb.578:
	v_mov_b64_e32 v[32:33], v[0:1]
	v_lshl_add_u32 v36, v0, 2, 0x84
	s_mov_b32 s2, 0
.LBB29_579:                             ; =>This Inner Loop Header: Depth=1
	s_delay_alu instid0(VALU_DEP_2)
	v_add_nc_u64_e32 v[32:33], 1, v[32:33]
	ds_load_b32 v38, v36
	v_add_nc_u32_e32 v36, 4, v36
	v_cmp_eq_u32_e32 vcc_lo, 1, v32
	v_cndmask_b32_e32 v37, v2, v3, vcc_lo
	v_cmp_eq_u32_e32 vcc_lo, 2, v32
	s_delay_alu instid0(VALU_DEP_2) | instskip(SKIP_1) | instid1(VALU_DEP_2)
	v_cndmask_b32_e32 v37, v37, v4, vcc_lo
	v_cmp_eq_u32_e32 vcc_lo, 3, v32
	v_cndmask_b32_e32 v37, v37, v5, vcc_lo
	v_cmp_eq_u32_e32 vcc_lo, 4, v32
	s_delay_alu instid0(VALU_DEP_2) | instskip(SKIP_1) | instid1(VALU_DEP_2)
	v_cndmask_b32_e32 v37, v37, v6, vcc_lo
	;; [unrolled: 5-line block ×14, first 2 shown]
	v_cmp_eq_u32_e32 vcc_lo, 29, v32
	v_cndmask_b32_e32 v37, v37, v31, vcc_lo
	v_cmp_lt_u32_e32 vcc_lo, 11, v32
	s_wait_dscnt 0x0
	s_delay_alu instid0(VALU_DEP_2) | instskip(SKIP_1) | instid1(SALU_CYCLE_1)
	v_fmac_f32_e32 v35, v37, v38
	s_or_b32 s2, vcc_lo, s2
	s_and_not1_b32 exec_lo, exec_lo, s2
	s_cbranch_execnz .LBB29_579
; %bb.580:
	s_or_b32 exec_lo, exec_lo, s2
.LBB29_581:
	s_delay_alu instid0(SALU_CYCLE_1)
	s_or_b32 exec_lo, exec_lo, s1
	v_mov_b32_e32 v15, 0
	ds_load_b32 v15, v15 offset:52
	s_wait_dscnt 0x0
	v_mul_f32_e32 v15, v35, v15
.LBB29_582:
	s_or_b32 exec_lo, exec_lo, s0
	s_delay_alu instid0(SALU_CYCLE_1)
	s_mov_b32 s0, exec_lo
	ds_store_b32 v129, v16
	s_wait_dscnt 0x0
	s_barrier_signal -1
	s_barrier_wait -1
	v_cmpx_gt_u32_e32 14, v0
	s_cbranch_execz .LBB29_592
; %bb.583:
	v_cmp_ne_u32_e32 vcc_lo, 1, v34
	s_cbranch_vccnz .LBB29_585
; %bb.584:
	v_cmp_eq_u32_e32 vcc_lo, 1, v0
	ds_load_b32 v33, v129
	v_cndmask_b32_e32 v32, v2, v3, vcc_lo
	v_cmp_eq_u32_e32 vcc_lo, 2, v0
	s_delay_alu instid0(VALU_DEP_2) | instskip(SKIP_1) | instid1(VALU_DEP_2)
	v_cndmask_b32_e32 v32, v32, v4, vcc_lo
	v_cmp_eq_u32_e32 vcc_lo, 3, v0
	v_cndmask_b32_e32 v32, v32, v5, vcc_lo
	v_cmp_eq_u32_e32 vcc_lo, 4, v0
	s_delay_alu instid0(VALU_DEP_2) | instskip(SKIP_1) | instid1(VALU_DEP_2)
	v_cndmask_b32_e32 v32, v32, v6, vcc_lo
	v_cmp_eq_u32_e32 vcc_lo, 5, v0
	;; [unrolled: 5-line block ×14, first 2 shown]
	v_cndmask_b32_e32 v32, v32, v31, vcc_lo
	s_wait_dscnt 0x0
	s_delay_alu instid0(VALU_DEP_1)
	v_mul_f32_e32 v35, v32, v33
	s_cbranch_execz .LBB29_586
	s_branch .LBB29_587
.LBB29_585:
                                        ; implicit-def: $vgpr35
.LBB29_586:
	ds_load_b32 v35, v129
.LBB29_587:
	s_mov_b32 s1, exec_lo
	v_cmpx_ne_u32_e32 13, v0
	s_cbranch_execz .LBB29_591
; %bb.588:
	v_mov_b64_e32 v[32:33], v[0:1]
	v_lshl_add_u32 v36, v0, 2, 0x84
	s_mov_b32 s2, 0
.LBB29_589:                             ; =>This Inner Loop Header: Depth=1
	s_delay_alu instid0(VALU_DEP_2)
	v_add_nc_u64_e32 v[32:33], 1, v[32:33]
	ds_load_b32 v38, v36
	v_add_nc_u32_e32 v36, 4, v36
	v_cmp_eq_u32_e32 vcc_lo, 1, v32
	v_cndmask_b32_e32 v37, v2, v3, vcc_lo
	v_cmp_eq_u32_e32 vcc_lo, 2, v32
	s_delay_alu instid0(VALU_DEP_2) | instskip(SKIP_1) | instid1(VALU_DEP_2)
	v_cndmask_b32_e32 v37, v37, v4, vcc_lo
	v_cmp_eq_u32_e32 vcc_lo, 3, v32
	v_cndmask_b32_e32 v37, v37, v5, vcc_lo
	v_cmp_eq_u32_e32 vcc_lo, 4, v32
	s_delay_alu instid0(VALU_DEP_2) | instskip(SKIP_1) | instid1(VALU_DEP_2)
	v_cndmask_b32_e32 v37, v37, v6, vcc_lo
	;; [unrolled: 5-line block ×14, first 2 shown]
	v_cmp_eq_u32_e32 vcc_lo, 29, v32
	v_cndmask_b32_e32 v37, v37, v31, vcc_lo
	v_cmp_lt_u32_e32 vcc_lo, 12, v32
	s_wait_dscnt 0x0
	s_delay_alu instid0(VALU_DEP_2) | instskip(SKIP_1) | instid1(SALU_CYCLE_1)
	v_fmac_f32_e32 v35, v37, v38
	s_or_b32 s2, vcc_lo, s2
	s_and_not1_b32 exec_lo, exec_lo, s2
	s_cbranch_execnz .LBB29_589
; %bb.590:
	s_or_b32 exec_lo, exec_lo, s2
.LBB29_591:
	s_delay_alu instid0(SALU_CYCLE_1)
	s_or_b32 exec_lo, exec_lo, s1
	v_mov_b32_e32 v16, 0
	ds_load_b32 v16, v16 offset:56
	s_wait_dscnt 0x0
	v_mul_f32_e32 v16, v35, v16
.LBB29_592:
	s_or_b32 exec_lo, exec_lo, s0
	s_delay_alu instid0(SALU_CYCLE_1)
	s_mov_b32 s0, exec_lo
	ds_store_b32 v129, v17
	s_wait_dscnt 0x0
	s_barrier_signal -1
	s_barrier_wait -1
	v_cmpx_gt_u32_e32 15, v0
	s_cbranch_execz .LBB29_602
; %bb.593:
	v_cmp_ne_u32_e32 vcc_lo, 1, v34
	s_cbranch_vccnz .LBB29_595
; %bb.594:
	v_cmp_eq_u32_e32 vcc_lo, 1, v0
	ds_load_b32 v33, v129
	v_cndmask_b32_e32 v32, v2, v3, vcc_lo
	v_cmp_eq_u32_e32 vcc_lo, 2, v0
	s_delay_alu instid0(VALU_DEP_2) | instskip(SKIP_1) | instid1(VALU_DEP_2)
	v_cndmask_b32_e32 v32, v32, v4, vcc_lo
	v_cmp_eq_u32_e32 vcc_lo, 3, v0
	v_cndmask_b32_e32 v32, v32, v5, vcc_lo
	v_cmp_eq_u32_e32 vcc_lo, 4, v0
	s_delay_alu instid0(VALU_DEP_2) | instskip(SKIP_1) | instid1(VALU_DEP_2)
	v_cndmask_b32_e32 v32, v32, v6, vcc_lo
	v_cmp_eq_u32_e32 vcc_lo, 5, v0
	;; [unrolled: 5-line block ×14, first 2 shown]
	v_cndmask_b32_e32 v32, v32, v31, vcc_lo
	s_wait_dscnt 0x0
	s_delay_alu instid0(VALU_DEP_1)
	v_mul_f32_e32 v35, v32, v33
	s_cbranch_execz .LBB29_596
	s_branch .LBB29_597
.LBB29_595:
                                        ; implicit-def: $vgpr35
.LBB29_596:
	ds_load_b32 v35, v129
.LBB29_597:
	s_mov_b32 s1, exec_lo
	v_cmpx_ne_u32_e32 14, v0
	s_cbranch_execz .LBB29_601
; %bb.598:
	v_mov_b64_e32 v[32:33], v[0:1]
	v_lshl_add_u32 v36, v0, 2, 0x84
	s_mov_b32 s2, 0
.LBB29_599:                             ; =>This Inner Loop Header: Depth=1
	s_delay_alu instid0(VALU_DEP_2)
	v_add_nc_u64_e32 v[32:33], 1, v[32:33]
	ds_load_b32 v38, v36
	v_add_nc_u32_e32 v36, 4, v36
	v_cmp_eq_u32_e32 vcc_lo, 1, v32
	v_cndmask_b32_e32 v37, v2, v3, vcc_lo
	v_cmp_eq_u32_e32 vcc_lo, 2, v32
	s_delay_alu instid0(VALU_DEP_2) | instskip(SKIP_1) | instid1(VALU_DEP_2)
	v_cndmask_b32_e32 v37, v37, v4, vcc_lo
	v_cmp_eq_u32_e32 vcc_lo, 3, v32
	v_cndmask_b32_e32 v37, v37, v5, vcc_lo
	v_cmp_eq_u32_e32 vcc_lo, 4, v32
	s_delay_alu instid0(VALU_DEP_2) | instskip(SKIP_1) | instid1(VALU_DEP_2)
	v_cndmask_b32_e32 v37, v37, v6, vcc_lo
	;; [unrolled: 5-line block ×14, first 2 shown]
	v_cmp_eq_u32_e32 vcc_lo, 29, v32
	v_cndmask_b32_e32 v37, v37, v31, vcc_lo
	v_cmp_lt_u32_e32 vcc_lo, 13, v32
	s_wait_dscnt 0x0
	s_delay_alu instid0(VALU_DEP_2) | instskip(SKIP_1) | instid1(SALU_CYCLE_1)
	v_fmac_f32_e32 v35, v37, v38
	s_or_b32 s2, vcc_lo, s2
	s_and_not1_b32 exec_lo, exec_lo, s2
	s_cbranch_execnz .LBB29_599
; %bb.600:
	s_or_b32 exec_lo, exec_lo, s2
.LBB29_601:
	s_delay_alu instid0(SALU_CYCLE_1)
	s_or_b32 exec_lo, exec_lo, s1
	v_mov_b32_e32 v17, 0
	ds_load_b32 v17, v17 offset:60
	s_wait_dscnt 0x0
	v_mul_f32_e32 v17, v35, v17
.LBB29_602:
	s_or_b32 exec_lo, exec_lo, s0
	s_delay_alu instid0(SALU_CYCLE_1)
	s_mov_b32 s0, exec_lo
	ds_store_b32 v129, v18
	s_wait_dscnt 0x0
	s_barrier_signal -1
	s_barrier_wait -1
	v_cmpx_gt_u32_e32 16, v0
	s_cbranch_execz .LBB29_612
; %bb.603:
	v_cmp_ne_u32_e32 vcc_lo, 1, v34
	s_cbranch_vccnz .LBB29_605
; %bb.604:
	v_cmp_eq_u32_e32 vcc_lo, 1, v0
	ds_load_b32 v33, v129
	v_cndmask_b32_e32 v32, v2, v3, vcc_lo
	v_cmp_eq_u32_e32 vcc_lo, 2, v0
	s_delay_alu instid0(VALU_DEP_2) | instskip(SKIP_1) | instid1(VALU_DEP_2)
	v_cndmask_b32_e32 v32, v32, v4, vcc_lo
	v_cmp_eq_u32_e32 vcc_lo, 3, v0
	v_cndmask_b32_e32 v32, v32, v5, vcc_lo
	v_cmp_eq_u32_e32 vcc_lo, 4, v0
	s_delay_alu instid0(VALU_DEP_2) | instskip(SKIP_1) | instid1(VALU_DEP_2)
	v_cndmask_b32_e32 v32, v32, v6, vcc_lo
	v_cmp_eq_u32_e32 vcc_lo, 5, v0
	;; [unrolled: 5-line block ×14, first 2 shown]
	v_cndmask_b32_e32 v32, v32, v31, vcc_lo
	s_wait_dscnt 0x0
	s_delay_alu instid0(VALU_DEP_1)
	v_mul_f32_e32 v35, v32, v33
	s_cbranch_execz .LBB29_606
	s_branch .LBB29_607
.LBB29_605:
                                        ; implicit-def: $vgpr35
.LBB29_606:
	ds_load_b32 v35, v129
.LBB29_607:
	s_mov_b32 s1, exec_lo
	v_cmpx_ne_u32_e32 15, v0
	s_cbranch_execz .LBB29_611
; %bb.608:
	v_mov_b64_e32 v[32:33], v[0:1]
	v_lshl_add_u32 v36, v0, 2, 0x84
	s_mov_b32 s2, 0
.LBB29_609:                             ; =>This Inner Loop Header: Depth=1
	s_delay_alu instid0(VALU_DEP_2)
	v_add_nc_u64_e32 v[32:33], 1, v[32:33]
	ds_load_b32 v38, v36
	v_add_nc_u32_e32 v36, 4, v36
	v_cmp_eq_u32_e32 vcc_lo, 1, v32
	v_cndmask_b32_e32 v37, v2, v3, vcc_lo
	v_cmp_eq_u32_e32 vcc_lo, 2, v32
	s_delay_alu instid0(VALU_DEP_2) | instskip(SKIP_1) | instid1(VALU_DEP_2)
	v_cndmask_b32_e32 v37, v37, v4, vcc_lo
	v_cmp_eq_u32_e32 vcc_lo, 3, v32
	v_cndmask_b32_e32 v37, v37, v5, vcc_lo
	v_cmp_eq_u32_e32 vcc_lo, 4, v32
	s_delay_alu instid0(VALU_DEP_2) | instskip(SKIP_1) | instid1(VALU_DEP_2)
	v_cndmask_b32_e32 v37, v37, v6, vcc_lo
	;; [unrolled: 5-line block ×14, first 2 shown]
	v_cmp_eq_u32_e32 vcc_lo, 29, v32
	v_cndmask_b32_e32 v37, v37, v31, vcc_lo
	v_cmp_lt_u32_e32 vcc_lo, 14, v32
	s_wait_dscnt 0x0
	s_delay_alu instid0(VALU_DEP_2) | instskip(SKIP_1) | instid1(SALU_CYCLE_1)
	v_fmac_f32_e32 v35, v37, v38
	s_or_b32 s2, vcc_lo, s2
	s_and_not1_b32 exec_lo, exec_lo, s2
	s_cbranch_execnz .LBB29_609
; %bb.610:
	s_or_b32 exec_lo, exec_lo, s2
.LBB29_611:
	s_delay_alu instid0(SALU_CYCLE_1)
	s_or_b32 exec_lo, exec_lo, s1
	v_mov_b32_e32 v18, 0
	ds_load_b32 v18, v18 offset:64
	s_wait_dscnt 0x0
	v_mul_f32_e32 v18, v35, v18
.LBB29_612:
	s_or_b32 exec_lo, exec_lo, s0
	s_delay_alu instid0(SALU_CYCLE_1)
	s_mov_b32 s0, exec_lo
	ds_store_b32 v129, v19
	s_wait_dscnt 0x0
	s_barrier_signal -1
	s_barrier_wait -1
	v_cmpx_gt_u32_e32 17, v0
	s_cbranch_execz .LBB29_622
; %bb.613:
	v_cmp_ne_u32_e32 vcc_lo, 1, v34
	s_cbranch_vccnz .LBB29_615
; %bb.614:
	v_cmp_eq_u32_e32 vcc_lo, 1, v0
	ds_load_b32 v33, v129
	v_cndmask_b32_e32 v32, v2, v3, vcc_lo
	v_cmp_eq_u32_e32 vcc_lo, 2, v0
	s_delay_alu instid0(VALU_DEP_2) | instskip(SKIP_1) | instid1(VALU_DEP_2)
	v_cndmask_b32_e32 v32, v32, v4, vcc_lo
	v_cmp_eq_u32_e32 vcc_lo, 3, v0
	v_cndmask_b32_e32 v32, v32, v5, vcc_lo
	v_cmp_eq_u32_e32 vcc_lo, 4, v0
	s_delay_alu instid0(VALU_DEP_2) | instskip(SKIP_1) | instid1(VALU_DEP_2)
	v_cndmask_b32_e32 v32, v32, v6, vcc_lo
	v_cmp_eq_u32_e32 vcc_lo, 5, v0
	;; [unrolled: 5-line block ×14, first 2 shown]
	v_cndmask_b32_e32 v32, v32, v31, vcc_lo
	s_wait_dscnt 0x0
	s_delay_alu instid0(VALU_DEP_1)
	v_mul_f32_e32 v35, v32, v33
	s_cbranch_execz .LBB29_616
	s_branch .LBB29_617
.LBB29_615:
                                        ; implicit-def: $vgpr35
.LBB29_616:
	ds_load_b32 v35, v129
.LBB29_617:
	s_mov_b32 s1, exec_lo
	v_cmpx_ne_u32_e32 16, v0
	s_cbranch_execz .LBB29_621
; %bb.618:
	v_mov_b64_e32 v[32:33], v[0:1]
	v_lshl_add_u32 v36, v0, 2, 0x84
	s_mov_b32 s2, 0
.LBB29_619:                             ; =>This Inner Loop Header: Depth=1
	s_delay_alu instid0(VALU_DEP_2)
	v_add_nc_u64_e32 v[32:33], 1, v[32:33]
	ds_load_b32 v38, v36
	v_add_nc_u32_e32 v36, 4, v36
	v_cmp_eq_u32_e32 vcc_lo, 1, v32
	v_cndmask_b32_e32 v37, v2, v3, vcc_lo
	v_cmp_eq_u32_e32 vcc_lo, 2, v32
	s_delay_alu instid0(VALU_DEP_2) | instskip(SKIP_1) | instid1(VALU_DEP_2)
	v_cndmask_b32_e32 v37, v37, v4, vcc_lo
	v_cmp_eq_u32_e32 vcc_lo, 3, v32
	v_cndmask_b32_e32 v37, v37, v5, vcc_lo
	v_cmp_eq_u32_e32 vcc_lo, 4, v32
	s_delay_alu instid0(VALU_DEP_2) | instskip(SKIP_1) | instid1(VALU_DEP_2)
	v_cndmask_b32_e32 v37, v37, v6, vcc_lo
	;; [unrolled: 5-line block ×14, first 2 shown]
	v_cmp_eq_u32_e32 vcc_lo, 29, v32
	v_cndmask_b32_e32 v37, v37, v31, vcc_lo
	v_cmp_lt_u32_e32 vcc_lo, 15, v32
	s_wait_dscnt 0x0
	s_delay_alu instid0(VALU_DEP_2) | instskip(SKIP_1) | instid1(SALU_CYCLE_1)
	v_fmac_f32_e32 v35, v37, v38
	s_or_b32 s2, vcc_lo, s2
	s_and_not1_b32 exec_lo, exec_lo, s2
	s_cbranch_execnz .LBB29_619
; %bb.620:
	s_or_b32 exec_lo, exec_lo, s2
.LBB29_621:
	s_delay_alu instid0(SALU_CYCLE_1)
	s_or_b32 exec_lo, exec_lo, s1
	v_mov_b32_e32 v19, 0
	ds_load_b32 v19, v19 offset:68
	s_wait_dscnt 0x0
	v_mul_f32_e32 v19, v35, v19
.LBB29_622:
	s_or_b32 exec_lo, exec_lo, s0
	s_delay_alu instid0(SALU_CYCLE_1)
	s_mov_b32 s0, exec_lo
	ds_store_b32 v129, v20
	s_wait_dscnt 0x0
	s_barrier_signal -1
	s_barrier_wait -1
	v_cmpx_gt_u32_e32 18, v0
	s_cbranch_execz .LBB29_632
; %bb.623:
	v_cmp_ne_u32_e32 vcc_lo, 1, v34
	s_cbranch_vccnz .LBB29_625
; %bb.624:
	v_cmp_eq_u32_e32 vcc_lo, 1, v0
	ds_load_b32 v33, v129
	v_cndmask_b32_e32 v32, v2, v3, vcc_lo
	v_cmp_eq_u32_e32 vcc_lo, 2, v0
	s_delay_alu instid0(VALU_DEP_2) | instskip(SKIP_1) | instid1(VALU_DEP_2)
	v_cndmask_b32_e32 v32, v32, v4, vcc_lo
	v_cmp_eq_u32_e32 vcc_lo, 3, v0
	v_cndmask_b32_e32 v32, v32, v5, vcc_lo
	v_cmp_eq_u32_e32 vcc_lo, 4, v0
	s_delay_alu instid0(VALU_DEP_2) | instskip(SKIP_1) | instid1(VALU_DEP_2)
	v_cndmask_b32_e32 v32, v32, v6, vcc_lo
	v_cmp_eq_u32_e32 vcc_lo, 5, v0
	;; [unrolled: 5-line block ×14, first 2 shown]
	v_cndmask_b32_e32 v32, v32, v31, vcc_lo
	s_wait_dscnt 0x0
	s_delay_alu instid0(VALU_DEP_1)
	v_mul_f32_e32 v35, v32, v33
	s_cbranch_execz .LBB29_626
	s_branch .LBB29_627
.LBB29_625:
                                        ; implicit-def: $vgpr35
.LBB29_626:
	ds_load_b32 v35, v129
.LBB29_627:
	s_mov_b32 s1, exec_lo
	v_cmpx_ne_u32_e32 17, v0
	s_cbranch_execz .LBB29_631
; %bb.628:
	v_mov_b64_e32 v[32:33], v[0:1]
	v_lshl_add_u32 v36, v0, 2, 0x84
	s_mov_b32 s2, 0
.LBB29_629:                             ; =>This Inner Loop Header: Depth=1
	s_delay_alu instid0(VALU_DEP_2)
	v_add_nc_u64_e32 v[32:33], 1, v[32:33]
	ds_load_b32 v38, v36
	v_add_nc_u32_e32 v36, 4, v36
	v_cmp_eq_u32_e32 vcc_lo, 1, v32
	v_cndmask_b32_e32 v37, v2, v3, vcc_lo
	v_cmp_eq_u32_e32 vcc_lo, 2, v32
	s_delay_alu instid0(VALU_DEP_2) | instskip(SKIP_1) | instid1(VALU_DEP_2)
	v_cndmask_b32_e32 v37, v37, v4, vcc_lo
	v_cmp_eq_u32_e32 vcc_lo, 3, v32
	v_cndmask_b32_e32 v37, v37, v5, vcc_lo
	v_cmp_eq_u32_e32 vcc_lo, 4, v32
	s_delay_alu instid0(VALU_DEP_2) | instskip(SKIP_1) | instid1(VALU_DEP_2)
	v_cndmask_b32_e32 v37, v37, v6, vcc_lo
	;; [unrolled: 5-line block ×14, first 2 shown]
	v_cmp_eq_u32_e32 vcc_lo, 29, v32
	v_cndmask_b32_e32 v37, v37, v31, vcc_lo
	v_cmp_lt_u32_e32 vcc_lo, 16, v32
	s_wait_dscnt 0x0
	s_delay_alu instid0(VALU_DEP_2) | instskip(SKIP_1) | instid1(SALU_CYCLE_1)
	v_fmac_f32_e32 v35, v37, v38
	s_or_b32 s2, vcc_lo, s2
	s_and_not1_b32 exec_lo, exec_lo, s2
	s_cbranch_execnz .LBB29_629
; %bb.630:
	s_or_b32 exec_lo, exec_lo, s2
.LBB29_631:
	s_delay_alu instid0(SALU_CYCLE_1)
	s_or_b32 exec_lo, exec_lo, s1
	v_mov_b32_e32 v20, 0
	ds_load_b32 v20, v20 offset:72
	s_wait_dscnt 0x0
	v_mul_f32_e32 v20, v35, v20
.LBB29_632:
	s_or_b32 exec_lo, exec_lo, s0
	s_delay_alu instid0(SALU_CYCLE_1)
	s_mov_b32 s0, exec_lo
	ds_store_b32 v129, v21
	s_wait_dscnt 0x0
	s_barrier_signal -1
	s_barrier_wait -1
	v_cmpx_gt_u32_e32 19, v0
	s_cbranch_execz .LBB29_642
; %bb.633:
	v_cmp_ne_u32_e32 vcc_lo, 1, v34
	s_cbranch_vccnz .LBB29_635
; %bb.634:
	v_cmp_eq_u32_e32 vcc_lo, 1, v0
	ds_load_b32 v33, v129
	v_cndmask_b32_e32 v32, v2, v3, vcc_lo
	v_cmp_eq_u32_e32 vcc_lo, 2, v0
	s_delay_alu instid0(VALU_DEP_2) | instskip(SKIP_1) | instid1(VALU_DEP_2)
	v_cndmask_b32_e32 v32, v32, v4, vcc_lo
	v_cmp_eq_u32_e32 vcc_lo, 3, v0
	v_cndmask_b32_e32 v32, v32, v5, vcc_lo
	v_cmp_eq_u32_e32 vcc_lo, 4, v0
	s_delay_alu instid0(VALU_DEP_2) | instskip(SKIP_1) | instid1(VALU_DEP_2)
	v_cndmask_b32_e32 v32, v32, v6, vcc_lo
	v_cmp_eq_u32_e32 vcc_lo, 5, v0
	;; [unrolled: 5-line block ×14, first 2 shown]
	v_cndmask_b32_e32 v32, v32, v31, vcc_lo
	s_wait_dscnt 0x0
	s_delay_alu instid0(VALU_DEP_1)
	v_mul_f32_e32 v35, v32, v33
	s_cbranch_execz .LBB29_636
	s_branch .LBB29_637
.LBB29_635:
                                        ; implicit-def: $vgpr35
.LBB29_636:
	ds_load_b32 v35, v129
.LBB29_637:
	s_mov_b32 s1, exec_lo
	v_cmpx_ne_u32_e32 18, v0
	s_cbranch_execz .LBB29_641
; %bb.638:
	v_mov_b64_e32 v[32:33], v[0:1]
	v_lshl_add_u32 v36, v0, 2, 0x84
	s_mov_b32 s2, 0
.LBB29_639:                             ; =>This Inner Loop Header: Depth=1
	s_delay_alu instid0(VALU_DEP_2)
	v_add_nc_u64_e32 v[32:33], 1, v[32:33]
	ds_load_b32 v38, v36
	v_add_nc_u32_e32 v36, 4, v36
	v_cmp_eq_u32_e32 vcc_lo, 1, v32
	v_cndmask_b32_e32 v37, v2, v3, vcc_lo
	v_cmp_eq_u32_e32 vcc_lo, 2, v32
	s_delay_alu instid0(VALU_DEP_2) | instskip(SKIP_1) | instid1(VALU_DEP_2)
	v_cndmask_b32_e32 v37, v37, v4, vcc_lo
	v_cmp_eq_u32_e32 vcc_lo, 3, v32
	v_cndmask_b32_e32 v37, v37, v5, vcc_lo
	v_cmp_eq_u32_e32 vcc_lo, 4, v32
	s_delay_alu instid0(VALU_DEP_2) | instskip(SKIP_1) | instid1(VALU_DEP_2)
	v_cndmask_b32_e32 v37, v37, v6, vcc_lo
	;; [unrolled: 5-line block ×14, first 2 shown]
	v_cmp_eq_u32_e32 vcc_lo, 29, v32
	v_cndmask_b32_e32 v37, v37, v31, vcc_lo
	v_cmp_lt_u32_e32 vcc_lo, 17, v32
	s_wait_dscnt 0x0
	s_delay_alu instid0(VALU_DEP_2) | instskip(SKIP_1) | instid1(SALU_CYCLE_1)
	v_fmac_f32_e32 v35, v37, v38
	s_or_b32 s2, vcc_lo, s2
	s_and_not1_b32 exec_lo, exec_lo, s2
	s_cbranch_execnz .LBB29_639
; %bb.640:
	s_or_b32 exec_lo, exec_lo, s2
.LBB29_641:
	s_delay_alu instid0(SALU_CYCLE_1)
	s_or_b32 exec_lo, exec_lo, s1
	v_mov_b32_e32 v21, 0
	ds_load_b32 v21, v21 offset:76
	s_wait_dscnt 0x0
	v_mul_f32_e32 v21, v35, v21
.LBB29_642:
	s_or_b32 exec_lo, exec_lo, s0
	s_delay_alu instid0(SALU_CYCLE_1)
	s_mov_b32 s0, exec_lo
	ds_store_b32 v129, v22
	s_wait_dscnt 0x0
	s_barrier_signal -1
	s_barrier_wait -1
	v_cmpx_gt_u32_e32 20, v0
	s_cbranch_execz .LBB29_652
; %bb.643:
	v_cmp_ne_u32_e32 vcc_lo, 1, v34
	s_cbranch_vccnz .LBB29_645
; %bb.644:
	v_cmp_eq_u32_e32 vcc_lo, 1, v0
	ds_load_b32 v33, v129
	v_cndmask_b32_e32 v32, v2, v3, vcc_lo
	v_cmp_eq_u32_e32 vcc_lo, 2, v0
	s_delay_alu instid0(VALU_DEP_2) | instskip(SKIP_1) | instid1(VALU_DEP_2)
	v_cndmask_b32_e32 v32, v32, v4, vcc_lo
	v_cmp_eq_u32_e32 vcc_lo, 3, v0
	v_cndmask_b32_e32 v32, v32, v5, vcc_lo
	v_cmp_eq_u32_e32 vcc_lo, 4, v0
	s_delay_alu instid0(VALU_DEP_2) | instskip(SKIP_1) | instid1(VALU_DEP_2)
	v_cndmask_b32_e32 v32, v32, v6, vcc_lo
	v_cmp_eq_u32_e32 vcc_lo, 5, v0
	;; [unrolled: 5-line block ×14, first 2 shown]
	v_cndmask_b32_e32 v32, v32, v31, vcc_lo
	s_wait_dscnt 0x0
	s_delay_alu instid0(VALU_DEP_1)
	v_mul_f32_e32 v35, v32, v33
	s_cbranch_execz .LBB29_646
	s_branch .LBB29_647
.LBB29_645:
                                        ; implicit-def: $vgpr35
.LBB29_646:
	ds_load_b32 v35, v129
.LBB29_647:
	s_mov_b32 s1, exec_lo
	v_cmpx_ne_u32_e32 19, v0
	s_cbranch_execz .LBB29_651
; %bb.648:
	v_mov_b64_e32 v[32:33], v[0:1]
	v_lshl_add_u32 v36, v0, 2, 0x84
	s_mov_b32 s2, 0
.LBB29_649:                             ; =>This Inner Loop Header: Depth=1
	s_delay_alu instid0(VALU_DEP_2)
	v_add_nc_u64_e32 v[32:33], 1, v[32:33]
	ds_load_b32 v38, v36
	v_add_nc_u32_e32 v36, 4, v36
	v_cmp_eq_u32_e32 vcc_lo, 1, v32
	v_cndmask_b32_e32 v37, v2, v3, vcc_lo
	v_cmp_eq_u32_e32 vcc_lo, 2, v32
	s_delay_alu instid0(VALU_DEP_2) | instskip(SKIP_1) | instid1(VALU_DEP_2)
	v_cndmask_b32_e32 v37, v37, v4, vcc_lo
	v_cmp_eq_u32_e32 vcc_lo, 3, v32
	v_cndmask_b32_e32 v37, v37, v5, vcc_lo
	v_cmp_eq_u32_e32 vcc_lo, 4, v32
	s_delay_alu instid0(VALU_DEP_2) | instskip(SKIP_1) | instid1(VALU_DEP_2)
	v_cndmask_b32_e32 v37, v37, v6, vcc_lo
	;; [unrolled: 5-line block ×14, first 2 shown]
	v_cmp_eq_u32_e32 vcc_lo, 29, v32
	v_cndmask_b32_e32 v37, v37, v31, vcc_lo
	v_cmp_lt_u32_e32 vcc_lo, 18, v32
	s_wait_dscnt 0x0
	s_delay_alu instid0(VALU_DEP_2) | instskip(SKIP_1) | instid1(SALU_CYCLE_1)
	v_fmac_f32_e32 v35, v37, v38
	s_or_b32 s2, vcc_lo, s2
	s_and_not1_b32 exec_lo, exec_lo, s2
	s_cbranch_execnz .LBB29_649
; %bb.650:
	s_or_b32 exec_lo, exec_lo, s2
.LBB29_651:
	s_delay_alu instid0(SALU_CYCLE_1)
	s_or_b32 exec_lo, exec_lo, s1
	v_mov_b32_e32 v22, 0
	ds_load_b32 v22, v22 offset:80
	s_wait_dscnt 0x0
	v_mul_f32_e32 v22, v35, v22
.LBB29_652:
	s_or_b32 exec_lo, exec_lo, s0
	s_delay_alu instid0(SALU_CYCLE_1)
	s_mov_b32 s0, exec_lo
	ds_store_b32 v129, v23
	s_wait_dscnt 0x0
	s_barrier_signal -1
	s_barrier_wait -1
	v_cmpx_gt_u32_e32 21, v0
	s_cbranch_execz .LBB29_662
; %bb.653:
	v_cmp_ne_u32_e32 vcc_lo, 1, v34
	s_cbranch_vccnz .LBB29_655
; %bb.654:
	v_cmp_eq_u32_e32 vcc_lo, 1, v0
	ds_load_b32 v33, v129
	v_cndmask_b32_e32 v32, v2, v3, vcc_lo
	v_cmp_eq_u32_e32 vcc_lo, 2, v0
	s_delay_alu instid0(VALU_DEP_2) | instskip(SKIP_1) | instid1(VALU_DEP_2)
	v_cndmask_b32_e32 v32, v32, v4, vcc_lo
	v_cmp_eq_u32_e32 vcc_lo, 3, v0
	v_cndmask_b32_e32 v32, v32, v5, vcc_lo
	v_cmp_eq_u32_e32 vcc_lo, 4, v0
	s_delay_alu instid0(VALU_DEP_2) | instskip(SKIP_1) | instid1(VALU_DEP_2)
	v_cndmask_b32_e32 v32, v32, v6, vcc_lo
	v_cmp_eq_u32_e32 vcc_lo, 5, v0
	;; [unrolled: 5-line block ×14, first 2 shown]
	v_cndmask_b32_e32 v32, v32, v31, vcc_lo
	s_wait_dscnt 0x0
	s_delay_alu instid0(VALU_DEP_1)
	v_mul_f32_e32 v35, v32, v33
	s_cbranch_execz .LBB29_656
	s_branch .LBB29_657
.LBB29_655:
                                        ; implicit-def: $vgpr35
.LBB29_656:
	ds_load_b32 v35, v129
.LBB29_657:
	s_mov_b32 s1, exec_lo
	v_cmpx_ne_u32_e32 20, v0
	s_cbranch_execz .LBB29_661
; %bb.658:
	v_mov_b64_e32 v[32:33], v[0:1]
	v_lshl_add_u32 v36, v0, 2, 0x84
	s_mov_b32 s2, 0
.LBB29_659:                             ; =>This Inner Loop Header: Depth=1
	s_delay_alu instid0(VALU_DEP_2)
	v_add_nc_u64_e32 v[32:33], 1, v[32:33]
	ds_load_b32 v38, v36
	v_add_nc_u32_e32 v36, 4, v36
	v_cmp_eq_u32_e32 vcc_lo, 1, v32
	v_cndmask_b32_e32 v37, v2, v3, vcc_lo
	v_cmp_eq_u32_e32 vcc_lo, 2, v32
	s_delay_alu instid0(VALU_DEP_2) | instskip(SKIP_1) | instid1(VALU_DEP_2)
	v_cndmask_b32_e32 v37, v37, v4, vcc_lo
	v_cmp_eq_u32_e32 vcc_lo, 3, v32
	v_cndmask_b32_e32 v37, v37, v5, vcc_lo
	v_cmp_eq_u32_e32 vcc_lo, 4, v32
	s_delay_alu instid0(VALU_DEP_2) | instskip(SKIP_1) | instid1(VALU_DEP_2)
	v_cndmask_b32_e32 v37, v37, v6, vcc_lo
	;; [unrolled: 5-line block ×14, first 2 shown]
	v_cmp_eq_u32_e32 vcc_lo, 29, v32
	v_cndmask_b32_e32 v37, v37, v31, vcc_lo
	v_cmp_lt_u32_e32 vcc_lo, 19, v32
	s_wait_dscnt 0x0
	s_delay_alu instid0(VALU_DEP_2) | instskip(SKIP_1) | instid1(SALU_CYCLE_1)
	v_fmac_f32_e32 v35, v37, v38
	s_or_b32 s2, vcc_lo, s2
	s_and_not1_b32 exec_lo, exec_lo, s2
	s_cbranch_execnz .LBB29_659
; %bb.660:
	s_or_b32 exec_lo, exec_lo, s2
.LBB29_661:
	s_delay_alu instid0(SALU_CYCLE_1)
	s_or_b32 exec_lo, exec_lo, s1
	v_mov_b32_e32 v23, 0
	ds_load_b32 v23, v23 offset:84
	s_wait_dscnt 0x0
	v_mul_f32_e32 v23, v35, v23
.LBB29_662:
	s_or_b32 exec_lo, exec_lo, s0
	s_delay_alu instid0(SALU_CYCLE_1)
	s_mov_b32 s0, exec_lo
	ds_store_b32 v129, v24
	s_wait_dscnt 0x0
	s_barrier_signal -1
	s_barrier_wait -1
	v_cmpx_gt_u32_e32 22, v0
	s_cbranch_execz .LBB29_672
; %bb.663:
	v_cmp_ne_u32_e32 vcc_lo, 1, v34
	s_cbranch_vccnz .LBB29_665
; %bb.664:
	v_cmp_eq_u32_e32 vcc_lo, 1, v0
	ds_load_b32 v33, v129
	v_cndmask_b32_e32 v32, v2, v3, vcc_lo
	v_cmp_eq_u32_e32 vcc_lo, 2, v0
	s_delay_alu instid0(VALU_DEP_2) | instskip(SKIP_1) | instid1(VALU_DEP_2)
	v_cndmask_b32_e32 v32, v32, v4, vcc_lo
	v_cmp_eq_u32_e32 vcc_lo, 3, v0
	v_cndmask_b32_e32 v32, v32, v5, vcc_lo
	v_cmp_eq_u32_e32 vcc_lo, 4, v0
	s_delay_alu instid0(VALU_DEP_2) | instskip(SKIP_1) | instid1(VALU_DEP_2)
	v_cndmask_b32_e32 v32, v32, v6, vcc_lo
	v_cmp_eq_u32_e32 vcc_lo, 5, v0
	;; [unrolled: 5-line block ×14, first 2 shown]
	v_cndmask_b32_e32 v32, v32, v31, vcc_lo
	s_wait_dscnt 0x0
	s_delay_alu instid0(VALU_DEP_1)
	v_mul_f32_e32 v35, v32, v33
	s_cbranch_execz .LBB29_666
	s_branch .LBB29_667
.LBB29_665:
                                        ; implicit-def: $vgpr35
.LBB29_666:
	ds_load_b32 v35, v129
.LBB29_667:
	s_mov_b32 s1, exec_lo
	v_cmpx_ne_u32_e32 21, v0
	s_cbranch_execz .LBB29_671
; %bb.668:
	v_mov_b64_e32 v[32:33], v[0:1]
	v_lshl_add_u32 v36, v0, 2, 0x84
	s_mov_b32 s2, 0
.LBB29_669:                             ; =>This Inner Loop Header: Depth=1
	s_delay_alu instid0(VALU_DEP_2)
	v_add_nc_u64_e32 v[32:33], 1, v[32:33]
	ds_load_b32 v38, v36
	v_add_nc_u32_e32 v36, 4, v36
	v_cmp_eq_u32_e32 vcc_lo, 1, v32
	v_cndmask_b32_e32 v37, v2, v3, vcc_lo
	v_cmp_eq_u32_e32 vcc_lo, 2, v32
	s_delay_alu instid0(VALU_DEP_2) | instskip(SKIP_1) | instid1(VALU_DEP_2)
	v_cndmask_b32_e32 v37, v37, v4, vcc_lo
	v_cmp_eq_u32_e32 vcc_lo, 3, v32
	v_cndmask_b32_e32 v37, v37, v5, vcc_lo
	v_cmp_eq_u32_e32 vcc_lo, 4, v32
	s_delay_alu instid0(VALU_DEP_2) | instskip(SKIP_1) | instid1(VALU_DEP_2)
	v_cndmask_b32_e32 v37, v37, v6, vcc_lo
	;; [unrolled: 5-line block ×14, first 2 shown]
	v_cmp_eq_u32_e32 vcc_lo, 29, v32
	v_cndmask_b32_e32 v37, v37, v31, vcc_lo
	v_cmp_lt_u32_e32 vcc_lo, 20, v32
	s_wait_dscnt 0x0
	s_delay_alu instid0(VALU_DEP_2) | instskip(SKIP_1) | instid1(SALU_CYCLE_1)
	v_fmac_f32_e32 v35, v37, v38
	s_or_b32 s2, vcc_lo, s2
	s_and_not1_b32 exec_lo, exec_lo, s2
	s_cbranch_execnz .LBB29_669
; %bb.670:
	s_or_b32 exec_lo, exec_lo, s2
.LBB29_671:
	s_delay_alu instid0(SALU_CYCLE_1)
	s_or_b32 exec_lo, exec_lo, s1
	v_mov_b32_e32 v24, 0
	ds_load_b32 v24, v24 offset:88
	s_wait_dscnt 0x0
	v_mul_f32_e32 v24, v35, v24
.LBB29_672:
	s_or_b32 exec_lo, exec_lo, s0
	s_delay_alu instid0(SALU_CYCLE_1)
	s_mov_b32 s0, exec_lo
	ds_store_b32 v129, v25
	s_wait_dscnt 0x0
	s_barrier_signal -1
	s_barrier_wait -1
	v_cmpx_gt_u32_e32 23, v0
	s_cbranch_execz .LBB29_682
; %bb.673:
	v_cmp_ne_u32_e32 vcc_lo, 1, v34
	s_cbranch_vccnz .LBB29_675
; %bb.674:
	v_cmp_eq_u32_e32 vcc_lo, 1, v0
	ds_load_b32 v33, v129
	v_cndmask_b32_e32 v32, v2, v3, vcc_lo
	v_cmp_eq_u32_e32 vcc_lo, 2, v0
	s_delay_alu instid0(VALU_DEP_2) | instskip(SKIP_1) | instid1(VALU_DEP_2)
	v_cndmask_b32_e32 v32, v32, v4, vcc_lo
	v_cmp_eq_u32_e32 vcc_lo, 3, v0
	v_cndmask_b32_e32 v32, v32, v5, vcc_lo
	v_cmp_eq_u32_e32 vcc_lo, 4, v0
	s_delay_alu instid0(VALU_DEP_2) | instskip(SKIP_1) | instid1(VALU_DEP_2)
	v_cndmask_b32_e32 v32, v32, v6, vcc_lo
	v_cmp_eq_u32_e32 vcc_lo, 5, v0
	v_cndmask_b32_e32 v32, v32, v7, vcc_lo
	v_cmp_eq_u32_e32 vcc_lo, 6, v0
	s_delay_alu instid0(VALU_DEP_2) | instskip(SKIP_1) | instid1(VALU_DEP_2)
	v_cndmask_b32_e32 v32, v32, v8, vcc_lo
	v_cmp_eq_u32_e32 vcc_lo, 7, v0
	v_cndmask_b32_e32 v32, v32, v9, vcc_lo
	v_cmp_eq_u32_e32 vcc_lo, 8, v0
	s_delay_alu instid0(VALU_DEP_2) | instskip(SKIP_1) | instid1(VALU_DEP_2)
	v_cndmask_b32_e32 v32, v32, v10, vcc_lo
	v_cmp_eq_u32_e32 vcc_lo, 9, v0
	v_cndmask_b32_e32 v32, v32, v11, vcc_lo
	v_cmp_eq_u32_e32 vcc_lo, 10, v0
	s_delay_alu instid0(VALU_DEP_2) | instskip(SKIP_1) | instid1(VALU_DEP_2)
	v_cndmask_b32_e32 v32, v32, v12, vcc_lo
	v_cmp_eq_u32_e32 vcc_lo, 11, v0
	v_cndmask_b32_e32 v32, v32, v13, vcc_lo
	v_cmp_eq_u32_e32 vcc_lo, 12, v0
	s_delay_alu instid0(VALU_DEP_2) | instskip(SKIP_1) | instid1(VALU_DEP_2)
	v_cndmask_b32_e32 v32, v32, v14, vcc_lo
	v_cmp_eq_u32_e32 vcc_lo, 13, v0
	v_cndmask_b32_e32 v32, v32, v15, vcc_lo
	v_cmp_eq_u32_e32 vcc_lo, 14, v0
	s_delay_alu instid0(VALU_DEP_2) | instskip(SKIP_1) | instid1(VALU_DEP_2)
	v_cndmask_b32_e32 v32, v32, v16, vcc_lo
	v_cmp_eq_u32_e32 vcc_lo, 15, v0
	v_cndmask_b32_e32 v32, v32, v17, vcc_lo
	v_cmp_eq_u32_e32 vcc_lo, 16, v0
	s_delay_alu instid0(VALU_DEP_2) | instskip(SKIP_1) | instid1(VALU_DEP_2)
	v_cndmask_b32_e32 v32, v32, v18, vcc_lo
	v_cmp_eq_u32_e32 vcc_lo, 17, v0
	v_cndmask_b32_e32 v32, v32, v19, vcc_lo
	v_cmp_eq_u32_e32 vcc_lo, 18, v0
	s_delay_alu instid0(VALU_DEP_2) | instskip(SKIP_1) | instid1(VALU_DEP_2)
	v_cndmask_b32_e32 v32, v32, v20, vcc_lo
	v_cmp_eq_u32_e32 vcc_lo, 19, v0
	v_cndmask_b32_e32 v32, v32, v21, vcc_lo
	v_cmp_eq_u32_e32 vcc_lo, 20, v0
	s_delay_alu instid0(VALU_DEP_2) | instskip(SKIP_1) | instid1(VALU_DEP_2)
	v_cndmask_b32_e32 v32, v32, v22, vcc_lo
	v_cmp_eq_u32_e32 vcc_lo, 21, v0
	v_cndmask_b32_e32 v32, v32, v23, vcc_lo
	v_cmp_eq_u32_e32 vcc_lo, 22, v0
	s_delay_alu instid0(VALU_DEP_2) | instskip(SKIP_1) | instid1(VALU_DEP_2)
	v_cndmask_b32_e32 v32, v32, v24, vcc_lo
	v_cmp_eq_u32_e32 vcc_lo, 23, v0
	v_cndmask_b32_e32 v32, v32, v25, vcc_lo
	v_cmp_eq_u32_e32 vcc_lo, 24, v0
	s_delay_alu instid0(VALU_DEP_2) | instskip(SKIP_1) | instid1(VALU_DEP_2)
	v_cndmask_b32_e32 v32, v32, v26, vcc_lo
	v_cmp_eq_u32_e32 vcc_lo, 25, v0
	v_cndmask_b32_e32 v32, v32, v27, vcc_lo
	v_cmp_eq_u32_e32 vcc_lo, 26, v0
	s_delay_alu instid0(VALU_DEP_2) | instskip(SKIP_1) | instid1(VALU_DEP_2)
	v_cndmask_b32_e32 v32, v32, v28, vcc_lo
	v_cmp_eq_u32_e32 vcc_lo, 27, v0
	v_cndmask_b32_e32 v32, v32, v29, vcc_lo
	v_cmp_eq_u32_e32 vcc_lo, 28, v0
	s_delay_alu instid0(VALU_DEP_2) | instskip(SKIP_1) | instid1(VALU_DEP_2)
	v_cndmask_b32_e32 v32, v32, v30, vcc_lo
	v_cmp_eq_u32_e32 vcc_lo, 29, v0
	v_cndmask_b32_e32 v32, v32, v31, vcc_lo
	s_wait_dscnt 0x0
	s_delay_alu instid0(VALU_DEP_1)
	v_mul_f32_e32 v35, v32, v33
	s_cbranch_execz .LBB29_676
	s_branch .LBB29_677
.LBB29_675:
                                        ; implicit-def: $vgpr35
.LBB29_676:
	ds_load_b32 v35, v129
.LBB29_677:
	s_mov_b32 s1, exec_lo
	v_cmpx_ne_u32_e32 22, v0
	s_cbranch_execz .LBB29_681
; %bb.678:
	v_mov_b64_e32 v[32:33], v[0:1]
	v_lshl_add_u32 v36, v0, 2, 0x84
	s_mov_b32 s2, 0
.LBB29_679:                             ; =>This Inner Loop Header: Depth=1
	s_delay_alu instid0(VALU_DEP_2)
	v_add_nc_u64_e32 v[32:33], 1, v[32:33]
	ds_load_b32 v38, v36
	v_add_nc_u32_e32 v36, 4, v36
	v_cmp_eq_u32_e32 vcc_lo, 1, v32
	v_cndmask_b32_e32 v37, v2, v3, vcc_lo
	v_cmp_eq_u32_e32 vcc_lo, 2, v32
	s_delay_alu instid0(VALU_DEP_2) | instskip(SKIP_1) | instid1(VALU_DEP_2)
	v_cndmask_b32_e32 v37, v37, v4, vcc_lo
	v_cmp_eq_u32_e32 vcc_lo, 3, v32
	v_cndmask_b32_e32 v37, v37, v5, vcc_lo
	v_cmp_eq_u32_e32 vcc_lo, 4, v32
	s_delay_alu instid0(VALU_DEP_2) | instskip(SKIP_1) | instid1(VALU_DEP_2)
	v_cndmask_b32_e32 v37, v37, v6, vcc_lo
	;; [unrolled: 5-line block ×14, first 2 shown]
	v_cmp_eq_u32_e32 vcc_lo, 29, v32
	v_cndmask_b32_e32 v37, v37, v31, vcc_lo
	v_cmp_lt_u32_e32 vcc_lo, 21, v32
	s_wait_dscnt 0x0
	s_delay_alu instid0(VALU_DEP_2) | instskip(SKIP_1) | instid1(SALU_CYCLE_1)
	v_fmac_f32_e32 v35, v37, v38
	s_or_b32 s2, vcc_lo, s2
	s_and_not1_b32 exec_lo, exec_lo, s2
	s_cbranch_execnz .LBB29_679
; %bb.680:
	s_or_b32 exec_lo, exec_lo, s2
.LBB29_681:
	s_delay_alu instid0(SALU_CYCLE_1)
	s_or_b32 exec_lo, exec_lo, s1
	v_mov_b32_e32 v25, 0
	ds_load_b32 v25, v25 offset:92
	s_wait_dscnt 0x0
	v_mul_f32_e32 v25, v35, v25
.LBB29_682:
	s_or_b32 exec_lo, exec_lo, s0
	s_delay_alu instid0(SALU_CYCLE_1)
	s_mov_b32 s0, exec_lo
	ds_store_b32 v129, v26
	s_wait_dscnt 0x0
	s_barrier_signal -1
	s_barrier_wait -1
	v_cmpx_gt_u32_e32 24, v0
	s_cbranch_execz .LBB29_692
; %bb.683:
	v_cmp_ne_u32_e32 vcc_lo, 1, v34
	s_cbranch_vccnz .LBB29_685
; %bb.684:
	v_cmp_eq_u32_e32 vcc_lo, 1, v0
	ds_load_b32 v33, v129
	v_cndmask_b32_e32 v32, v2, v3, vcc_lo
	v_cmp_eq_u32_e32 vcc_lo, 2, v0
	s_delay_alu instid0(VALU_DEP_2) | instskip(SKIP_1) | instid1(VALU_DEP_2)
	v_cndmask_b32_e32 v32, v32, v4, vcc_lo
	v_cmp_eq_u32_e32 vcc_lo, 3, v0
	v_cndmask_b32_e32 v32, v32, v5, vcc_lo
	v_cmp_eq_u32_e32 vcc_lo, 4, v0
	s_delay_alu instid0(VALU_DEP_2) | instskip(SKIP_1) | instid1(VALU_DEP_2)
	v_cndmask_b32_e32 v32, v32, v6, vcc_lo
	v_cmp_eq_u32_e32 vcc_lo, 5, v0
	;; [unrolled: 5-line block ×14, first 2 shown]
	v_cndmask_b32_e32 v32, v32, v31, vcc_lo
	s_wait_dscnt 0x0
	s_delay_alu instid0(VALU_DEP_1)
	v_mul_f32_e32 v35, v32, v33
	s_cbranch_execz .LBB29_686
	s_branch .LBB29_687
.LBB29_685:
                                        ; implicit-def: $vgpr35
.LBB29_686:
	ds_load_b32 v35, v129
.LBB29_687:
	s_mov_b32 s1, exec_lo
	v_cmpx_ne_u32_e32 23, v0
	s_cbranch_execz .LBB29_691
; %bb.688:
	v_mov_b64_e32 v[32:33], v[0:1]
	v_lshl_add_u32 v36, v0, 2, 0x84
	s_mov_b32 s2, 0
.LBB29_689:                             ; =>This Inner Loop Header: Depth=1
	s_delay_alu instid0(VALU_DEP_2)
	v_add_nc_u64_e32 v[32:33], 1, v[32:33]
	ds_load_b32 v38, v36
	v_add_nc_u32_e32 v36, 4, v36
	v_cmp_eq_u32_e32 vcc_lo, 1, v32
	v_cndmask_b32_e32 v37, v2, v3, vcc_lo
	v_cmp_eq_u32_e32 vcc_lo, 2, v32
	s_delay_alu instid0(VALU_DEP_2) | instskip(SKIP_1) | instid1(VALU_DEP_2)
	v_cndmask_b32_e32 v37, v37, v4, vcc_lo
	v_cmp_eq_u32_e32 vcc_lo, 3, v32
	v_cndmask_b32_e32 v37, v37, v5, vcc_lo
	v_cmp_eq_u32_e32 vcc_lo, 4, v32
	s_delay_alu instid0(VALU_DEP_2) | instskip(SKIP_1) | instid1(VALU_DEP_2)
	v_cndmask_b32_e32 v37, v37, v6, vcc_lo
	;; [unrolled: 5-line block ×14, first 2 shown]
	v_cmp_eq_u32_e32 vcc_lo, 29, v32
	v_cndmask_b32_e32 v37, v37, v31, vcc_lo
	v_cmp_lt_u32_e32 vcc_lo, 22, v32
	s_wait_dscnt 0x0
	s_delay_alu instid0(VALU_DEP_2) | instskip(SKIP_1) | instid1(SALU_CYCLE_1)
	v_fmac_f32_e32 v35, v37, v38
	s_or_b32 s2, vcc_lo, s2
	s_and_not1_b32 exec_lo, exec_lo, s2
	s_cbranch_execnz .LBB29_689
; %bb.690:
	s_or_b32 exec_lo, exec_lo, s2
.LBB29_691:
	s_delay_alu instid0(SALU_CYCLE_1)
	s_or_b32 exec_lo, exec_lo, s1
	v_mov_b32_e32 v26, 0
	ds_load_b32 v26, v26 offset:96
	s_wait_dscnt 0x0
	v_mul_f32_e32 v26, v35, v26
.LBB29_692:
	s_or_b32 exec_lo, exec_lo, s0
	s_delay_alu instid0(SALU_CYCLE_1)
	s_mov_b32 s0, exec_lo
	ds_store_b32 v129, v27
	s_wait_dscnt 0x0
	s_barrier_signal -1
	s_barrier_wait -1
	v_cmpx_gt_u32_e32 25, v0
	s_cbranch_execz .LBB29_702
; %bb.693:
	v_cmp_ne_u32_e32 vcc_lo, 1, v34
	s_cbranch_vccnz .LBB29_695
; %bb.694:
	v_cmp_eq_u32_e32 vcc_lo, 1, v0
	ds_load_b32 v33, v129
	v_cndmask_b32_e32 v32, v2, v3, vcc_lo
	v_cmp_eq_u32_e32 vcc_lo, 2, v0
	s_delay_alu instid0(VALU_DEP_2) | instskip(SKIP_1) | instid1(VALU_DEP_2)
	v_cndmask_b32_e32 v32, v32, v4, vcc_lo
	v_cmp_eq_u32_e32 vcc_lo, 3, v0
	v_cndmask_b32_e32 v32, v32, v5, vcc_lo
	v_cmp_eq_u32_e32 vcc_lo, 4, v0
	s_delay_alu instid0(VALU_DEP_2) | instskip(SKIP_1) | instid1(VALU_DEP_2)
	v_cndmask_b32_e32 v32, v32, v6, vcc_lo
	v_cmp_eq_u32_e32 vcc_lo, 5, v0
	;; [unrolled: 5-line block ×14, first 2 shown]
	v_cndmask_b32_e32 v32, v32, v31, vcc_lo
	s_wait_dscnt 0x0
	s_delay_alu instid0(VALU_DEP_1)
	v_mul_f32_e32 v35, v32, v33
	s_cbranch_execz .LBB29_696
	s_branch .LBB29_697
.LBB29_695:
                                        ; implicit-def: $vgpr35
.LBB29_696:
	ds_load_b32 v35, v129
.LBB29_697:
	s_mov_b32 s1, exec_lo
	v_cmpx_ne_u32_e32 24, v0
	s_cbranch_execz .LBB29_701
; %bb.698:
	v_mov_b64_e32 v[32:33], v[0:1]
	v_lshl_add_u32 v36, v0, 2, 0x84
	s_mov_b32 s2, 0
.LBB29_699:                             ; =>This Inner Loop Header: Depth=1
	s_delay_alu instid0(VALU_DEP_2)
	v_add_nc_u64_e32 v[32:33], 1, v[32:33]
	ds_load_b32 v38, v36
	v_add_nc_u32_e32 v36, 4, v36
	v_cmp_eq_u32_e32 vcc_lo, 1, v32
	v_cndmask_b32_e32 v37, v2, v3, vcc_lo
	v_cmp_eq_u32_e32 vcc_lo, 2, v32
	s_delay_alu instid0(VALU_DEP_2) | instskip(SKIP_1) | instid1(VALU_DEP_2)
	v_cndmask_b32_e32 v37, v37, v4, vcc_lo
	v_cmp_eq_u32_e32 vcc_lo, 3, v32
	v_cndmask_b32_e32 v37, v37, v5, vcc_lo
	v_cmp_eq_u32_e32 vcc_lo, 4, v32
	s_delay_alu instid0(VALU_DEP_2) | instskip(SKIP_1) | instid1(VALU_DEP_2)
	v_cndmask_b32_e32 v37, v37, v6, vcc_lo
	;; [unrolled: 5-line block ×14, first 2 shown]
	v_cmp_eq_u32_e32 vcc_lo, 29, v32
	v_cndmask_b32_e32 v37, v37, v31, vcc_lo
	v_cmp_lt_u32_e32 vcc_lo, 23, v32
	s_wait_dscnt 0x0
	s_delay_alu instid0(VALU_DEP_2) | instskip(SKIP_1) | instid1(SALU_CYCLE_1)
	v_fmac_f32_e32 v35, v37, v38
	s_or_b32 s2, vcc_lo, s2
	s_and_not1_b32 exec_lo, exec_lo, s2
	s_cbranch_execnz .LBB29_699
; %bb.700:
	s_or_b32 exec_lo, exec_lo, s2
.LBB29_701:
	s_delay_alu instid0(SALU_CYCLE_1)
	s_or_b32 exec_lo, exec_lo, s1
	v_mov_b32_e32 v27, 0
	ds_load_b32 v27, v27 offset:100
	s_wait_dscnt 0x0
	v_mul_f32_e32 v27, v35, v27
.LBB29_702:
	s_or_b32 exec_lo, exec_lo, s0
	s_delay_alu instid0(SALU_CYCLE_1)
	s_mov_b32 s0, exec_lo
	ds_store_b32 v129, v28
	s_wait_dscnt 0x0
	s_barrier_signal -1
	s_barrier_wait -1
	v_cmpx_gt_u32_e32 26, v0
	s_cbranch_execz .LBB29_712
; %bb.703:
	v_cmp_ne_u32_e32 vcc_lo, 1, v34
	s_cbranch_vccnz .LBB29_705
; %bb.704:
	v_cmp_eq_u32_e32 vcc_lo, 1, v0
	ds_load_b32 v33, v129
	v_cndmask_b32_e32 v32, v2, v3, vcc_lo
	v_cmp_eq_u32_e32 vcc_lo, 2, v0
	s_delay_alu instid0(VALU_DEP_2) | instskip(SKIP_1) | instid1(VALU_DEP_2)
	v_cndmask_b32_e32 v32, v32, v4, vcc_lo
	v_cmp_eq_u32_e32 vcc_lo, 3, v0
	v_cndmask_b32_e32 v32, v32, v5, vcc_lo
	v_cmp_eq_u32_e32 vcc_lo, 4, v0
	s_delay_alu instid0(VALU_DEP_2) | instskip(SKIP_1) | instid1(VALU_DEP_2)
	v_cndmask_b32_e32 v32, v32, v6, vcc_lo
	v_cmp_eq_u32_e32 vcc_lo, 5, v0
	v_cndmask_b32_e32 v32, v32, v7, vcc_lo
	v_cmp_eq_u32_e32 vcc_lo, 6, v0
	s_delay_alu instid0(VALU_DEP_2) | instskip(SKIP_1) | instid1(VALU_DEP_2)
	v_cndmask_b32_e32 v32, v32, v8, vcc_lo
	v_cmp_eq_u32_e32 vcc_lo, 7, v0
	v_cndmask_b32_e32 v32, v32, v9, vcc_lo
	v_cmp_eq_u32_e32 vcc_lo, 8, v0
	s_delay_alu instid0(VALU_DEP_2) | instskip(SKIP_1) | instid1(VALU_DEP_2)
	v_cndmask_b32_e32 v32, v32, v10, vcc_lo
	v_cmp_eq_u32_e32 vcc_lo, 9, v0
	v_cndmask_b32_e32 v32, v32, v11, vcc_lo
	v_cmp_eq_u32_e32 vcc_lo, 10, v0
	s_delay_alu instid0(VALU_DEP_2) | instskip(SKIP_1) | instid1(VALU_DEP_2)
	v_cndmask_b32_e32 v32, v32, v12, vcc_lo
	v_cmp_eq_u32_e32 vcc_lo, 11, v0
	v_cndmask_b32_e32 v32, v32, v13, vcc_lo
	v_cmp_eq_u32_e32 vcc_lo, 12, v0
	s_delay_alu instid0(VALU_DEP_2) | instskip(SKIP_1) | instid1(VALU_DEP_2)
	v_cndmask_b32_e32 v32, v32, v14, vcc_lo
	v_cmp_eq_u32_e32 vcc_lo, 13, v0
	v_cndmask_b32_e32 v32, v32, v15, vcc_lo
	v_cmp_eq_u32_e32 vcc_lo, 14, v0
	s_delay_alu instid0(VALU_DEP_2) | instskip(SKIP_1) | instid1(VALU_DEP_2)
	v_cndmask_b32_e32 v32, v32, v16, vcc_lo
	v_cmp_eq_u32_e32 vcc_lo, 15, v0
	v_cndmask_b32_e32 v32, v32, v17, vcc_lo
	v_cmp_eq_u32_e32 vcc_lo, 16, v0
	s_delay_alu instid0(VALU_DEP_2) | instskip(SKIP_1) | instid1(VALU_DEP_2)
	v_cndmask_b32_e32 v32, v32, v18, vcc_lo
	v_cmp_eq_u32_e32 vcc_lo, 17, v0
	v_cndmask_b32_e32 v32, v32, v19, vcc_lo
	v_cmp_eq_u32_e32 vcc_lo, 18, v0
	s_delay_alu instid0(VALU_DEP_2) | instskip(SKIP_1) | instid1(VALU_DEP_2)
	v_cndmask_b32_e32 v32, v32, v20, vcc_lo
	v_cmp_eq_u32_e32 vcc_lo, 19, v0
	v_cndmask_b32_e32 v32, v32, v21, vcc_lo
	v_cmp_eq_u32_e32 vcc_lo, 20, v0
	s_delay_alu instid0(VALU_DEP_2) | instskip(SKIP_1) | instid1(VALU_DEP_2)
	v_cndmask_b32_e32 v32, v32, v22, vcc_lo
	v_cmp_eq_u32_e32 vcc_lo, 21, v0
	v_cndmask_b32_e32 v32, v32, v23, vcc_lo
	v_cmp_eq_u32_e32 vcc_lo, 22, v0
	s_delay_alu instid0(VALU_DEP_2) | instskip(SKIP_1) | instid1(VALU_DEP_2)
	v_cndmask_b32_e32 v32, v32, v24, vcc_lo
	v_cmp_eq_u32_e32 vcc_lo, 23, v0
	v_cndmask_b32_e32 v32, v32, v25, vcc_lo
	v_cmp_eq_u32_e32 vcc_lo, 24, v0
	s_delay_alu instid0(VALU_DEP_2) | instskip(SKIP_1) | instid1(VALU_DEP_2)
	v_cndmask_b32_e32 v32, v32, v26, vcc_lo
	v_cmp_eq_u32_e32 vcc_lo, 25, v0
	v_cndmask_b32_e32 v32, v32, v27, vcc_lo
	v_cmp_eq_u32_e32 vcc_lo, 26, v0
	s_delay_alu instid0(VALU_DEP_2) | instskip(SKIP_1) | instid1(VALU_DEP_2)
	v_cndmask_b32_e32 v32, v32, v28, vcc_lo
	v_cmp_eq_u32_e32 vcc_lo, 27, v0
	v_cndmask_b32_e32 v32, v32, v29, vcc_lo
	v_cmp_eq_u32_e32 vcc_lo, 28, v0
	s_delay_alu instid0(VALU_DEP_2) | instskip(SKIP_1) | instid1(VALU_DEP_2)
	v_cndmask_b32_e32 v32, v32, v30, vcc_lo
	v_cmp_eq_u32_e32 vcc_lo, 29, v0
	v_cndmask_b32_e32 v32, v32, v31, vcc_lo
	s_wait_dscnt 0x0
	s_delay_alu instid0(VALU_DEP_1)
	v_mul_f32_e32 v35, v32, v33
	s_cbranch_execz .LBB29_706
	s_branch .LBB29_707
.LBB29_705:
                                        ; implicit-def: $vgpr35
.LBB29_706:
	ds_load_b32 v35, v129
.LBB29_707:
	s_mov_b32 s1, exec_lo
	v_cmpx_ne_u32_e32 25, v0
	s_cbranch_execz .LBB29_711
; %bb.708:
	v_mov_b64_e32 v[32:33], v[0:1]
	v_lshl_add_u32 v36, v0, 2, 0x84
	s_mov_b32 s2, 0
.LBB29_709:                             ; =>This Inner Loop Header: Depth=1
	s_delay_alu instid0(VALU_DEP_2)
	v_add_nc_u64_e32 v[32:33], 1, v[32:33]
	ds_load_b32 v38, v36
	v_add_nc_u32_e32 v36, 4, v36
	v_cmp_eq_u32_e32 vcc_lo, 1, v32
	v_cndmask_b32_e32 v37, v2, v3, vcc_lo
	v_cmp_eq_u32_e32 vcc_lo, 2, v32
	s_delay_alu instid0(VALU_DEP_2) | instskip(SKIP_1) | instid1(VALU_DEP_2)
	v_cndmask_b32_e32 v37, v37, v4, vcc_lo
	v_cmp_eq_u32_e32 vcc_lo, 3, v32
	v_cndmask_b32_e32 v37, v37, v5, vcc_lo
	v_cmp_eq_u32_e32 vcc_lo, 4, v32
	s_delay_alu instid0(VALU_DEP_2) | instskip(SKIP_1) | instid1(VALU_DEP_2)
	v_cndmask_b32_e32 v37, v37, v6, vcc_lo
	;; [unrolled: 5-line block ×14, first 2 shown]
	v_cmp_eq_u32_e32 vcc_lo, 29, v32
	v_cndmask_b32_e32 v37, v37, v31, vcc_lo
	v_cmp_lt_u32_e32 vcc_lo, 24, v32
	s_wait_dscnt 0x0
	s_delay_alu instid0(VALU_DEP_2) | instskip(SKIP_1) | instid1(SALU_CYCLE_1)
	v_fmac_f32_e32 v35, v37, v38
	s_or_b32 s2, vcc_lo, s2
	s_and_not1_b32 exec_lo, exec_lo, s2
	s_cbranch_execnz .LBB29_709
; %bb.710:
	s_or_b32 exec_lo, exec_lo, s2
.LBB29_711:
	s_delay_alu instid0(SALU_CYCLE_1)
	s_or_b32 exec_lo, exec_lo, s1
	v_mov_b32_e32 v28, 0
	ds_load_b32 v28, v28 offset:104
	s_wait_dscnt 0x0
	v_mul_f32_e32 v28, v35, v28
.LBB29_712:
	s_or_b32 exec_lo, exec_lo, s0
	s_delay_alu instid0(SALU_CYCLE_1)
	s_mov_b32 s0, exec_lo
	ds_store_b32 v129, v29
	s_wait_dscnt 0x0
	s_barrier_signal -1
	s_barrier_wait -1
	v_cmpx_gt_u32_e32 27, v0
	s_cbranch_execz .LBB29_722
; %bb.713:
	v_cmp_ne_u32_e32 vcc_lo, 1, v34
	s_cbranch_vccnz .LBB29_715
; %bb.714:
	v_cmp_eq_u32_e32 vcc_lo, 1, v0
	ds_load_b32 v33, v129
	v_cndmask_b32_e32 v32, v2, v3, vcc_lo
	v_cmp_eq_u32_e32 vcc_lo, 2, v0
	s_delay_alu instid0(VALU_DEP_2) | instskip(SKIP_1) | instid1(VALU_DEP_2)
	v_cndmask_b32_e32 v32, v32, v4, vcc_lo
	v_cmp_eq_u32_e32 vcc_lo, 3, v0
	v_cndmask_b32_e32 v32, v32, v5, vcc_lo
	v_cmp_eq_u32_e32 vcc_lo, 4, v0
	s_delay_alu instid0(VALU_DEP_2) | instskip(SKIP_1) | instid1(VALU_DEP_2)
	v_cndmask_b32_e32 v32, v32, v6, vcc_lo
	v_cmp_eq_u32_e32 vcc_lo, 5, v0
	;; [unrolled: 5-line block ×14, first 2 shown]
	v_cndmask_b32_e32 v32, v32, v31, vcc_lo
	s_wait_dscnt 0x0
	s_delay_alu instid0(VALU_DEP_1)
	v_mul_f32_e32 v35, v32, v33
	s_cbranch_execz .LBB29_716
	s_branch .LBB29_717
.LBB29_715:
                                        ; implicit-def: $vgpr35
.LBB29_716:
	ds_load_b32 v35, v129
.LBB29_717:
	s_mov_b32 s1, exec_lo
	v_cmpx_ne_u32_e32 26, v0
	s_cbranch_execz .LBB29_721
; %bb.718:
	v_mov_b64_e32 v[32:33], v[0:1]
	v_lshl_add_u32 v36, v0, 2, 0x84
	s_mov_b32 s2, 0
.LBB29_719:                             ; =>This Inner Loop Header: Depth=1
	s_delay_alu instid0(VALU_DEP_2)
	v_add_nc_u64_e32 v[32:33], 1, v[32:33]
	ds_load_b32 v38, v36
	v_add_nc_u32_e32 v36, 4, v36
	v_cmp_eq_u32_e32 vcc_lo, 1, v32
	v_cndmask_b32_e32 v37, v2, v3, vcc_lo
	v_cmp_eq_u32_e32 vcc_lo, 2, v32
	s_delay_alu instid0(VALU_DEP_2) | instskip(SKIP_1) | instid1(VALU_DEP_2)
	v_cndmask_b32_e32 v37, v37, v4, vcc_lo
	v_cmp_eq_u32_e32 vcc_lo, 3, v32
	v_cndmask_b32_e32 v37, v37, v5, vcc_lo
	v_cmp_eq_u32_e32 vcc_lo, 4, v32
	s_delay_alu instid0(VALU_DEP_2) | instskip(SKIP_1) | instid1(VALU_DEP_2)
	v_cndmask_b32_e32 v37, v37, v6, vcc_lo
	;; [unrolled: 5-line block ×14, first 2 shown]
	v_cmp_eq_u32_e32 vcc_lo, 29, v32
	v_cndmask_b32_e32 v37, v37, v31, vcc_lo
	v_cmp_lt_u32_e32 vcc_lo, 25, v32
	s_wait_dscnt 0x0
	s_delay_alu instid0(VALU_DEP_2) | instskip(SKIP_1) | instid1(SALU_CYCLE_1)
	v_fmac_f32_e32 v35, v37, v38
	s_or_b32 s2, vcc_lo, s2
	s_and_not1_b32 exec_lo, exec_lo, s2
	s_cbranch_execnz .LBB29_719
; %bb.720:
	s_or_b32 exec_lo, exec_lo, s2
.LBB29_721:
	s_delay_alu instid0(SALU_CYCLE_1)
	s_or_b32 exec_lo, exec_lo, s1
	v_mov_b32_e32 v29, 0
	ds_load_b32 v29, v29 offset:108
	s_wait_dscnt 0x0
	v_mul_f32_e32 v29, v35, v29
.LBB29_722:
	s_or_b32 exec_lo, exec_lo, s0
	v_cmp_gt_u32_e64 s0, 28, v0
	ds_store_b32 v129, v30
	s_wait_dscnt 0x0
	s_barrier_signal -1
	s_barrier_wait -1
	s_and_saveexec_b32 s1, s0
	s_cbranch_execz .LBB29_732
; %bb.723:
	v_cmp_ne_u32_e32 vcc_lo, 1, v34
	s_cbranch_vccnz .LBB29_725
; %bb.724:
	v_cmp_eq_u32_e32 vcc_lo, 1, v0
	ds_load_b32 v33, v129
	v_cndmask_b32_e32 v32, v2, v3, vcc_lo
	v_cmp_eq_u32_e32 vcc_lo, 2, v0
	s_delay_alu instid0(VALU_DEP_2) | instskip(SKIP_1) | instid1(VALU_DEP_2)
	v_cndmask_b32_e32 v32, v32, v4, vcc_lo
	v_cmp_eq_u32_e32 vcc_lo, 3, v0
	v_cndmask_b32_e32 v32, v32, v5, vcc_lo
	v_cmp_eq_u32_e32 vcc_lo, 4, v0
	s_delay_alu instid0(VALU_DEP_2) | instskip(SKIP_1) | instid1(VALU_DEP_2)
	v_cndmask_b32_e32 v32, v32, v6, vcc_lo
	v_cmp_eq_u32_e32 vcc_lo, 5, v0
	;; [unrolled: 5-line block ×14, first 2 shown]
	v_cndmask_b32_e32 v32, v32, v31, vcc_lo
	s_wait_dscnt 0x0
	s_delay_alu instid0(VALU_DEP_1)
	v_mul_f32_e32 v35, v32, v33
	s_cbranch_execz .LBB29_726
	s_branch .LBB29_727
.LBB29_725:
                                        ; implicit-def: $vgpr35
.LBB29_726:
	ds_load_b32 v35, v129
.LBB29_727:
	s_mov_b32 s2, exec_lo
	v_cmpx_ne_u32_e32 27, v0
	s_cbranch_execz .LBB29_731
; %bb.728:
	v_mov_b64_e32 v[32:33], v[0:1]
	v_lshl_add_u32 v36, v0, 2, 0x84
	s_mov_b32 s3, 0
.LBB29_729:                             ; =>This Inner Loop Header: Depth=1
	s_delay_alu instid0(VALU_DEP_2)
	v_add_nc_u64_e32 v[32:33], 1, v[32:33]
	ds_load_b32 v38, v36
	v_add_nc_u32_e32 v36, 4, v36
	v_cmp_eq_u32_e32 vcc_lo, 1, v32
	v_cndmask_b32_e32 v37, v2, v3, vcc_lo
	v_cmp_eq_u32_e32 vcc_lo, 2, v32
	s_delay_alu instid0(VALU_DEP_2) | instskip(SKIP_1) | instid1(VALU_DEP_2)
	v_cndmask_b32_e32 v37, v37, v4, vcc_lo
	v_cmp_eq_u32_e32 vcc_lo, 3, v32
	v_cndmask_b32_e32 v37, v37, v5, vcc_lo
	v_cmp_eq_u32_e32 vcc_lo, 4, v32
	s_delay_alu instid0(VALU_DEP_2) | instskip(SKIP_1) | instid1(VALU_DEP_2)
	v_cndmask_b32_e32 v37, v37, v6, vcc_lo
	;; [unrolled: 5-line block ×14, first 2 shown]
	v_cmp_eq_u32_e32 vcc_lo, 29, v32
	v_cndmask_b32_e32 v37, v37, v31, vcc_lo
	v_cmp_lt_u32_e32 vcc_lo, 26, v32
	s_wait_dscnt 0x0
	s_delay_alu instid0(VALU_DEP_2) | instskip(SKIP_1) | instid1(SALU_CYCLE_1)
	v_fmac_f32_e32 v35, v37, v38
	s_or_b32 s3, vcc_lo, s3
	s_and_not1_b32 exec_lo, exec_lo, s3
	s_cbranch_execnz .LBB29_729
; %bb.730:
	s_or_b32 exec_lo, exec_lo, s3
.LBB29_731:
	s_delay_alu instid0(SALU_CYCLE_1)
	s_or_b32 exec_lo, exec_lo, s2
	v_mov_b32_e32 v30, 0
	ds_load_b32 v30, v30 offset:112
	s_wait_dscnt 0x0
	v_mul_f32_e32 v30, v35, v30
.LBB29_732:
	s_or_b32 exec_lo, exec_lo, s1
	s_delay_alu instid0(SALU_CYCLE_1)
	s_mov_b32 s1, exec_lo
	ds_store_b32 v129, v31
	s_wait_dscnt 0x0
	s_barrier_signal -1
	s_barrier_wait -1
	v_cmpx_ne_u32_e32 29, v0
	s_cbranch_execz .LBB29_742
; %bb.733:
	v_cmp_ne_u32_e32 vcc_lo, 1, v34
	s_cbranch_vccnz .LBB29_735
; %bb.734:
	v_cmp_eq_u32_e32 vcc_lo, 1, v0
	ds_load_b32 v33, v129
	v_cndmask_b32_e32 v32, v2, v3, vcc_lo
	v_cmp_eq_u32_e32 vcc_lo, 2, v0
	s_delay_alu instid0(VALU_DEP_2) | instskip(SKIP_1) | instid1(VALU_DEP_2)
	v_cndmask_b32_e32 v32, v32, v4, vcc_lo
	v_cmp_eq_u32_e32 vcc_lo, 3, v0
	v_cndmask_b32_e32 v32, v32, v5, vcc_lo
	v_cmp_eq_u32_e32 vcc_lo, 4, v0
	s_delay_alu instid0(VALU_DEP_2) | instskip(SKIP_1) | instid1(VALU_DEP_2)
	v_cndmask_b32_e32 v32, v32, v6, vcc_lo
	v_cmp_eq_u32_e32 vcc_lo, 5, v0
	;; [unrolled: 5-line block ×14, first 2 shown]
	v_cndmask_b32_e32 v32, v32, v31, vcc_lo
	s_wait_dscnt 0x0
	s_delay_alu instid0(VALU_DEP_1)
	v_mul_f32_e32 v32, v32, v33
	s_cbranch_execz .LBB29_736
	s_branch .LBB29_737
.LBB29_735:
                                        ; implicit-def: $vgpr32
.LBB29_736:
	ds_load_b32 v32, v129
.LBB29_737:
	s_and_saveexec_b32 s2, s0
	s_cbranch_execz .LBB29_741
; %bb.738:
	v_lshl_add_u32 v33, v0, 2, 0x84
	s_mov_b32 s0, 0
.LBB29_739:                             ; =>This Inner Loop Header: Depth=1
	v_add_nc_u64_e32 v[0:1], 1, v[0:1]
	ds_load_b32 v35, v33
	v_add_nc_u32_e32 v33, 4, v33
	v_cmp_eq_u32_e32 vcc_lo, 1, v0
	v_cndmask_b32_e32 v34, v2, v3, vcc_lo
	v_cmp_eq_u32_e32 vcc_lo, 2, v0
	s_delay_alu instid0(VALU_DEP_2) | instskip(SKIP_1) | instid1(VALU_DEP_2)
	v_cndmask_b32_e32 v34, v34, v4, vcc_lo
	v_cmp_eq_u32_e32 vcc_lo, 3, v0
	v_cndmask_b32_e32 v34, v34, v5, vcc_lo
	v_cmp_eq_u32_e32 vcc_lo, 4, v0
	s_delay_alu instid0(VALU_DEP_2) | instskip(SKIP_1) | instid1(VALU_DEP_2)
	v_cndmask_b32_e32 v34, v34, v6, vcc_lo
	;; [unrolled: 5-line block ×14, first 2 shown]
	v_cmp_eq_u32_e32 vcc_lo, 29, v0
	v_cndmask_b32_e32 v34, v34, v31, vcc_lo
	v_cmp_lt_u32_e32 vcc_lo, 27, v0
	s_wait_dscnt 0x0
	s_delay_alu instid0(VALU_DEP_2) | instskip(SKIP_1) | instid1(SALU_CYCLE_1)
	v_fmac_f32_e32 v32, v34, v35
	s_or_b32 s0, vcc_lo, s0
	s_and_not1_b32 exec_lo, exec_lo, s0
	s_cbranch_execnz .LBB29_739
; %bb.740:
	s_or_b32 exec_lo, exec_lo, s0
.LBB29_741:
	s_delay_alu instid0(SALU_CYCLE_1)
	s_or_b32 exec_lo, exec_lo, s2
	v_mov_b32_e32 v0, 0
	ds_load_b32 v0, v0 offset:116
	s_wait_dscnt 0x0
	v_mul_f32_e32 v31, v32, v0
.LBB29_742:
	s_or_b32 exec_lo, exec_lo, s1
	v_mov_b64_e32 v[64:65], v[32:33]
	s_delay_alu instid0(VALU_DEP_2)
	v_mov_b64_e32 v[62:63], v[30:31]
	v_mov_b64_e32 v[60:61], v[28:29]
	;; [unrolled: 1-line block ×15, first 2 shown]
.LBB29_743:
	s_wait_xcnt 0x5
	v_lshl_add_u64 v[0:1], v[66:67], 2, s[30:31]
	s_wait_loadcnt 0x5
	v_lshl_add_u64 v[2:3], v[68:69], 2, s[30:31]
	v_lshl_add_u64 v[4:5], v[70:71], 2, s[30:31]
	;; [unrolled: 1-line block ×12, first 2 shown]
	s_wait_loadcnt 0x4
	v_lshl_add_u64 v[26:27], v[92:93], 2, s[30:31]
	s_wait_loadcnt 0x2
	v_lshl_add_u64 v[28:29], v[94:95], 2, s[30:31]
	;; [unrolled: 2-line block ×3, first 2 shown]
	v_lshl_add_u64 v[32:33], v[98:99], 2, s[30:31]
	v_lshl_add_u64 v[64:65], v[100:101], 2, s[30:31]
	;; [unrolled: 1-line block ×12, first 2 shown]
	s_clause 0x1d
	global_store_b32 v[106:107], v34, off
	global_store_b32 v[110:111], v35, off
	;; [unrolled: 1-line block ×30, first 2 shown]
.LBB29_744:
	s_sendmsg sendmsg(MSG_DEALLOC_VGPRS)
	s_endpgm
	.section	.rodata,"a",@progbits
	.p2align	6, 0x0
	.amdhsa_kernel _ZN9rocsolver6v33100L18trti2_kernel_smallILi30EfPfEEv13rocblas_fill_17rocblas_diagonal_T1_iil
		.amdhsa_group_segment_fixed_size 248
		.amdhsa_private_segment_fixed_size 0
		.amdhsa_kernarg_size 32
		.amdhsa_user_sgpr_count 2
		.amdhsa_user_sgpr_dispatch_ptr 0
		.amdhsa_user_sgpr_queue_ptr 0
		.amdhsa_user_sgpr_kernarg_segment_ptr 1
		.amdhsa_user_sgpr_dispatch_id 0
		.amdhsa_user_sgpr_kernarg_preload_length 0
		.amdhsa_user_sgpr_kernarg_preload_offset 0
		.amdhsa_user_sgpr_private_segment_size 0
		.amdhsa_wavefront_size32 1
		.amdhsa_uses_dynamic_stack 0
		.amdhsa_enable_private_segment 0
		.amdhsa_system_sgpr_workgroup_id_x 1
		.amdhsa_system_sgpr_workgroup_id_y 0
		.amdhsa_system_sgpr_workgroup_id_z 0
		.amdhsa_system_sgpr_workgroup_info 0
		.amdhsa_system_vgpr_workitem_id 0
		.amdhsa_next_free_vgpr 141
		.amdhsa_next_free_sgpr 44
		.amdhsa_named_barrier_count 0
		.amdhsa_reserve_vcc 1
		.amdhsa_float_round_mode_32 0
		.amdhsa_float_round_mode_16_64 0
		.amdhsa_float_denorm_mode_32 3
		.amdhsa_float_denorm_mode_16_64 3
		.amdhsa_fp16_overflow 0
		.amdhsa_memory_ordered 1
		.amdhsa_forward_progress 1
		.amdhsa_inst_pref_size 255
		.amdhsa_round_robin_scheduling 0
		.amdhsa_exception_fp_ieee_invalid_op 0
		.amdhsa_exception_fp_denorm_src 0
		.amdhsa_exception_fp_ieee_div_zero 0
		.amdhsa_exception_fp_ieee_overflow 0
		.amdhsa_exception_fp_ieee_underflow 0
		.amdhsa_exception_fp_ieee_inexact 0
		.amdhsa_exception_int_div_zero 0
	.end_amdhsa_kernel
	.section	.text._ZN9rocsolver6v33100L18trti2_kernel_smallILi30EfPfEEv13rocblas_fill_17rocblas_diagonal_T1_iil,"axG",@progbits,_ZN9rocsolver6v33100L18trti2_kernel_smallILi30EfPfEEv13rocblas_fill_17rocblas_diagonal_T1_iil,comdat
.Lfunc_end29:
	.size	_ZN9rocsolver6v33100L18trti2_kernel_smallILi30EfPfEEv13rocblas_fill_17rocblas_diagonal_T1_iil, .Lfunc_end29-_ZN9rocsolver6v33100L18trti2_kernel_smallILi30EfPfEEv13rocblas_fill_17rocblas_diagonal_T1_iil
                                        ; -- End function
	.set _ZN9rocsolver6v33100L18trti2_kernel_smallILi30EfPfEEv13rocblas_fill_17rocblas_diagonal_T1_iil.num_vgpr, 141
	.set _ZN9rocsolver6v33100L18trti2_kernel_smallILi30EfPfEEv13rocblas_fill_17rocblas_diagonal_T1_iil.num_agpr, 0
	.set _ZN9rocsolver6v33100L18trti2_kernel_smallILi30EfPfEEv13rocblas_fill_17rocblas_diagonal_T1_iil.numbered_sgpr, 44
	.set _ZN9rocsolver6v33100L18trti2_kernel_smallILi30EfPfEEv13rocblas_fill_17rocblas_diagonal_T1_iil.num_named_barrier, 0
	.set _ZN9rocsolver6v33100L18trti2_kernel_smallILi30EfPfEEv13rocblas_fill_17rocblas_diagonal_T1_iil.private_seg_size, 0
	.set _ZN9rocsolver6v33100L18trti2_kernel_smallILi30EfPfEEv13rocblas_fill_17rocblas_diagonal_T1_iil.uses_vcc, 1
	.set _ZN9rocsolver6v33100L18trti2_kernel_smallILi30EfPfEEv13rocblas_fill_17rocblas_diagonal_T1_iil.uses_flat_scratch, 0
	.set _ZN9rocsolver6v33100L18trti2_kernel_smallILi30EfPfEEv13rocblas_fill_17rocblas_diagonal_T1_iil.has_dyn_sized_stack, 0
	.set _ZN9rocsolver6v33100L18trti2_kernel_smallILi30EfPfEEv13rocblas_fill_17rocblas_diagonal_T1_iil.has_recursion, 0
	.set _ZN9rocsolver6v33100L18trti2_kernel_smallILi30EfPfEEv13rocblas_fill_17rocblas_diagonal_T1_iil.has_indirect_call, 0
	.section	.AMDGPU.csdata,"",@progbits
; Kernel info:
; codeLenInByte = 55580
; TotalNumSgprs: 46
; NumVgprs: 141
; ScratchSize: 0
; MemoryBound: 0
; FloatMode: 240
; IeeeMode: 1
; LDSByteSize: 248 bytes/workgroup (compile time only)
; SGPRBlocks: 0
; VGPRBlocks: 8
; NumSGPRsForWavesPerEU: 46
; NumVGPRsForWavesPerEU: 141
; NamedBarCnt: 0
; Occupancy: 7
; WaveLimiterHint : 0
; COMPUTE_PGM_RSRC2:SCRATCH_EN: 0
; COMPUTE_PGM_RSRC2:USER_SGPR: 2
; COMPUTE_PGM_RSRC2:TRAP_HANDLER: 0
; COMPUTE_PGM_RSRC2:TGID_X_EN: 1
; COMPUTE_PGM_RSRC2:TGID_Y_EN: 0
; COMPUTE_PGM_RSRC2:TGID_Z_EN: 0
; COMPUTE_PGM_RSRC2:TIDIG_COMP_CNT: 0
	.section	.text._ZN9rocsolver6v33100L18trti2_kernel_smallILi31EfPfEEv13rocblas_fill_17rocblas_diagonal_T1_iil,"axG",@progbits,_ZN9rocsolver6v33100L18trti2_kernel_smallILi31EfPfEEv13rocblas_fill_17rocblas_diagonal_T1_iil,comdat
	.globl	_ZN9rocsolver6v33100L18trti2_kernel_smallILi31EfPfEEv13rocblas_fill_17rocblas_diagonal_T1_iil ; -- Begin function _ZN9rocsolver6v33100L18trti2_kernel_smallILi31EfPfEEv13rocblas_fill_17rocblas_diagonal_T1_iil
	.p2align	8
	.type	_ZN9rocsolver6v33100L18trti2_kernel_smallILi31EfPfEEv13rocblas_fill_17rocblas_diagonal_T1_iil,@function
_ZN9rocsolver6v33100L18trti2_kernel_smallILi31EfPfEEv13rocblas_fill_17rocblas_diagonal_T1_iil: ; @_ZN9rocsolver6v33100L18trti2_kernel_smallILi31EfPfEEv13rocblas_fill_17rocblas_diagonal_T1_iil
; %bb.0:
	s_mov_b32 s2, exec_lo
	v_cmpx_gt_u32_e32 31, v0
	s_cbranch_execz .LBB30_770
; %bb.1:
	s_load_b256 s[36:43], s[0:1], 0x0
	s_wait_xcnt 0x0
	s_bfe_u32 s0, ttmp6, 0x4000c
	s_and_b32 s1, ttmp6, 15
	s_add_co_i32 s0, s0, 1
	s_getreg_b32 s2, hwreg(HW_REG_IB_STS2, 6, 4)
	s_mul_i32 s0, ttmp9, s0
	v_mov_b32_e32 v1, 0
	s_add_co_i32 s0, s1, s0
	s_delay_alu instid0(VALU_DEP_1)
	v_mov_b32_e32 v35, v1
	s_wait_kmcnt 0x0
	v_add3_u32 v66, s41, s41, v0
	s_ashr_i32 s1, s40, 31
	s_cmp_eq_u32 s2, 0
	s_cselect_b32 s2, ttmp9, s0
	s_delay_alu instid0(VALU_DEP_1)
	v_add_nc_u32_e32 v68, s41, v66
	s_ashr_i32 s3, s2, 31
	s_mov_b32 s0, s40
	s_mul_u64 s[2:3], s[42:43], s[2:3]
	s_lshl_b64 s[0:1], s[0:1], 2
	v_add_nc_u32_e32 v70, s41, v68
	s_lshl_b64 s[2:3], s[2:3], 2
	s_delay_alu instid0(SALU_CYCLE_1) | instskip(NEXT) | instid1(VALU_DEP_1)
	s_add_nc_u64 s[2:3], s[38:39], s[2:3]
	v_add_nc_u32_e32 v72, s41, v70
	s_add_nc_u64 s[34:35], s[2:3], s[0:1]
	s_mov_b32 s0, s41
	s_ashr_i32 s1, s41, 31
	s_cmp_lg_u32 s37, 0x84
	v_add_nc_u32_e32 v74, s41, v72
	s_cselect_b32 s31, -1, 0
	s_cmp_eq_u32 s37, 0x84
	s_delay_alu instid0(VALU_DEP_1) | instskip(NEXT) | instid1(VALU_DEP_1)
	v_add_nc_u32_e32 v76, s41, v74
	v_add_nc_u32_e32 v78, s41, v76
	s_delay_alu instid0(VALU_DEP_1) | instskip(NEXT) | instid1(VALU_DEP_1)
	v_add_nc_u32_e32 v80, s41, v78
	v_add_nc_u32_e32 v82, s41, v80
	;; [unrolled: 3-line block ×8, first 2 shown]
	s_delay_alu instid0(VALU_DEP_1) | instskip(NEXT) | instid1(VALU_DEP_1)
	v_dual_lshlrev_b32 v34, 2, v0 :: v_dual_add_nc_u32 v110, s41, v106
	v_add_nc_u64_e32 v[108:109], s[34:35], v[34:35]
	s_delay_alu instid0(VALU_DEP_2) | instskip(NEXT) | instid1(VALU_DEP_2)
	v_dual_mov_b32 v35, -1.0 :: v_dual_add_nc_u32 v114, s41, v110
	v_lshl_add_u64 v[112:113], s[0:1], 2, v[108:109]
	s_clause 0x7
	global_load_b32 v3, v[112:113], off
	global_load_b32 v4, v66, s[34:35] scale_offset
	global_load_b32 v5, v68, s[34:35] scale_offset
	;; [unrolled: 1-line block ×7, first 2 shown]
	v_add_nc_u32_e32 v116, s41, v114
	s_clause 0x7
	global_load_b32 v11, v80, s[34:35] scale_offset
	global_load_b32 v12, v82, s[34:35] scale_offset
	;; [unrolled: 1-line block ×8, first 2 shown]
	v_cmp_eq_u32_e64 s0, 0, v0
	v_add_nc_u32_e32 v118, s41, v116
	s_clause 0x7
	global_load_b32 v19, v96, s[34:35] scale_offset
	global_load_b32 v20, v98, s[34:35] scale_offset
	;; [unrolled: 1-line block ×8, first 2 shown]
	v_add_nc_u32_e32 v120, s41, v118
	s_delay_alu instid0(VALU_DEP_1) | instskip(NEXT) | instid1(VALU_DEP_1)
	v_add_nc_u32_e32 v122, s41, v120
	v_add_nc_u32_e32 v124, s41, v122
	s_delay_alu instid0(VALU_DEP_1)
	v_add_nc_u32_e32 v126, s41, v124
	s_clause 0x6
	global_load_b32 v2, v0, s[34:35] scale_offset
	global_load_b32 v27, v116, s[34:35] scale_offset
	;; [unrolled: 1-line block ×7, first 2 shown]
	s_cbranch_scc1 .LBB30_3
; %bb.2:
	v_cmp_eq_u32_e64 s1, 1, v0
	v_cmp_eq_u32_e64 s2, 2, v0
	;; [unrolled: 1-line block ×5, first 2 shown]
	s_wait_loadcnt 0x6
	v_cndmask_b32_e64 v33, v2, v3, s1
	v_cmp_eq_u32_e64 s6, 6, v0
	v_cmp_eq_u32_e64 s7, 7, v0
	v_cmp_eq_u32_e64 s8, 8, v0
	v_cmp_eq_u32_e64 s9, 9, v0
	v_cndmask_b32_e64 v33, v33, v4, s2
	v_cmp_eq_u32_e64 s10, 10, v0
	v_cmp_eq_u32_e64 s11, 11, v0
	v_cmp_eq_u32_e64 s12, 12, v0
	v_cmp_eq_u32_e64 s13, 13, v0
	;; [unrolled: 5-line block ×6, first 2 shown]
	v_cndmask_b32_e64 v33, v33, v9, s7
	v_cmp_eq_u32_e64 s30, 30, v0
	s_delay_alu instid0(VALU_DEP_2) | instskip(NEXT) | instid1(VALU_DEP_1)
	v_cndmask_b32_e64 v33, v33, v10, s8
	v_cndmask_b32_e64 v33, v33, v11, s9
	s_delay_alu instid0(VALU_DEP_1) | instskip(NEXT) | instid1(VALU_DEP_1)
	v_cndmask_b32_e64 v33, v33, v12, s10
	v_cndmask_b32_e64 v33, v33, v13, s11
	s_delay_alu instid0(VALU_DEP_1) | instskip(NEXT) | instid1(VALU_DEP_1)
	;; [unrolled: 3-line block ×7, first 2 shown]
	v_cndmask_b32_e64 v33, v33, v24, s22
	v_cndmask_b32_e64 v33, v33, v25, s23
	s_delay_alu instid0(VALU_DEP_1) | instskip(SKIP_1) | instid1(VALU_DEP_1)
	v_cndmask_b32_e64 v33, v33, v26, s24
	s_wait_loadcnt 0x5
	v_cndmask_b32_e64 v33, v33, v27, s25
	s_wait_loadcnt 0x4
	s_delay_alu instid0(VALU_DEP_1) | instskip(SKIP_1) | instid1(VALU_DEP_1)
	v_cndmask_b32_e64 v33, v33, v28, s26
	s_wait_loadcnt 0x3
	v_cndmask_b32_e64 v33, v33, v29, s27
	s_wait_loadcnt 0x2
	;; [unrolled: 5-line block ×3, first 2 shown]
	s_delay_alu instid0(VALU_DEP_1) | instskip(NEXT) | instid1(VALU_DEP_1)
	v_cndmask_b32_e64 v33, v33, v32, s30
	v_div_scale_f32 v35, null, v33, v33, 1.0
	v_div_scale_f32 v38, vcc_lo, 1.0, v33, 1.0
	s_delay_alu instid0(VALU_DEP_2) | instskip(SKIP_1) | instid1(TRANS32_DEP_1)
	v_rcp_f32_e32 v36, v35
	v_nop
	v_fma_f32 v37, -v35, v36, 1.0
	s_delay_alu instid0(VALU_DEP_1) | instskip(NEXT) | instid1(VALU_DEP_1)
	v_fmac_f32_e32 v36, v37, v36
	v_mul_f32_e32 v37, v38, v36
	s_delay_alu instid0(VALU_DEP_1) | instskip(NEXT) | instid1(VALU_DEP_1)
	v_fma_f32 v39, -v35, v37, v38
	v_fmac_f32_e32 v37, v39, v36
	s_delay_alu instid0(VALU_DEP_1) | instskip(NEXT) | instid1(VALU_DEP_1)
	v_fma_f32 v35, -v35, v37, v38
	v_div_fmas_f32 v35, v35, v36, v37
	s_delay_alu instid0(VALU_DEP_1) | instskip(NEXT) | instid1(VALU_DEP_1)
	v_div_fixup_f32 v33, v35, v33, 1.0
	v_dual_cndmask_b32 v32, v32, v33, s30 :: v_dual_cndmask_b32 v31, v31, v33, s29
	v_dual_cndmask_b32 v30, v30, v33, s28 :: v_dual_cndmask_b32 v29, v29, v33, s27
	;; [unrolled: 1-line block ×15, first 2 shown]
	v_cndmask_b32_e64 v2, v2, v33, s0
	v_xor_b32_e32 v35, 0x80000000, v33
.LBB30_3:
	v_dual_ashrrev_i32 v67, 31, v66 :: v_dual_ashrrev_i32 v69, 31, v68
	v_dual_ashrrev_i32 v71, 31, v70 :: v_dual_ashrrev_i32 v73, 31, v72
	;; [unrolled: 1-line block ×13, first 2 shown]
	v_ashrrev_i32_e32 v119, 31, v118
	v_ashrrev_i32_e32 v123, 31, v122
	;; [unrolled: 1-line block ×3, first 2 shown]
	v_add_nc_u32_e32 v131, 0x80, v34
	s_cmp_eq_u32 s36, 0x79
	ds_store_b32 v34, v35
	s_cbranch_scc1 .LBB30_7
; %bb.4:
	s_wait_loadcnt 0x0
	v_mov_b64_e32 v[64:65], v[32:33]
	v_mov_b64_e32 v[62:63], v[30:31]
	;; [unrolled: 1-line block ×16, first 2 shown]
	v_cmp_eq_u32_e64 s1, 30, v0
	ds_store_b32 v131, v31
	s_wait_dscnt 0x0
	s_barrier_signal -1
	s_barrier_wait -1
	s_and_saveexec_b32 s0, s1
	s_cbranch_execz .LBB30_11
; %bb.5:
	s_and_b32 vcc_lo, exec_lo, s31
	s_cbranch_vccz .LBB30_8
; %bb.6:
	v_cmp_eq_u32_e32 vcc_lo, 1, v0
	ds_load_b32 v35, v131
	v_cndmask_b32_e32 v34, v2, v3, vcc_lo
	v_cmp_eq_u32_e32 vcc_lo, 2, v0
	s_delay_alu instid0(VALU_DEP_2) | instskip(SKIP_1) | instid1(VALU_DEP_2)
	v_cndmask_b32_e32 v34, v34, v4, vcc_lo
	v_cmp_eq_u32_e32 vcc_lo, 3, v0
	v_cndmask_b32_e32 v34, v34, v5, vcc_lo
	v_cmp_eq_u32_e32 vcc_lo, 4, v0
	s_delay_alu instid0(VALU_DEP_2) | instskip(SKIP_1) | instid1(VALU_DEP_2)
	v_cndmask_b32_e32 v34, v34, v6, vcc_lo
	v_cmp_eq_u32_e32 vcc_lo, 5, v0
	;; [unrolled: 5-line block ×14, first 2 shown]
	v_cndmask_b32_e32 v34, v34, v31, vcc_lo
	v_cmp_eq_u32_e32 vcc_lo, 30, v0
	s_delay_alu instid0(VALU_DEP_2) | instskip(SKIP_1) | instid1(VALU_DEP_1)
	v_cndmask_b32_e32 v34, v34, v32, vcc_lo
	s_wait_dscnt 0x0
	v_mul_f32_e32 v57, v34, v35
	s_cbranch_execz .LBB30_9
	s_branch .LBB30_10
.LBB30_7:
                                        ; implicit-def: $vgpr34_vgpr35_vgpr36_vgpr37_vgpr38_vgpr39_vgpr40_vgpr41_vgpr42_vgpr43_vgpr44_vgpr45_vgpr46_vgpr47_vgpr48_vgpr49_vgpr50_vgpr51_vgpr52_vgpr53_vgpr54_vgpr55_vgpr56_vgpr57_vgpr58_vgpr59_vgpr60_vgpr61_vgpr62_vgpr63_vgpr64_vgpr65
	s_cbranch_execnz .LBB30_466
	s_branch .LBB30_769
.LBB30_8:
                                        ; implicit-def: $vgpr57
.LBB30_9:
	ds_load_b32 v57, v131
.LBB30_10:
	v_dual_mov_b32 v38, 0 :: v_dual_mov_b32 v34, v2
	v_dual_mov_b32 v35, v3 :: v_dual_mov_b32 v36, v4
	v_mov_b32_e32 v37, v5
	ds_load_b32 v58, v38 offset:116
	v_dual_mov_b32 v38, v6 :: v_dual_mov_b32 v39, v7
	v_dual_mov_b32 v40, v8 :: v_dual_mov_b32 v41, v9
	;; [unrolled: 1-line block ×9, first 2 shown]
	s_wait_dscnt 0x0
	v_dual_mov_b32 v56, v24 :: v_dual_mul_f32 v63, v57, v58
	v_dual_mov_b32 v58, v26 :: v_dual_mov_b32 v57, v25
	v_dual_mov_b32 v59, v27 :: v_dual_mov_b32 v60, v28
	;; [unrolled: 1-line block ×3, first 2 shown]
	v_mov_b32_e32 v64, v32
.LBB30_11:
	s_or_b32 exec_lo, exec_lo, s0
	v_cmp_lt_u32_e64 s0, 28, v0
	ds_store_b32 v131, v62
	s_wait_dscnt 0x0
	s_barrier_signal -1
	s_barrier_wait -1
	s_and_saveexec_b32 s2, s0
	s_cbranch_execz .LBB30_17
; %bb.12:
	s_and_not1_b32 vcc_lo, exec_lo, s31
	s_cbranch_vccnz .LBB30_14
; %bb.13:
	v_cmp_eq_u32_e32 vcc_lo, 1, v0
	ds_load_b32 v128, v131
	v_cndmask_b32_e32 v65, v34, v35, vcc_lo
	v_cmp_eq_u32_e32 vcc_lo, 2, v0
	s_delay_alu instid0(VALU_DEP_2) | instskip(SKIP_1) | instid1(VALU_DEP_2)
	v_cndmask_b32_e32 v65, v65, v36, vcc_lo
	v_cmp_eq_u32_e32 vcc_lo, 3, v0
	v_cndmask_b32_e32 v65, v65, v37, vcc_lo
	v_cmp_eq_u32_e32 vcc_lo, 4, v0
	s_delay_alu instid0(VALU_DEP_2) | instskip(SKIP_1) | instid1(VALU_DEP_2)
	v_cndmask_b32_e32 v65, v65, v38, vcc_lo
	v_cmp_eq_u32_e32 vcc_lo, 5, v0
	;; [unrolled: 5-line block ×14, first 2 shown]
	v_cndmask_b32_e32 v62, v62, v63, vcc_lo
	v_cmp_eq_u32_e32 vcc_lo, 30, v0
	s_delay_alu instid0(VALU_DEP_2) | instskip(SKIP_1) | instid1(VALU_DEP_1)
	v_cndmask_b32_e32 v62, v62, v64, vcc_lo
	s_wait_dscnt 0x0
	v_mul_f32_e32 v62, v62, v128
	s_cbranch_execz .LBB30_15
	s_branch .LBB30_16
.LBB30_14:
                                        ; implicit-def: $vgpr62
.LBB30_15:
	ds_load_b32 v62, v131
.LBB30_16:
	v_mov_b32_e32 v65, 0
	ds_load_2addr_b32 v[128:129], v65 offset0:28 offset1:61
	s_wait_dscnt 0x0
	v_fma_f32 v65, v63, v129, v62
	s_delay_alu instid0(VALU_DEP_1) | instskip(NEXT) | instid1(VALU_DEP_1)
	v_cndmask_b32_e64 v62, v62, v65, s1
	v_mul_f32_e32 v62, v62, v128
.LBB30_17:
	s_or_b32 exec_lo, exec_lo, s2
	v_cmp_lt_u32_e64 s1, 27, v0
	ds_store_b32 v131, v61
	s_wait_dscnt 0x0
	s_barrier_signal -1
	s_barrier_wait -1
	s_and_saveexec_b32 s4, s1
	s_cbranch_execz .LBB30_33
; %bb.18:
	s_and_not1_b32 vcc_lo, exec_lo, s31
	s_cbranch_vccnz .LBB30_20
; %bb.19:
	v_cmp_eq_u32_e32 vcc_lo, 1, v0
	ds_load_b32 v129, v131
	v_cndmask_b32_e32 v128, v34, v35, vcc_lo
	v_cmp_eq_u32_e32 vcc_lo, 2, v0
	s_delay_alu instid0(VALU_DEP_2) | instskip(SKIP_1) | instid1(VALU_DEP_2)
	v_cndmask_b32_e32 v128, v128, v36, vcc_lo
	v_cmp_eq_u32_e32 vcc_lo, 3, v0
	v_cndmask_b32_e32 v128, v128, v37, vcc_lo
	v_cmp_eq_u32_e32 vcc_lo, 4, v0
	s_delay_alu instid0(VALU_DEP_2) | instskip(SKIP_1) | instid1(VALU_DEP_2)
	v_cndmask_b32_e32 v128, v128, v38, vcc_lo
	v_cmp_eq_u32_e32 vcc_lo, 5, v0
	;; [unrolled: 5-line block ×14, first 2 shown]
	v_cndmask_b32_e32 v128, v128, v63, vcc_lo
	v_cmp_eq_u32_e32 vcc_lo, 30, v0
	s_delay_alu instid0(VALU_DEP_2) | instskip(SKIP_1) | instid1(VALU_DEP_1)
	v_cndmask_b32_e32 v128, v128, v64, vcc_lo
	s_wait_dscnt 0x0
	v_mul_f32_e32 v132, v128, v129
	s_cbranch_execz .LBB30_21
	s_branch .LBB30_22
.LBB30_20:
                                        ; implicit-def: $vgpr132
.LBB30_21:
	ds_load_b32 v132, v131
.LBB30_22:
	s_and_saveexec_b32 s5, s0
	s_cbranch_execz .LBB30_32
; %bb.23:
	v_subrev_nc_u32_e32 v130, 29, v0
	v_mov_b32_e32 v128, 28
	v_subrev_nc_u32_e32 v129, 28, v0
	s_mov_b32 s0, exec_lo
	s_delay_alu instid0(VALU_DEP_3)
	v_cmpx_lt_u32_e32 6, v130
	s_cbranch_execz .LBB30_27
; %bb.24:
	s_delay_alu instid0(VALU_DEP_2) | instskip(SKIP_3) | instid1(VALU_DEP_1)
	v_and_b32_e32 v128, -8, v129
	s_mov_b32 s6, 0
	s_mov_b64 s[2:3], 35
	s_movk_i32 s7, 0xf0
	v_sub_nc_u32_e32 v130, 0, v128
.LBB30_25:                              ; =>This Inner Loop Header: Depth=1
	s_add_co_i32 m0, s2, -7
	v_movrels_b32_e32 v133, v34
	v_mov_b32_e32 v128, s7
	s_add_co_i32 m0, s2, -6
	s_add_co_i32 s7, s7, 32
	v_movrels_b32_e32 v142, v34
	s_add_co_i32 m0, s2, -5
	ds_load_b128 v[134:137], v128
	ds_load_b128 v[138:141], v128 offset:16
	v_movrels_b32_e32 v128, v34
	s_add_co_i32 m0, s2, -4
	s_wait_dscnt 0x1
	v_fmac_f32_e32 v132, v133, v134
	v_movrels_b32_e32 v133, v34
	s_add_co_i32 m0, s2, -3
	s_delay_alu instid0(VALU_DEP_2) | instskip(NEXT) | instid1(VALU_DEP_1)
	v_fmac_f32_e32 v132, v142, v135
	v_fmac_f32_e32 v132, v128, v136
	v_movrels_b32_e32 v128, v34
	s_add_co_i32 m0, s2, -2
	s_delay_alu instid0(VALU_DEP_2) | instskip(SKIP_3) | instid1(VALU_DEP_2)
	v_fmac_f32_e32 v132, v133, v137
	v_movrels_b32_e32 v133, v34
	s_add_co_i32 m0, s2, -1
	s_wait_dscnt 0x0
	v_fmac_f32_e32 v132, v128, v138
	v_movrels_b32_e32 v128, v34
	s_mov_b32 m0, s2
	s_add_nc_u64 s[2:3], s[2:3], 8
	v_movrels_b32_e32 v134, v34
	v_dual_fmac_f32 v132, v133, v139 :: v_dual_add_nc_u32 v133, s2, v130
	s_add_co_i32 s8, s2, -7
	s_delay_alu instid0(VALU_DEP_1) | instskip(NEXT) | instid1(VALU_DEP_2)
	v_fmac_f32_e32 v132, v128, v140
	v_cmp_eq_u32_e32 vcc_lo, 35, v133
	s_delay_alu instid0(VALU_DEP_2) | instskip(SKIP_1) | instid1(SALU_CYCLE_1)
	v_dual_mov_b32 v128, s8 :: v_dual_fmac_f32 v132, v134, v141
	s_or_b32 s6, vcc_lo, s6
	s_and_not1_b32 exec_lo, exec_lo, s6
	s_cbranch_execnz .LBB30_25
; %bb.26:
	s_or_b32 exec_lo, exec_lo, s6
.LBB30_27:
	s_delay_alu instid0(SALU_CYCLE_1) | instskip(SKIP_3) | instid1(VALU_DEP_1)
	s_or_b32 exec_lo, exec_lo, s0
	v_and_b32_e32 v65, 7, v129
	s_mov_b32 s2, 0
	s_mov_b32 s0, exec_lo
	v_cmpx_ne_u32_e32 0, v65
	s_cbranch_execz .LBB30_31
; %bb.28:
	v_lshl_add_u32 v130, v128, 2, 0x80
	v_mov_b32_e32 v129, 0
.LBB30_29:                              ; =>This Inner Loop Header: Depth=1
	v_cmp_eq_u32_e32 vcc_lo, 1, v128
	ds_load_b32 v134, v130
	v_dual_add_nc_u32 v65, -1, v65 :: v_dual_add_nc_u32 v130, 4, v130
	v_cndmask_b32_e32 v133, v34, v35, vcc_lo
	v_cmp_eq_u32_e32 vcc_lo, 2, v128
	s_delay_alu instid0(VALU_DEP_2) | instskip(SKIP_1) | instid1(VALU_DEP_2)
	v_cndmask_b32_e32 v133, v133, v36, vcc_lo
	v_cmp_eq_u32_e32 vcc_lo, 3, v128
	v_cndmask_b32_e32 v133, v133, v37, vcc_lo
	v_cmp_eq_u32_e32 vcc_lo, 4, v128
	s_delay_alu instid0(VALU_DEP_2) | instskip(SKIP_1) | instid1(VALU_DEP_2)
	v_cndmask_b32_e32 v133, v133, v38, vcc_lo
	v_cmp_eq_u32_e32 vcc_lo, 5, v128
	;; [unrolled: 5-line block ×14, first 2 shown]
	v_cndmask_b32_e32 v133, v133, v63, vcc_lo
	v_cmp_eq_u32_e32 vcc_lo, 30, v128
	v_add_nc_u64_e32 v[128:129], 1, v[128:129]
	s_delay_alu instid0(VALU_DEP_3) | instskip(SKIP_2) | instid1(VALU_DEP_2)
	v_cndmask_b32_e32 v133, v133, v64, vcc_lo
	v_cmp_eq_u32_e32 vcc_lo, 0, v65
	s_wait_dscnt 0x0
	v_fmac_f32_e32 v132, v133, v134
	s_or_b32 s2, vcc_lo, s2
	s_delay_alu instid0(SALU_CYCLE_1)
	s_and_not1_b32 exec_lo, exec_lo, s2
	s_cbranch_execnz .LBB30_29
; %bb.30:
	s_or_b32 exec_lo, exec_lo, s2
.LBB30_31:
	s_delay_alu instid0(SALU_CYCLE_1)
	s_or_b32 exec_lo, exec_lo, s0
.LBB30_32:
	s_delay_alu instid0(SALU_CYCLE_1)
	s_or_b32 exec_lo, exec_lo, s5
	v_mov_b32_e32 v61, 0
	ds_load_b32 v61, v61 offset:108
	s_wait_dscnt 0x0
	v_mul_f32_e32 v61, v132, v61
.LBB30_33:
	s_or_b32 exec_lo, exec_lo, s4
	v_cmp_lt_u32_e64 s0, 26, v0
	ds_store_b32 v131, v60
	s_wait_dscnt 0x0
	s_barrier_signal -1
	s_barrier_wait -1
	s_and_saveexec_b32 s4, s0
	s_cbranch_execz .LBB30_49
; %bb.34:
	s_and_not1_b32 vcc_lo, exec_lo, s31
	s_cbranch_vccnz .LBB30_36
; %bb.35:
	v_cmp_eq_u32_e32 vcc_lo, 1, v0
	ds_load_b32 v129, v131
	v_cndmask_b32_e32 v128, v34, v35, vcc_lo
	v_cmp_eq_u32_e32 vcc_lo, 2, v0
	s_delay_alu instid0(VALU_DEP_2) | instskip(SKIP_1) | instid1(VALU_DEP_2)
	v_cndmask_b32_e32 v128, v128, v36, vcc_lo
	v_cmp_eq_u32_e32 vcc_lo, 3, v0
	v_cndmask_b32_e32 v128, v128, v37, vcc_lo
	v_cmp_eq_u32_e32 vcc_lo, 4, v0
	s_delay_alu instid0(VALU_DEP_2) | instskip(SKIP_1) | instid1(VALU_DEP_2)
	v_cndmask_b32_e32 v128, v128, v38, vcc_lo
	v_cmp_eq_u32_e32 vcc_lo, 5, v0
	;; [unrolled: 5-line block ×14, first 2 shown]
	v_cndmask_b32_e32 v128, v128, v63, vcc_lo
	v_cmp_eq_u32_e32 vcc_lo, 30, v0
	s_delay_alu instid0(VALU_DEP_2) | instskip(SKIP_1) | instid1(VALU_DEP_1)
	v_cndmask_b32_e32 v128, v128, v64, vcc_lo
	s_wait_dscnt 0x0
	v_mul_f32_e32 v132, v128, v129
	s_cbranch_execz .LBB30_37
	s_branch .LBB30_38
.LBB30_36:
                                        ; implicit-def: $vgpr132
.LBB30_37:
	ds_load_b32 v132, v131
.LBB30_38:
	s_and_saveexec_b32 s5, s1
	s_cbranch_execz .LBB30_48
; %bb.39:
	v_subrev_nc_u32_e32 v130, 28, v0
	v_mov_b32_e32 v128, 27
	v_subrev_nc_u32_e32 v129, 27, v0
	s_mov_b32 s1, exec_lo
	s_delay_alu instid0(VALU_DEP_3)
	v_cmpx_lt_u32_e32 6, v130
	s_cbranch_execz .LBB30_43
; %bb.40:
	s_delay_alu instid0(VALU_DEP_2) | instskip(SKIP_3) | instid1(VALU_DEP_1)
	v_and_b32_e32 v128, -8, v129
	s_mov_b32 s6, 0
	s_mov_b64 s[2:3], 34
	s_movk_i32 s7, 0xec
	v_sub_nc_u32_e32 v130, 0, v128
.LBB30_41:                              ; =>This Inner Loop Header: Depth=1
	s_add_co_i32 m0, s2, -7
	v_movrels_b32_e32 v133, v34
	v_mov_b32_e32 v128, s7
	s_add_co_i32 m0, s2, -6
	s_add_co_i32 s7, s7, 32
	v_movrels_b32_e32 v142, v34
	ds_load_2addr_b32 v[134:135], v128 offset1:1
	ds_load_2addr_b32 v[136:137], v128 offset0:2 offset1:3
	s_add_co_i32 m0, s2, -5
	s_wait_dscnt 0x1
	v_fmac_f32_e32 v132, v133, v134
	ds_load_2addr_b32 v[138:139], v128 offset0:4 offset1:5
	ds_load_2addr_b32 v[140:141], v128 offset0:6 offset1:7
	v_movrels_b32_e32 v128, v34
	s_add_co_i32 m0, s2, -4
	v_fmac_f32_e32 v132, v142, v135
	v_movrels_b32_e32 v133, v34
	s_add_co_i32 m0, s2, -3
	s_wait_dscnt 0x2
	s_delay_alu instid0(VALU_DEP_2) | instskip(SKIP_2) | instid1(VALU_DEP_2)
	v_fmac_f32_e32 v132, v128, v136
	v_movrels_b32_e32 v128, v34
	s_add_co_i32 m0, s2, -2
	v_fmac_f32_e32 v132, v133, v137
	v_movrels_b32_e32 v133, v34
	s_add_co_i32 m0, s2, -1
	s_wait_dscnt 0x1
	s_delay_alu instid0(VALU_DEP_2)
	v_fmac_f32_e32 v132, v128, v138
	v_movrels_b32_e32 v128, v34
	s_mov_b32 m0, s2
	s_add_nc_u64 s[2:3], s[2:3], 8
	v_movrels_b32_e32 v134, v34
	v_dual_fmac_f32 v132, v133, v139 :: v_dual_add_nc_u32 v133, s2, v130
	s_add_co_i32 s8, s2, -7
	s_wait_dscnt 0x0
	s_delay_alu instid0(VALU_DEP_1) | instskip(NEXT) | instid1(VALU_DEP_2)
	v_fmac_f32_e32 v132, v128, v140
	v_cmp_eq_u32_e32 vcc_lo, 34, v133
	s_delay_alu instid0(VALU_DEP_2) | instskip(SKIP_1) | instid1(SALU_CYCLE_1)
	v_dual_mov_b32 v128, s8 :: v_dual_fmac_f32 v132, v134, v141
	s_or_b32 s6, vcc_lo, s6
	s_and_not1_b32 exec_lo, exec_lo, s6
	s_cbranch_execnz .LBB30_41
; %bb.42:
	s_or_b32 exec_lo, exec_lo, s6
.LBB30_43:
	s_delay_alu instid0(SALU_CYCLE_1) | instskip(SKIP_3) | instid1(VALU_DEP_1)
	s_or_b32 exec_lo, exec_lo, s1
	v_and_b32_e32 v65, 7, v129
	s_mov_b32 s2, 0
	s_mov_b32 s1, exec_lo
	v_cmpx_ne_u32_e32 0, v65
	s_cbranch_execz .LBB30_47
; %bb.44:
	v_lshl_add_u32 v130, v128, 2, 0x80
	v_mov_b32_e32 v129, 0
.LBB30_45:                              ; =>This Inner Loop Header: Depth=1
	v_cmp_eq_u32_e32 vcc_lo, 1, v128
	ds_load_b32 v134, v130
	v_dual_add_nc_u32 v65, -1, v65 :: v_dual_add_nc_u32 v130, 4, v130
	v_cndmask_b32_e32 v133, v34, v35, vcc_lo
	v_cmp_eq_u32_e32 vcc_lo, 2, v128
	s_delay_alu instid0(VALU_DEP_2) | instskip(SKIP_1) | instid1(VALU_DEP_2)
	v_cndmask_b32_e32 v133, v133, v36, vcc_lo
	v_cmp_eq_u32_e32 vcc_lo, 3, v128
	v_cndmask_b32_e32 v133, v133, v37, vcc_lo
	v_cmp_eq_u32_e32 vcc_lo, 4, v128
	s_delay_alu instid0(VALU_DEP_2) | instskip(SKIP_1) | instid1(VALU_DEP_2)
	v_cndmask_b32_e32 v133, v133, v38, vcc_lo
	v_cmp_eq_u32_e32 vcc_lo, 5, v128
	;; [unrolled: 5-line block ×14, first 2 shown]
	v_cndmask_b32_e32 v133, v133, v63, vcc_lo
	v_cmp_eq_u32_e32 vcc_lo, 30, v128
	v_add_nc_u64_e32 v[128:129], 1, v[128:129]
	s_delay_alu instid0(VALU_DEP_3) | instskip(SKIP_2) | instid1(VALU_DEP_2)
	v_cndmask_b32_e32 v133, v133, v64, vcc_lo
	v_cmp_eq_u32_e32 vcc_lo, 0, v65
	s_wait_dscnt 0x0
	v_fmac_f32_e32 v132, v133, v134
	s_or_b32 s2, vcc_lo, s2
	s_delay_alu instid0(SALU_CYCLE_1)
	s_and_not1_b32 exec_lo, exec_lo, s2
	s_cbranch_execnz .LBB30_45
; %bb.46:
	s_or_b32 exec_lo, exec_lo, s2
.LBB30_47:
	s_delay_alu instid0(SALU_CYCLE_1)
	s_or_b32 exec_lo, exec_lo, s1
.LBB30_48:
	s_delay_alu instid0(SALU_CYCLE_1)
	s_or_b32 exec_lo, exec_lo, s5
	v_mov_b32_e32 v60, 0
	ds_load_b32 v60, v60 offset:104
	s_wait_dscnt 0x0
	v_mul_f32_e32 v60, v132, v60
.LBB30_49:
	s_or_b32 exec_lo, exec_lo, s4
	v_cmp_lt_u32_e64 s1, 25, v0
	ds_store_b32 v131, v59
	s_wait_dscnt 0x0
	s_barrier_signal -1
	s_barrier_wait -1
	s_and_saveexec_b32 s4, s1
	s_cbranch_execz .LBB30_65
; %bb.50:
	s_and_not1_b32 vcc_lo, exec_lo, s31
	s_cbranch_vccnz .LBB30_52
; %bb.51:
	v_cmp_eq_u32_e32 vcc_lo, 1, v0
	ds_load_b32 v129, v131
	v_cndmask_b32_e32 v128, v34, v35, vcc_lo
	v_cmp_eq_u32_e32 vcc_lo, 2, v0
	s_delay_alu instid0(VALU_DEP_2) | instskip(SKIP_1) | instid1(VALU_DEP_2)
	v_cndmask_b32_e32 v128, v128, v36, vcc_lo
	v_cmp_eq_u32_e32 vcc_lo, 3, v0
	v_cndmask_b32_e32 v128, v128, v37, vcc_lo
	v_cmp_eq_u32_e32 vcc_lo, 4, v0
	s_delay_alu instid0(VALU_DEP_2) | instskip(SKIP_1) | instid1(VALU_DEP_2)
	v_cndmask_b32_e32 v128, v128, v38, vcc_lo
	v_cmp_eq_u32_e32 vcc_lo, 5, v0
	;; [unrolled: 5-line block ×14, first 2 shown]
	v_cndmask_b32_e32 v128, v128, v63, vcc_lo
	v_cmp_eq_u32_e32 vcc_lo, 30, v0
	s_delay_alu instid0(VALU_DEP_2) | instskip(SKIP_1) | instid1(VALU_DEP_1)
	v_cndmask_b32_e32 v128, v128, v64, vcc_lo
	s_wait_dscnt 0x0
	v_mul_f32_e32 v132, v128, v129
	s_cbranch_execz .LBB30_53
	s_branch .LBB30_54
.LBB30_52:
                                        ; implicit-def: $vgpr132
.LBB30_53:
	ds_load_b32 v132, v131
.LBB30_54:
	s_and_saveexec_b32 s5, s0
	s_cbranch_execz .LBB30_64
; %bb.55:
	v_subrev_nc_u32_e32 v130, 27, v0
	v_mov_b32_e32 v128, 26
	v_subrev_nc_u32_e32 v129, 26, v0
	s_mov_b32 s0, exec_lo
	s_delay_alu instid0(VALU_DEP_3)
	v_cmpx_lt_u32_e32 6, v130
	s_cbranch_execz .LBB30_59
; %bb.56:
	s_delay_alu instid0(VALU_DEP_2) | instskip(SKIP_3) | instid1(VALU_DEP_1)
	v_and_b32_e32 v128, -8, v129
	s_mov_b32 s6, 0
	s_mov_b64 s[2:3], 33
	s_movk_i32 s7, 0xe8
	v_sub_nc_u32_e32 v130, 0, v128
.LBB30_57:                              ; =>This Inner Loop Header: Depth=1
	s_add_co_i32 m0, s2, -7
	v_movrels_b32_e32 v133, v34
	v_mov_b32_e32 v128, s7
	s_add_co_i32 m0, s2, -6
	s_add_co_i32 s7, s7, 32
	v_movrels_b32_e32 v142, v34
	s_add_co_i32 m0, s2, -5
	ds_load_2addr_b64 v[134:137], v128 offset1:1
	ds_load_2addr_b64 v[138:141], v128 offset0:2 offset1:3
	v_movrels_b32_e32 v128, v34
	s_add_co_i32 m0, s2, -4
	s_wait_dscnt 0x1
	v_fmac_f32_e32 v132, v133, v134
	v_movrels_b32_e32 v133, v34
	s_add_co_i32 m0, s2, -3
	s_delay_alu instid0(VALU_DEP_2) | instskip(NEXT) | instid1(VALU_DEP_1)
	v_fmac_f32_e32 v132, v142, v135
	v_fmac_f32_e32 v132, v128, v136
	v_movrels_b32_e32 v128, v34
	s_add_co_i32 m0, s2, -2
	s_delay_alu instid0(VALU_DEP_2) | instskip(SKIP_3) | instid1(VALU_DEP_2)
	v_fmac_f32_e32 v132, v133, v137
	v_movrels_b32_e32 v133, v34
	s_add_co_i32 m0, s2, -1
	s_wait_dscnt 0x0
	v_fmac_f32_e32 v132, v128, v138
	v_movrels_b32_e32 v128, v34
	s_mov_b32 m0, s2
	s_add_nc_u64 s[2:3], s[2:3], 8
	v_movrels_b32_e32 v134, v34
	v_dual_fmac_f32 v132, v133, v139 :: v_dual_add_nc_u32 v133, s2, v130
	s_add_co_i32 s8, s2, -7
	s_delay_alu instid0(VALU_DEP_1) | instskip(NEXT) | instid1(VALU_DEP_2)
	v_fmac_f32_e32 v132, v128, v140
	v_cmp_eq_u32_e32 vcc_lo, 33, v133
	s_delay_alu instid0(VALU_DEP_2) | instskip(SKIP_1) | instid1(SALU_CYCLE_1)
	v_dual_mov_b32 v128, s8 :: v_dual_fmac_f32 v132, v134, v141
	s_or_b32 s6, vcc_lo, s6
	s_and_not1_b32 exec_lo, exec_lo, s6
	s_cbranch_execnz .LBB30_57
; %bb.58:
	s_or_b32 exec_lo, exec_lo, s6
.LBB30_59:
	s_delay_alu instid0(SALU_CYCLE_1) | instskip(SKIP_3) | instid1(VALU_DEP_1)
	s_or_b32 exec_lo, exec_lo, s0
	v_and_b32_e32 v65, 7, v129
	s_mov_b32 s2, 0
	s_mov_b32 s0, exec_lo
	v_cmpx_ne_u32_e32 0, v65
	s_cbranch_execz .LBB30_63
; %bb.60:
	v_lshl_add_u32 v130, v128, 2, 0x80
	v_mov_b32_e32 v129, 0
.LBB30_61:                              ; =>This Inner Loop Header: Depth=1
	v_cmp_eq_u32_e32 vcc_lo, 1, v128
	ds_load_b32 v134, v130
	v_dual_add_nc_u32 v65, -1, v65 :: v_dual_add_nc_u32 v130, 4, v130
	v_cndmask_b32_e32 v133, v34, v35, vcc_lo
	v_cmp_eq_u32_e32 vcc_lo, 2, v128
	s_delay_alu instid0(VALU_DEP_2) | instskip(SKIP_1) | instid1(VALU_DEP_2)
	v_cndmask_b32_e32 v133, v133, v36, vcc_lo
	v_cmp_eq_u32_e32 vcc_lo, 3, v128
	v_cndmask_b32_e32 v133, v133, v37, vcc_lo
	v_cmp_eq_u32_e32 vcc_lo, 4, v128
	s_delay_alu instid0(VALU_DEP_2) | instskip(SKIP_1) | instid1(VALU_DEP_2)
	v_cndmask_b32_e32 v133, v133, v38, vcc_lo
	v_cmp_eq_u32_e32 vcc_lo, 5, v128
	;; [unrolled: 5-line block ×14, first 2 shown]
	v_cndmask_b32_e32 v133, v133, v63, vcc_lo
	v_cmp_eq_u32_e32 vcc_lo, 30, v128
	v_add_nc_u64_e32 v[128:129], 1, v[128:129]
	s_delay_alu instid0(VALU_DEP_3) | instskip(SKIP_2) | instid1(VALU_DEP_2)
	v_cndmask_b32_e32 v133, v133, v64, vcc_lo
	v_cmp_eq_u32_e32 vcc_lo, 0, v65
	s_wait_dscnt 0x0
	v_fmac_f32_e32 v132, v133, v134
	s_or_b32 s2, vcc_lo, s2
	s_delay_alu instid0(SALU_CYCLE_1)
	s_and_not1_b32 exec_lo, exec_lo, s2
	s_cbranch_execnz .LBB30_61
; %bb.62:
	s_or_b32 exec_lo, exec_lo, s2
.LBB30_63:
	s_delay_alu instid0(SALU_CYCLE_1)
	s_or_b32 exec_lo, exec_lo, s0
.LBB30_64:
	s_delay_alu instid0(SALU_CYCLE_1)
	s_or_b32 exec_lo, exec_lo, s5
	v_mov_b32_e32 v59, 0
	ds_load_b32 v59, v59 offset:100
	s_wait_dscnt 0x0
	v_mul_f32_e32 v59, v132, v59
.LBB30_65:
	s_or_b32 exec_lo, exec_lo, s4
	v_cmp_lt_u32_e64 s0, 24, v0
	ds_store_b32 v131, v58
	s_wait_dscnt 0x0
	s_barrier_signal -1
	s_barrier_wait -1
	s_and_saveexec_b32 s4, s0
	s_cbranch_execz .LBB30_81
; %bb.66:
	s_and_not1_b32 vcc_lo, exec_lo, s31
	s_cbranch_vccnz .LBB30_68
; %bb.67:
	v_cmp_eq_u32_e32 vcc_lo, 1, v0
	ds_load_b32 v129, v131
	v_cndmask_b32_e32 v128, v34, v35, vcc_lo
	v_cmp_eq_u32_e32 vcc_lo, 2, v0
	s_delay_alu instid0(VALU_DEP_2) | instskip(SKIP_1) | instid1(VALU_DEP_2)
	v_cndmask_b32_e32 v128, v128, v36, vcc_lo
	v_cmp_eq_u32_e32 vcc_lo, 3, v0
	v_cndmask_b32_e32 v128, v128, v37, vcc_lo
	v_cmp_eq_u32_e32 vcc_lo, 4, v0
	s_delay_alu instid0(VALU_DEP_2) | instskip(SKIP_1) | instid1(VALU_DEP_2)
	v_cndmask_b32_e32 v128, v128, v38, vcc_lo
	v_cmp_eq_u32_e32 vcc_lo, 5, v0
	;; [unrolled: 5-line block ×14, first 2 shown]
	v_cndmask_b32_e32 v128, v128, v63, vcc_lo
	v_cmp_eq_u32_e32 vcc_lo, 30, v0
	s_delay_alu instid0(VALU_DEP_2) | instskip(SKIP_1) | instid1(VALU_DEP_1)
	v_cndmask_b32_e32 v128, v128, v64, vcc_lo
	s_wait_dscnt 0x0
	v_mul_f32_e32 v132, v128, v129
	s_cbranch_execz .LBB30_69
	s_branch .LBB30_70
.LBB30_68:
                                        ; implicit-def: $vgpr132
.LBB30_69:
	ds_load_b32 v132, v131
.LBB30_70:
	s_and_saveexec_b32 s5, s1
	s_cbranch_execz .LBB30_80
; %bb.71:
	v_subrev_nc_u32_e32 v130, 26, v0
	v_mov_b32_e32 v128, 25
	v_subrev_nc_u32_e32 v129, 25, v0
	s_mov_b32 s1, exec_lo
	s_delay_alu instid0(VALU_DEP_3)
	v_cmpx_lt_u32_e32 6, v130
	s_cbranch_execz .LBB30_75
; %bb.72:
	s_delay_alu instid0(VALU_DEP_2) | instskip(SKIP_3) | instid1(VALU_DEP_1)
	v_and_b32_e32 v128, -8, v129
	s_mov_b32 s6, 0
	s_mov_b64 s[2:3], 32
	s_movk_i32 s7, 0xe4
	v_sub_nc_u32_e32 v130, 0, v128
.LBB30_73:                              ; =>This Inner Loop Header: Depth=1
	s_add_co_i32 m0, s2, -7
	v_movrels_b32_e32 v133, v34
	v_mov_b32_e32 v128, s7
	s_add_co_i32 m0, s2, -6
	s_add_co_i32 s7, s7, 32
	v_movrels_b32_e32 v142, v34
	ds_load_2addr_b32 v[134:135], v128 offset1:1
	ds_load_2addr_b32 v[136:137], v128 offset0:2 offset1:3
	s_add_co_i32 m0, s2, -5
	s_wait_dscnt 0x1
	v_fmac_f32_e32 v132, v133, v134
	ds_load_2addr_b32 v[138:139], v128 offset0:4 offset1:5
	ds_load_2addr_b32 v[140:141], v128 offset0:6 offset1:7
	v_movrels_b32_e32 v128, v34
	s_add_co_i32 m0, s2, -4
	v_fmac_f32_e32 v132, v142, v135
	v_movrels_b32_e32 v133, v34
	s_add_co_i32 m0, s2, -3
	s_wait_dscnt 0x2
	s_delay_alu instid0(VALU_DEP_2) | instskip(SKIP_2) | instid1(VALU_DEP_2)
	v_fmac_f32_e32 v132, v128, v136
	v_movrels_b32_e32 v128, v34
	s_add_co_i32 m0, s2, -2
	v_fmac_f32_e32 v132, v133, v137
	v_movrels_b32_e32 v133, v34
	s_add_co_i32 m0, s2, -1
	s_wait_dscnt 0x1
	s_delay_alu instid0(VALU_DEP_2)
	v_fmac_f32_e32 v132, v128, v138
	v_movrels_b32_e32 v128, v34
	s_mov_b32 m0, s2
	s_add_nc_u64 s[2:3], s[2:3], 8
	v_movrels_b32_e32 v134, v34
	v_dual_fmac_f32 v132, v133, v139 :: v_dual_add_nc_u32 v133, s2, v130
	s_add_co_i32 s8, s2, -7
	s_wait_dscnt 0x0
	s_delay_alu instid0(VALU_DEP_1) | instskip(NEXT) | instid1(VALU_DEP_2)
	v_fmac_f32_e32 v132, v128, v140
	v_cmp_eq_u32_e32 vcc_lo, 32, v133
	s_delay_alu instid0(VALU_DEP_2) | instskip(SKIP_1) | instid1(SALU_CYCLE_1)
	v_dual_mov_b32 v128, s8 :: v_dual_fmac_f32 v132, v134, v141
	s_or_b32 s6, vcc_lo, s6
	s_and_not1_b32 exec_lo, exec_lo, s6
	s_cbranch_execnz .LBB30_73
; %bb.74:
	s_or_b32 exec_lo, exec_lo, s6
.LBB30_75:
	s_delay_alu instid0(SALU_CYCLE_1) | instskip(SKIP_3) | instid1(VALU_DEP_1)
	s_or_b32 exec_lo, exec_lo, s1
	v_and_b32_e32 v65, 7, v129
	s_mov_b32 s2, 0
	s_mov_b32 s1, exec_lo
	v_cmpx_ne_u32_e32 0, v65
	s_cbranch_execz .LBB30_79
; %bb.76:
	v_lshl_add_u32 v130, v128, 2, 0x80
	v_mov_b32_e32 v129, 0
.LBB30_77:                              ; =>This Inner Loop Header: Depth=1
	v_cmp_eq_u32_e32 vcc_lo, 1, v128
	ds_load_b32 v134, v130
	v_dual_add_nc_u32 v65, -1, v65 :: v_dual_add_nc_u32 v130, 4, v130
	v_cndmask_b32_e32 v133, v34, v35, vcc_lo
	v_cmp_eq_u32_e32 vcc_lo, 2, v128
	s_delay_alu instid0(VALU_DEP_2) | instskip(SKIP_1) | instid1(VALU_DEP_2)
	v_cndmask_b32_e32 v133, v133, v36, vcc_lo
	v_cmp_eq_u32_e32 vcc_lo, 3, v128
	v_cndmask_b32_e32 v133, v133, v37, vcc_lo
	v_cmp_eq_u32_e32 vcc_lo, 4, v128
	s_delay_alu instid0(VALU_DEP_2) | instskip(SKIP_1) | instid1(VALU_DEP_2)
	v_cndmask_b32_e32 v133, v133, v38, vcc_lo
	v_cmp_eq_u32_e32 vcc_lo, 5, v128
	;; [unrolled: 5-line block ×14, first 2 shown]
	v_cndmask_b32_e32 v133, v133, v63, vcc_lo
	v_cmp_eq_u32_e32 vcc_lo, 30, v128
	v_add_nc_u64_e32 v[128:129], 1, v[128:129]
	s_delay_alu instid0(VALU_DEP_3) | instskip(SKIP_2) | instid1(VALU_DEP_2)
	v_cndmask_b32_e32 v133, v133, v64, vcc_lo
	v_cmp_eq_u32_e32 vcc_lo, 0, v65
	s_wait_dscnt 0x0
	v_fmac_f32_e32 v132, v133, v134
	s_or_b32 s2, vcc_lo, s2
	s_delay_alu instid0(SALU_CYCLE_1)
	s_and_not1_b32 exec_lo, exec_lo, s2
	s_cbranch_execnz .LBB30_77
; %bb.78:
	s_or_b32 exec_lo, exec_lo, s2
.LBB30_79:
	s_delay_alu instid0(SALU_CYCLE_1)
	s_or_b32 exec_lo, exec_lo, s1
.LBB30_80:
	s_delay_alu instid0(SALU_CYCLE_1)
	s_or_b32 exec_lo, exec_lo, s5
	v_mov_b32_e32 v58, 0
	ds_load_b32 v58, v58 offset:96
	s_wait_dscnt 0x0
	v_mul_f32_e32 v58, v132, v58
.LBB30_81:
	s_or_b32 exec_lo, exec_lo, s4
	v_cmp_lt_u32_e64 s1, 23, v0
	ds_store_b32 v131, v57
	s_wait_dscnt 0x0
	s_barrier_signal -1
	s_barrier_wait -1
	s_and_saveexec_b32 s4, s1
	s_cbranch_execz .LBB30_97
; %bb.82:
	s_and_not1_b32 vcc_lo, exec_lo, s31
	s_cbranch_vccnz .LBB30_84
; %bb.83:
	v_cmp_eq_u32_e32 vcc_lo, 1, v0
	ds_load_b32 v129, v131
	v_cndmask_b32_e32 v128, v34, v35, vcc_lo
	v_cmp_eq_u32_e32 vcc_lo, 2, v0
	s_delay_alu instid0(VALU_DEP_2) | instskip(SKIP_1) | instid1(VALU_DEP_2)
	v_cndmask_b32_e32 v128, v128, v36, vcc_lo
	v_cmp_eq_u32_e32 vcc_lo, 3, v0
	v_cndmask_b32_e32 v128, v128, v37, vcc_lo
	v_cmp_eq_u32_e32 vcc_lo, 4, v0
	s_delay_alu instid0(VALU_DEP_2) | instskip(SKIP_1) | instid1(VALU_DEP_2)
	v_cndmask_b32_e32 v128, v128, v38, vcc_lo
	v_cmp_eq_u32_e32 vcc_lo, 5, v0
	;; [unrolled: 5-line block ×14, first 2 shown]
	v_cndmask_b32_e32 v128, v128, v63, vcc_lo
	v_cmp_eq_u32_e32 vcc_lo, 30, v0
	s_delay_alu instid0(VALU_DEP_2) | instskip(SKIP_1) | instid1(VALU_DEP_1)
	v_cndmask_b32_e32 v128, v128, v64, vcc_lo
	s_wait_dscnt 0x0
	v_mul_f32_e32 v132, v128, v129
	s_cbranch_execz .LBB30_85
	s_branch .LBB30_86
.LBB30_84:
                                        ; implicit-def: $vgpr132
.LBB30_85:
	ds_load_b32 v132, v131
.LBB30_86:
	s_and_saveexec_b32 s5, s0
	s_cbranch_execz .LBB30_96
; %bb.87:
	v_subrev_nc_u32_e32 v128, 25, v0
	s_delay_alu instid0(VALU_DEP_1)
	v_cmp_lt_u32_e32 vcc_lo, 6, v128
	v_mov_b32_e32 v128, 24
	s_and_saveexec_b32 s0, vcc_lo
	s_cbranch_execz .LBB30_91
; %bb.88:
	v_and_b32_e32 v128, 24, v0
	s_mov_b32 s6, 0
	s_mov_b64 s[2:3], 31
	s_movk_i32 s7, 0xe0
	s_delay_alu instid0(VALU_DEP_1)
	v_sub_nc_u32_e32 v130, 0, v128
.LBB30_89:                              ; =>This Inner Loop Header: Depth=1
	s_add_co_i32 m0, s2, -7
	v_movrels_b32_e32 v129, v34
	v_mov_b32_e32 v128, s7
	s_add_co_i32 m0, s2, -6
	s_add_co_i32 s7, s7, 32
	v_movrels_b32_e32 v133, v34
	s_add_co_i32 m0, s2, -5
	ds_load_b128 v[134:137], v128
	ds_load_b128 v[138:141], v128 offset:16
	v_movrels_b32_e32 v128, v34
	s_add_co_i32 m0, s2, -4
	s_wait_dscnt 0x1
	v_fmac_f32_e32 v132, v129, v134
	v_movrels_b32_e32 v129, v34
	s_add_co_i32 m0, s2, -3
	s_delay_alu instid0(VALU_DEP_2) | instskip(NEXT) | instid1(VALU_DEP_1)
	v_fmac_f32_e32 v132, v133, v135
	v_fmac_f32_e32 v132, v128, v136
	v_movrels_b32_e32 v128, v34
	s_add_co_i32 m0, s2, -2
	s_delay_alu instid0(VALU_DEP_2) | instskip(SKIP_3) | instid1(VALU_DEP_2)
	v_fmac_f32_e32 v132, v129, v137
	v_movrels_b32_e32 v129, v34
	s_add_co_i32 m0, s2, -1
	s_wait_dscnt 0x0
	v_fmac_f32_e32 v132, v128, v138
	v_movrels_b32_e32 v128, v34
	s_mov_b32 m0, s2
	s_add_nc_u64 s[2:3], s[2:3], 8
	v_movrels_b32_e32 v133, v34
	v_dual_fmac_f32 v132, v129, v139 :: v_dual_add_nc_u32 v129, s2, v130
	s_add_co_i32 s8, s2, -7
	s_delay_alu instid0(VALU_DEP_1) | instskip(NEXT) | instid1(VALU_DEP_2)
	v_fmac_f32_e32 v132, v128, v140
	v_cmp_eq_u32_e32 vcc_lo, 7, v129
	s_delay_alu instid0(VALU_DEP_2) | instskip(SKIP_1) | instid1(SALU_CYCLE_1)
	v_dual_mov_b32 v128, s8 :: v_dual_fmac_f32 v132, v133, v141
	s_or_b32 s6, vcc_lo, s6
	s_and_not1_b32 exec_lo, exec_lo, s6
	s_cbranch_execnz .LBB30_89
; %bb.90:
	s_or_b32 exec_lo, exec_lo, s6
.LBB30_91:
	s_delay_alu instid0(SALU_CYCLE_1) | instskip(SKIP_3) | instid1(VALU_DEP_1)
	s_or_b32 exec_lo, exec_lo, s0
	v_and_b32_e32 v65, 7, v0
	s_mov_b32 s2, 0
	s_mov_b32 s0, exec_lo
	v_cmpx_ne_u32_e32 0, v65
	s_cbranch_execz .LBB30_95
; %bb.92:
	v_lshl_add_u32 v130, v128, 2, 0x80
	v_mov_b32_e32 v129, 0
.LBB30_93:                              ; =>This Inner Loop Header: Depth=1
	v_cmp_eq_u32_e32 vcc_lo, 1, v128
	ds_load_b32 v134, v130
	v_dual_add_nc_u32 v65, -1, v65 :: v_dual_add_nc_u32 v130, 4, v130
	v_cndmask_b32_e32 v133, v34, v35, vcc_lo
	v_cmp_eq_u32_e32 vcc_lo, 2, v128
	s_delay_alu instid0(VALU_DEP_2) | instskip(SKIP_1) | instid1(VALU_DEP_2)
	v_cndmask_b32_e32 v133, v133, v36, vcc_lo
	v_cmp_eq_u32_e32 vcc_lo, 3, v128
	v_cndmask_b32_e32 v133, v133, v37, vcc_lo
	v_cmp_eq_u32_e32 vcc_lo, 4, v128
	s_delay_alu instid0(VALU_DEP_2) | instskip(SKIP_1) | instid1(VALU_DEP_2)
	v_cndmask_b32_e32 v133, v133, v38, vcc_lo
	v_cmp_eq_u32_e32 vcc_lo, 5, v128
	;; [unrolled: 5-line block ×14, first 2 shown]
	v_cndmask_b32_e32 v133, v133, v63, vcc_lo
	v_cmp_eq_u32_e32 vcc_lo, 30, v128
	v_add_nc_u64_e32 v[128:129], 1, v[128:129]
	s_delay_alu instid0(VALU_DEP_3) | instskip(SKIP_2) | instid1(VALU_DEP_2)
	v_cndmask_b32_e32 v133, v133, v64, vcc_lo
	v_cmp_eq_u32_e32 vcc_lo, 0, v65
	s_wait_dscnt 0x0
	v_fmac_f32_e32 v132, v133, v134
	s_or_b32 s2, vcc_lo, s2
	s_delay_alu instid0(SALU_CYCLE_1)
	s_and_not1_b32 exec_lo, exec_lo, s2
	s_cbranch_execnz .LBB30_93
; %bb.94:
	s_or_b32 exec_lo, exec_lo, s2
.LBB30_95:
	s_delay_alu instid0(SALU_CYCLE_1)
	s_or_b32 exec_lo, exec_lo, s0
.LBB30_96:
	s_delay_alu instid0(SALU_CYCLE_1)
	s_or_b32 exec_lo, exec_lo, s5
	v_mov_b32_e32 v57, 0
	ds_load_b32 v57, v57 offset:92
	s_wait_dscnt 0x0
	v_mul_f32_e32 v57, v132, v57
.LBB30_97:
	s_or_b32 exec_lo, exec_lo, s4
	v_cmp_lt_u32_e64 s0, 22, v0
	ds_store_b32 v131, v56
	s_wait_dscnt 0x0
	s_barrier_signal -1
	s_barrier_wait -1
	s_and_saveexec_b32 s4, s0
	s_cbranch_execz .LBB30_113
; %bb.98:
	s_and_not1_b32 vcc_lo, exec_lo, s31
	s_cbranch_vccnz .LBB30_100
; %bb.99:
	v_cmp_eq_u32_e32 vcc_lo, 1, v0
	ds_load_b32 v129, v131
	v_cndmask_b32_e32 v128, v34, v35, vcc_lo
	v_cmp_eq_u32_e32 vcc_lo, 2, v0
	s_delay_alu instid0(VALU_DEP_2) | instskip(SKIP_1) | instid1(VALU_DEP_2)
	v_cndmask_b32_e32 v128, v128, v36, vcc_lo
	v_cmp_eq_u32_e32 vcc_lo, 3, v0
	v_cndmask_b32_e32 v128, v128, v37, vcc_lo
	v_cmp_eq_u32_e32 vcc_lo, 4, v0
	s_delay_alu instid0(VALU_DEP_2) | instskip(SKIP_1) | instid1(VALU_DEP_2)
	v_cndmask_b32_e32 v128, v128, v38, vcc_lo
	v_cmp_eq_u32_e32 vcc_lo, 5, v0
	;; [unrolled: 5-line block ×14, first 2 shown]
	v_cndmask_b32_e32 v128, v128, v63, vcc_lo
	v_cmp_eq_u32_e32 vcc_lo, 30, v0
	s_delay_alu instid0(VALU_DEP_2) | instskip(SKIP_1) | instid1(VALU_DEP_1)
	v_cndmask_b32_e32 v128, v128, v64, vcc_lo
	s_wait_dscnt 0x0
	v_mul_f32_e32 v132, v128, v129
	s_cbranch_execz .LBB30_101
	s_branch .LBB30_102
.LBB30_100:
                                        ; implicit-def: $vgpr132
.LBB30_101:
	ds_load_b32 v132, v131
.LBB30_102:
	s_and_saveexec_b32 s5, s1
	s_cbranch_execz .LBB30_112
; %bb.103:
	v_subrev_nc_u32_e32 v130, 24, v0
	v_mov_b32_e32 v128, 23
	v_subrev_nc_u32_e32 v129, 23, v0
	s_mov_b32 s1, exec_lo
	s_delay_alu instid0(VALU_DEP_3)
	v_cmpx_lt_u32_e32 6, v130
	s_cbranch_execz .LBB30_107
; %bb.104:
	s_delay_alu instid0(VALU_DEP_2) | instskip(SKIP_3) | instid1(VALU_DEP_1)
	v_and_b32_e32 v128, -8, v129
	s_mov_b32 s6, 0
	s_mov_b64 s[2:3], 30
	s_movk_i32 s7, 0xdc
	v_sub_nc_u32_e32 v130, 0, v128
.LBB30_105:                             ; =>This Inner Loop Header: Depth=1
	s_add_co_i32 m0, s2, -7
	v_movrels_b32_e32 v133, v34
	v_mov_b32_e32 v128, s7
	s_add_co_i32 m0, s2, -6
	s_add_co_i32 s7, s7, 32
	v_movrels_b32_e32 v142, v34
	ds_load_2addr_b32 v[134:135], v128 offset1:1
	ds_load_2addr_b32 v[136:137], v128 offset0:2 offset1:3
	s_add_co_i32 m0, s2, -5
	s_wait_dscnt 0x1
	v_fmac_f32_e32 v132, v133, v134
	ds_load_2addr_b32 v[138:139], v128 offset0:4 offset1:5
	ds_load_2addr_b32 v[140:141], v128 offset0:6 offset1:7
	v_movrels_b32_e32 v128, v34
	s_add_co_i32 m0, s2, -4
	v_fmac_f32_e32 v132, v142, v135
	v_movrels_b32_e32 v133, v34
	s_add_co_i32 m0, s2, -3
	s_wait_dscnt 0x2
	s_delay_alu instid0(VALU_DEP_2) | instskip(SKIP_2) | instid1(VALU_DEP_2)
	v_fmac_f32_e32 v132, v128, v136
	v_movrels_b32_e32 v128, v34
	s_add_co_i32 m0, s2, -2
	v_fmac_f32_e32 v132, v133, v137
	v_movrels_b32_e32 v133, v34
	s_add_co_i32 m0, s2, -1
	s_wait_dscnt 0x1
	s_delay_alu instid0(VALU_DEP_2)
	v_fmac_f32_e32 v132, v128, v138
	v_movrels_b32_e32 v128, v34
	s_mov_b32 m0, s2
	s_add_nc_u64 s[2:3], s[2:3], 8
	v_movrels_b32_e32 v134, v34
	v_dual_fmac_f32 v132, v133, v139 :: v_dual_add_nc_u32 v133, s2, v130
	s_add_co_i32 s8, s2, -7
	s_wait_dscnt 0x0
	s_delay_alu instid0(VALU_DEP_1) | instskip(NEXT) | instid1(VALU_DEP_2)
	v_fmac_f32_e32 v132, v128, v140
	v_cmp_eq_u32_e32 vcc_lo, 30, v133
	s_delay_alu instid0(VALU_DEP_2) | instskip(SKIP_1) | instid1(SALU_CYCLE_1)
	v_dual_mov_b32 v128, s8 :: v_dual_fmac_f32 v132, v134, v141
	s_or_b32 s6, vcc_lo, s6
	s_and_not1_b32 exec_lo, exec_lo, s6
	s_cbranch_execnz .LBB30_105
; %bb.106:
	s_or_b32 exec_lo, exec_lo, s6
.LBB30_107:
	s_delay_alu instid0(SALU_CYCLE_1) | instskip(SKIP_3) | instid1(VALU_DEP_1)
	s_or_b32 exec_lo, exec_lo, s1
	v_and_b32_e32 v65, 7, v129
	s_mov_b32 s2, 0
	s_mov_b32 s1, exec_lo
	v_cmpx_ne_u32_e32 0, v65
	s_cbranch_execz .LBB30_111
; %bb.108:
	v_lshl_add_u32 v130, v128, 2, 0x80
	v_mov_b32_e32 v129, 0
.LBB30_109:                             ; =>This Inner Loop Header: Depth=1
	v_cmp_eq_u32_e32 vcc_lo, 1, v128
	ds_load_b32 v134, v130
	v_dual_add_nc_u32 v65, -1, v65 :: v_dual_add_nc_u32 v130, 4, v130
	v_cndmask_b32_e32 v133, v34, v35, vcc_lo
	v_cmp_eq_u32_e32 vcc_lo, 2, v128
	s_delay_alu instid0(VALU_DEP_2) | instskip(SKIP_1) | instid1(VALU_DEP_2)
	v_cndmask_b32_e32 v133, v133, v36, vcc_lo
	v_cmp_eq_u32_e32 vcc_lo, 3, v128
	v_cndmask_b32_e32 v133, v133, v37, vcc_lo
	v_cmp_eq_u32_e32 vcc_lo, 4, v128
	s_delay_alu instid0(VALU_DEP_2) | instskip(SKIP_1) | instid1(VALU_DEP_2)
	v_cndmask_b32_e32 v133, v133, v38, vcc_lo
	v_cmp_eq_u32_e32 vcc_lo, 5, v128
	;; [unrolled: 5-line block ×14, first 2 shown]
	v_cndmask_b32_e32 v133, v133, v63, vcc_lo
	v_cmp_eq_u32_e32 vcc_lo, 30, v128
	v_add_nc_u64_e32 v[128:129], 1, v[128:129]
	s_delay_alu instid0(VALU_DEP_3) | instskip(SKIP_2) | instid1(VALU_DEP_2)
	v_cndmask_b32_e32 v133, v133, v64, vcc_lo
	v_cmp_eq_u32_e32 vcc_lo, 0, v65
	s_wait_dscnt 0x0
	v_fmac_f32_e32 v132, v133, v134
	s_or_b32 s2, vcc_lo, s2
	s_delay_alu instid0(SALU_CYCLE_1)
	s_and_not1_b32 exec_lo, exec_lo, s2
	s_cbranch_execnz .LBB30_109
; %bb.110:
	s_or_b32 exec_lo, exec_lo, s2
.LBB30_111:
	s_delay_alu instid0(SALU_CYCLE_1)
	s_or_b32 exec_lo, exec_lo, s1
.LBB30_112:
	s_delay_alu instid0(SALU_CYCLE_1)
	s_or_b32 exec_lo, exec_lo, s5
	v_mov_b32_e32 v56, 0
	ds_load_b32 v56, v56 offset:88
	s_wait_dscnt 0x0
	v_mul_f32_e32 v56, v132, v56
.LBB30_113:
	s_or_b32 exec_lo, exec_lo, s4
	v_cmp_lt_u32_e64 s1, 21, v0
	ds_store_b32 v131, v55
	s_wait_dscnt 0x0
	s_barrier_signal -1
	s_barrier_wait -1
	s_and_saveexec_b32 s4, s1
	s_cbranch_execz .LBB30_129
; %bb.114:
	s_and_not1_b32 vcc_lo, exec_lo, s31
	s_cbranch_vccnz .LBB30_116
; %bb.115:
	v_cmp_eq_u32_e32 vcc_lo, 1, v0
	ds_load_b32 v129, v131
	v_cndmask_b32_e32 v128, v34, v35, vcc_lo
	v_cmp_eq_u32_e32 vcc_lo, 2, v0
	s_delay_alu instid0(VALU_DEP_2) | instskip(SKIP_1) | instid1(VALU_DEP_2)
	v_cndmask_b32_e32 v128, v128, v36, vcc_lo
	v_cmp_eq_u32_e32 vcc_lo, 3, v0
	v_cndmask_b32_e32 v128, v128, v37, vcc_lo
	v_cmp_eq_u32_e32 vcc_lo, 4, v0
	s_delay_alu instid0(VALU_DEP_2) | instskip(SKIP_1) | instid1(VALU_DEP_2)
	v_cndmask_b32_e32 v128, v128, v38, vcc_lo
	v_cmp_eq_u32_e32 vcc_lo, 5, v0
	;; [unrolled: 5-line block ×14, first 2 shown]
	v_cndmask_b32_e32 v128, v128, v63, vcc_lo
	v_cmp_eq_u32_e32 vcc_lo, 30, v0
	s_delay_alu instid0(VALU_DEP_2) | instskip(SKIP_1) | instid1(VALU_DEP_1)
	v_cndmask_b32_e32 v128, v128, v64, vcc_lo
	s_wait_dscnt 0x0
	v_mul_f32_e32 v132, v128, v129
	s_cbranch_execz .LBB30_117
	s_branch .LBB30_118
.LBB30_116:
                                        ; implicit-def: $vgpr132
.LBB30_117:
	ds_load_b32 v132, v131
.LBB30_118:
	s_and_saveexec_b32 s5, s0
	s_cbranch_execz .LBB30_128
; %bb.119:
	v_subrev_nc_u32_e32 v130, 23, v0
	v_mov_b32_e32 v128, 22
	v_subrev_nc_u32_e32 v129, 22, v0
	s_mov_b32 s0, exec_lo
	s_delay_alu instid0(VALU_DEP_3)
	v_cmpx_lt_u32_e32 6, v130
	s_cbranch_execz .LBB30_123
; %bb.120:
	s_delay_alu instid0(VALU_DEP_2) | instskip(SKIP_3) | instid1(VALU_DEP_1)
	v_and_b32_e32 v128, -8, v129
	s_mov_b32 s6, 0
	s_mov_b64 s[2:3], 29
	s_movk_i32 s7, 0xd8
	v_sub_nc_u32_e32 v130, 0, v128
.LBB30_121:                             ; =>This Inner Loop Header: Depth=1
	s_add_co_i32 m0, s2, -7
	v_movrels_b32_e32 v133, v34
	v_mov_b32_e32 v128, s7
	s_add_co_i32 m0, s2, -6
	s_add_co_i32 s7, s7, 32
	v_movrels_b32_e32 v142, v34
	s_add_co_i32 m0, s2, -5
	ds_load_2addr_b64 v[134:137], v128 offset1:1
	ds_load_2addr_b64 v[138:141], v128 offset0:2 offset1:3
	v_movrels_b32_e32 v128, v34
	s_add_co_i32 m0, s2, -4
	s_wait_dscnt 0x1
	v_fmac_f32_e32 v132, v133, v134
	v_movrels_b32_e32 v133, v34
	s_add_co_i32 m0, s2, -3
	s_delay_alu instid0(VALU_DEP_2) | instskip(NEXT) | instid1(VALU_DEP_1)
	v_fmac_f32_e32 v132, v142, v135
	v_fmac_f32_e32 v132, v128, v136
	v_movrels_b32_e32 v128, v34
	s_add_co_i32 m0, s2, -2
	s_delay_alu instid0(VALU_DEP_2) | instskip(SKIP_3) | instid1(VALU_DEP_2)
	v_fmac_f32_e32 v132, v133, v137
	v_movrels_b32_e32 v133, v34
	s_add_co_i32 m0, s2, -1
	s_wait_dscnt 0x0
	v_fmac_f32_e32 v132, v128, v138
	v_movrels_b32_e32 v128, v34
	s_mov_b32 m0, s2
	s_add_nc_u64 s[2:3], s[2:3], 8
	v_movrels_b32_e32 v134, v34
	v_dual_fmac_f32 v132, v133, v139 :: v_dual_add_nc_u32 v133, s2, v130
	s_add_co_i32 s8, s2, -7
	s_delay_alu instid0(VALU_DEP_1) | instskip(NEXT) | instid1(VALU_DEP_2)
	v_fmac_f32_e32 v132, v128, v140
	v_cmp_eq_u32_e32 vcc_lo, 29, v133
	s_delay_alu instid0(VALU_DEP_2) | instskip(SKIP_1) | instid1(SALU_CYCLE_1)
	v_dual_mov_b32 v128, s8 :: v_dual_fmac_f32 v132, v134, v141
	s_or_b32 s6, vcc_lo, s6
	s_and_not1_b32 exec_lo, exec_lo, s6
	s_cbranch_execnz .LBB30_121
; %bb.122:
	s_or_b32 exec_lo, exec_lo, s6
.LBB30_123:
	s_delay_alu instid0(SALU_CYCLE_1) | instskip(SKIP_3) | instid1(VALU_DEP_1)
	s_or_b32 exec_lo, exec_lo, s0
	v_and_b32_e32 v65, 7, v129
	s_mov_b32 s2, 0
	s_mov_b32 s0, exec_lo
	v_cmpx_ne_u32_e32 0, v65
	s_cbranch_execz .LBB30_127
; %bb.124:
	v_lshl_add_u32 v130, v128, 2, 0x80
	v_mov_b32_e32 v129, 0
.LBB30_125:                             ; =>This Inner Loop Header: Depth=1
	v_cmp_eq_u32_e32 vcc_lo, 1, v128
	ds_load_b32 v134, v130
	v_dual_add_nc_u32 v65, -1, v65 :: v_dual_add_nc_u32 v130, 4, v130
	v_cndmask_b32_e32 v133, v34, v35, vcc_lo
	v_cmp_eq_u32_e32 vcc_lo, 2, v128
	s_delay_alu instid0(VALU_DEP_2) | instskip(SKIP_1) | instid1(VALU_DEP_2)
	v_cndmask_b32_e32 v133, v133, v36, vcc_lo
	v_cmp_eq_u32_e32 vcc_lo, 3, v128
	v_cndmask_b32_e32 v133, v133, v37, vcc_lo
	v_cmp_eq_u32_e32 vcc_lo, 4, v128
	s_delay_alu instid0(VALU_DEP_2) | instskip(SKIP_1) | instid1(VALU_DEP_2)
	v_cndmask_b32_e32 v133, v133, v38, vcc_lo
	v_cmp_eq_u32_e32 vcc_lo, 5, v128
	;; [unrolled: 5-line block ×14, first 2 shown]
	v_cndmask_b32_e32 v133, v133, v63, vcc_lo
	v_cmp_eq_u32_e32 vcc_lo, 30, v128
	v_add_nc_u64_e32 v[128:129], 1, v[128:129]
	s_delay_alu instid0(VALU_DEP_3) | instskip(SKIP_2) | instid1(VALU_DEP_2)
	v_cndmask_b32_e32 v133, v133, v64, vcc_lo
	v_cmp_eq_u32_e32 vcc_lo, 0, v65
	s_wait_dscnt 0x0
	v_fmac_f32_e32 v132, v133, v134
	s_or_b32 s2, vcc_lo, s2
	s_delay_alu instid0(SALU_CYCLE_1)
	s_and_not1_b32 exec_lo, exec_lo, s2
	s_cbranch_execnz .LBB30_125
; %bb.126:
	s_or_b32 exec_lo, exec_lo, s2
.LBB30_127:
	s_delay_alu instid0(SALU_CYCLE_1)
	s_or_b32 exec_lo, exec_lo, s0
.LBB30_128:
	s_delay_alu instid0(SALU_CYCLE_1)
	s_or_b32 exec_lo, exec_lo, s5
	v_mov_b32_e32 v55, 0
	ds_load_b32 v55, v55 offset:84
	s_wait_dscnt 0x0
	v_mul_f32_e32 v55, v132, v55
.LBB30_129:
	s_or_b32 exec_lo, exec_lo, s4
	v_cmp_lt_u32_e64 s0, 20, v0
	ds_store_b32 v131, v54
	s_wait_dscnt 0x0
	s_barrier_signal -1
	s_barrier_wait -1
	s_and_saveexec_b32 s4, s0
	s_cbranch_execz .LBB30_145
; %bb.130:
	s_and_not1_b32 vcc_lo, exec_lo, s31
	s_cbranch_vccnz .LBB30_132
; %bb.131:
	v_cmp_eq_u32_e32 vcc_lo, 1, v0
	ds_load_b32 v129, v131
	v_cndmask_b32_e32 v128, v34, v35, vcc_lo
	v_cmp_eq_u32_e32 vcc_lo, 2, v0
	s_delay_alu instid0(VALU_DEP_2) | instskip(SKIP_1) | instid1(VALU_DEP_2)
	v_cndmask_b32_e32 v128, v128, v36, vcc_lo
	v_cmp_eq_u32_e32 vcc_lo, 3, v0
	v_cndmask_b32_e32 v128, v128, v37, vcc_lo
	v_cmp_eq_u32_e32 vcc_lo, 4, v0
	s_delay_alu instid0(VALU_DEP_2) | instskip(SKIP_1) | instid1(VALU_DEP_2)
	v_cndmask_b32_e32 v128, v128, v38, vcc_lo
	v_cmp_eq_u32_e32 vcc_lo, 5, v0
	;; [unrolled: 5-line block ×14, first 2 shown]
	v_cndmask_b32_e32 v128, v128, v63, vcc_lo
	v_cmp_eq_u32_e32 vcc_lo, 30, v0
	s_delay_alu instid0(VALU_DEP_2) | instskip(SKIP_1) | instid1(VALU_DEP_1)
	v_cndmask_b32_e32 v128, v128, v64, vcc_lo
	s_wait_dscnt 0x0
	v_mul_f32_e32 v132, v128, v129
	s_cbranch_execz .LBB30_133
	s_branch .LBB30_134
.LBB30_132:
                                        ; implicit-def: $vgpr132
.LBB30_133:
	ds_load_b32 v132, v131
.LBB30_134:
	s_and_saveexec_b32 s5, s1
	s_cbranch_execz .LBB30_144
; %bb.135:
	v_subrev_nc_u32_e32 v130, 22, v0
	v_mov_b32_e32 v128, 21
	v_subrev_nc_u32_e32 v129, 21, v0
	s_mov_b32 s1, exec_lo
	s_delay_alu instid0(VALU_DEP_3)
	v_cmpx_lt_u32_e32 6, v130
	s_cbranch_execz .LBB30_139
; %bb.136:
	s_delay_alu instid0(VALU_DEP_2) | instskip(SKIP_3) | instid1(VALU_DEP_1)
	v_and_b32_e32 v128, -8, v129
	s_mov_b32 s6, 0
	s_mov_b64 s[2:3], 28
	s_movk_i32 s7, 0xd4
	v_sub_nc_u32_e32 v130, 0, v128
.LBB30_137:                             ; =>This Inner Loop Header: Depth=1
	s_add_co_i32 m0, s2, -7
	v_movrels_b32_e32 v133, v34
	v_mov_b32_e32 v128, s7
	s_add_co_i32 m0, s2, -6
	s_add_co_i32 s7, s7, 32
	v_movrels_b32_e32 v142, v34
	ds_load_2addr_b32 v[134:135], v128 offset1:1
	ds_load_2addr_b32 v[136:137], v128 offset0:2 offset1:3
	s_add_co_i32 m0, s2, -5
	s_wait_dscnt 0x1
	v_fmac_f32_e32 v132, v133, v134
	ds_load_2addr_b32 v[138:139], v128 offset0:4 offset1:5
	ds_load_2addr_b32 v[140:141], v128 offset0:6 offset1:7
	v_movrels_b32_e32 v128, v34
	s_add_co_i32 m0, s2, -4
	v_fmac_f32_e32 v132, v142, v135
	v_movrels_b32_e32 v133, v34
	s_add_co_i32 m0, s2, -3
	s_wait_dscnt 0x2
	s_delay_alu instid0(VALU_DEP_2) | instskip(SKIP_2) | instid1(VALU_DEP_2)
	v_fmac_f32_e32 v132, v128, v136
	v_movrels_b32_e32 v128, v34
	s_add_co_i32 m0, s2, -2
	v_fmac_f32_e32 v132, v133, v137
	v_movrels_b32_e32 v133, v34
	s_add_co_i32 m0, s2, -1
	s_wait_dscnt 0x1
	s_delay_alu instid0(VALU_DEP_2)
	v_fmac_f32_e32 v132, v128, v138
	v_movrels_b32_e32 v128, v34
	s_mov_b32 m0, s2
	s_add_nc_u64 s[2:3], s[2:3], 8
	v_movrels_b32_e32 v134, v34
	v_dual_fmac_f32 v132, v133, v139 :: v_dual_add_nc_u32 v133, s2, v130
	s_add_co_i32 s8, s2, -7
	s_wait_dscnt 0x0
	s_delay_alu instid0(VALU_DEP_1) | instskip(NEXT) | instid1(VALU_DEP_2)
	v_fmac_f32_e32 v132, v128, v140
	v_cmp_eq_u32_e32 vcc_lo, 28, v133
	s_delay_alu instid0(VALU_DEP_2) | instskip(SKIP_1) | instid1(SALU_CYCLE_1)
	v_dual_mov_b32 v128, s8 :: v_dual_fmac_f32 v132, v134, v141
	s_or_b32 s6, vcc_lo, s6
	s_and_not1_b32 exec_lo, exec_lo, s6
	s_cbranch_execnz .LBB30_137
; %bb.138:
	s_or_b32 exec_lo, exec_lo, s6
.LBB30_139:
	s_delay_alu instid0(SALU_CYCLE_1) | instskip(SKIP_3) | instid1(VALU_DEP_1)
	s_or_b32 exec_lo, exec_lo, s1
	v_and_b32_e32 v65, 7, v129
	s_mov_b32 s2, 0
	s_mov_b32 s1, exec_lo
	v_cmpx_ne_u32_e32 0, v65
	s_cbranch_execz .LBB30_143
; %bb.140:
	v_lshl_add_u32 v130, v128, 2, 0x80
	v_mov_b32_e32 v129, 0
.LBB30_141:                             ; =>This Inner Loop Header: Depth=1
	v_cmp_eq_u32_e32 vcc_lo, 1, v128
	ds_load_b32 v134, v130
	v_dual_add_nc_u32 v65, -1, v65 :: v_dual_add_nc_u32 v130, 4, v130
	v_cndmask_b32_e32 v133, v34, v35, vcc_lo
	v_cmp_eq_u32_e32 vcc_lo, 2, v128
	s_delay_alu instid0(VALU_DEP_2) | instskip(SKIP_1) | instid1(VALU_DEP_2)
	v_cndmask_b32_e32 v133, v133, v36, vcc_lo
	v_cmp_eq_u32_e32 vcc_lo, 3, v128
	v_cndmask_b32_e32 v133, v133, v37, vcc_lo
	v_cmp_eq_u32_e32 vcc_lo, 4, v128
	s_delay_alu instid0(VALU_DEP_2) | instskip(SKIP_1) | instid1(VALU_DEP_2)
	v_cndmask_b32_e32 v133, v133, v38, vcc_lo
	v_cmp_eq_u32_e32 vcc_lo, 5, v128
	;; [unrolled: 5-line block ×14, first 2 shown]
	v_cndmask_b32_e32 v133, v133, v63, vcc_lo
	v_cmp_eq_u32_e32 vcc_lo, 30, v128
	v_add_nc_u64_e32 v[128:129], 1, v[128:129]
	s_delay_alu instid0(VALU_DEP_3) | instskip(SKIP_2) | instid1(VALU_DEP_2)
	v_cndmask_b32_e32 v133, v133, v64, vcc_lo
	v_cmp_eq_u32_e32 vcc_lo, 0, v65
	s_wait_dscnt 0x0
	v_fmac_f32_e32 v132, v133, v134
	s_or_b32 s2, vcc_lo, s2
	s_delay_alu instid0(SALU_CYCLE_1)
	s_and_not1_b32 exec_lo, exec_lo, s2
	s_cbranch_execnz .LBB30_141
; %bb.142:
	s_or_b32 exec_lo, exec_lo, s2
.LBB30_143:
	s_delay_alu instid0(SALU_CYCLE_1)
	s_or_b32 exec_lo, exec_lo, s1
.LBB30_144:
	s_delay_alu instid0(SALU_CYCLE_1)
	s_or_b32 exec_lo, exec_lo, s5
	v_mov_b32_e32 v54, 0
	ds_load_b32 v54, v54 offset:80
	s_wait_dscnt 0x0
	v_mul_f32_e32 v54, v132, v54
.LBB30_145:
	s_or_b32 exec_lo, exec_lo, s4
	v_cmp_lt_u32_e64 s1, 19, v0
	ds_store_b32 v131, v53
	s_wait_dscnt 0x0
	s_barrier_signal -1
	s_barrier_wait -1
	s_and_saveexec_b32 s4, s1
	s_cbranch_execz .LBB30_161
; %bb.146:
	s_and_not1_b32 vcc_lo, exec_lo, s31
	s_cbranch_vccnz .LBB30_148
; %bb.147:
	v_cmp_eq_u32_e32 vcc_lo, 1, v0
	ds_load_b32 v129, v131
	v_cndmask_b32_e32 v128, v34, v35, vcc_lo
	v_cmp_eq_u32_e32 vcc_lo, 2, v0
	s_delay_alu instid0(VALU_DEP_2) | instskip(SKIP_1) | instid1(VALU_DEP_2)
	v_cndmask_b32_e32 v128, v128, v36, vcc_lo
	v_cmp_eq_u32_e32 vcc_lo, 3, v0
	v_cndmask_b32_e32 v128, v128, v37, vcc_lo
	v_cmp_eq_u32_e32 vcc_lo, 4, v0
	s_delay_alu instid0(VALU_DEP_2) | instskip(SKIP_1) | instid1(VALU_DEP_2)
	v_cndmask_b32_e32 v128, v128, v38, vcc_lo
	v_cmp_eq_u32_e32 vcc_lo, 5, v0
	v_cndmask_b32_e32 v128, v128, v39, vcc_lo
	v_cmp_eq_u32_e32 vcc_lo, 6, v0
	s_delay_alu instid0(VALU_DEP_2) | instskip(SKIP_1) | instid1(VALU_DEP_2)
	v_cndmask_b32_e32 v128, v128, v40, vcc_lo
	v_cmp_eq_u32_e32 vcc_lo, 7, v0
	v_cndmask_b32_e32 v128, v128, v41, vcc_lo
	v_cmp_eq_u32_e32 vcc_lo, 8, v0
	s_delay_alu instid0(VALU_DEP_2) | instskip(SKIP_1) | instid1(VALU_DEP_2)
	v_cndmask_b32_e32 v128, v128, v42, vcc_lo
	v_cmp_eq_u32_e32 vcc_lo, 9, v0
	v_cndmask_b32_e32 v128, v128, v43, vcc_lo
	v_cmp_eq_u32_e32 vcc_lo, 10, v0
	s_delay_alu instid0(VALU_DEP_2) | instskip(SKIP_1) | instid1(VALU_DEP_2)
	v_cndmask_b32_e32 v128, v128, v44, vcc_lo
	v_cmp_eq_u32_e32 vcc_lo, 11, v0
	v_cndmask_b32_e32 v128, v128, v45, vcc_lo
	v_cmp_eq_u32_e32 vcc_lo, 12, v0
	s_delay_alu instid0(VALU_DEP_2) | instskip(SKIP_1) | instid1(VALU_DEP_2)
	v_cndmask_b32_e32 v128, v128, v46, vcc_lo
	v_cmp_eq_u32_e32 vcc_lo, 13, v0
	v_cndmask_b32_e32 v128, v128, v47, vcc_lo
	v_cmp_eq_u32_e32 vcc_lo, 14, v0
	s_delay_alu instid0(VALU_DEP_2) | instskip(SKIP_1) | instid1(VALU_DEP_2)
	v_cndmask_b32_e32 v128, v128, v48, vcc_lo
	v_cmp_eq_u32_e32 vcc_lo, 15, v0
	v_cndmask_b32_e32 v128, v128, v49, vcc_lo
	v_cmp_eq_u32_e32 vcc_lo, 16, v0
	s_delay_alu instid0(VALU_DEP_2) | instskip(SKIP_1) | instid1(VALU_DEP_2)
	v_cndmask_b32_e32 v128, v128, v50, vcc_lo
	v_cmp_eq_u32_e32 vcc_lo, 17, v0
	v_cndmask_b32_e32 v128, v128, v51, vcc_lo
	v_cmp_eq_u32_e32 vcc_lo, 18, v0
	s_delay_alu instid0(VALU_DEP_2) | instskip(SKIP_1) | instid1(VALU_DEP_2)
	v_cndmask_b32_e32 v128, v128, v52, vcc_lo
	v_cmp_eq_u32_e32 vcc_lo, 19, v0
	v_cndmask_b32_e32 v128, v128, v53, vcc_lo
	v_cmp_eq_u32_e32 vcc_lo, 20, v0
	s_delay_alu instid0(VALU_DEP_2) | instskip(SKIP_1) | instid1(VALU_DEP_2)
	v_cndmask_b32_e32 v128, v128, v54, vcc_lo
	v_cmp_eq_u32_e32 vcc_lo, 21, v0
	v_cndmask_b32_e32 v128, v128, v55, vcc_lo
	v_cmp_eq_u32_e32 vcc_lo, 22, v0
	s_delay_alu instid0(VALU_DEP_2) | instskip(SKIP_1) | instid1(VALU_DEP_2)
	v_cndmask_b32_e32 v128, v128, v56, vcc_lo
	v_cmp_eq_u32_e32 vcc_lo, 23, v0
	v_cndmask_b32_e32 v128, v128, v57, vcc_lo
	v_cmp_eq_u32_e32 vcc_lo, 24, v0
	s_delay_alu instid0(VALU_DEP_2) | instskip(SKIP_1) | instid1(VALU_DEP_2)
	v_cndmask_b32_e32 v128, v128, v58, vcc_lo
	v_cmp_eq_u32_e32 vcc_lo, 25, v0
	v_cndmask_b32_e32 v128, v128, v59, vcc_lo
	v_cmp_eq_u32_e32 vcc_lo, 26, v0
	s_delay_alu instid0(VALU_DEP_2) | instskip(SKIP_1) | instid1(VALU_DEP_2)
	v_cndmask_b32_e32 v128, v128, v60, vcc_lo
	v_cmp_eq_u32_e32 vcc_lo, 27, v0
	v_cndmask_b32_e32 v128, v128, v61, vcc_lo
	v_cmp_eq_u32_e32 vcc_lo, 28, v0
	s_delay_alu instid0(VALU_DEP_2) | instskip(SKIP_1) | instid1(VALU_DEP_2)
	v_cndmask_b32_e32 v128, v128, v62, vcc_lo
	v_cmp_eq_u32_e32 vcc_lo, 29, v0
	v_cndmask_b32_e32 v128, v128, v63, vcc_lo
	v_cmp_eq_u32_e32 vcc_lo, 30, v0
	s_delay_alu instid0(VALU_DEP_2) | instskip(SKIP_1) | instid1(VALU_DEP_1)
	v_cndmask_b32_e32 v128, v128, v64, vcc_lo
	s_wait_dscnt 0x0
	v_mul_f32_e32 v132, v128, v129
	s_cbranch_execz .LBB30_149
	s_branch .LBB30_150
.LBB30_148:
                                        ; implicit-def: $vgpr132
.LBB30_149:
	ds_load_b32 v132, v131
.LBB30_150:
	s_and_saveexec_b32 s5, s0
	s_cbranch_execz .LBB30_160
; %bb.151:
	v_subrev_nc_u32_e32 v130, 21, v0
	v_mov_b32_e32 v128, 20
	v_subrev_nc_u32_e32 v129, 20, v0
	s_mov_b32 s0, exec_lo
	s_delay_alu instid0(VALU_DEP_3)
	v_cmpx_lt_u32_e32 6, v130
	s_cbranch_execz .LBB30_155
; %bb.152:
	s_delay_alu instid0(VALU_DEP_2) | instskip(SKIP_3) | instid1(VALU_DEP_1)
	v_and_b32_e32 v128, -8, v129
	s_mov_b32 s6, 0
	s_mov_b64 s[2:3], 27
	s_movk_i32 s7, 0xd0
	v_sub_nc_u32_e32 v130, 0, v128
.LBB30_153:                             ; =>This Inner Loop Header: Depth=1
	s_add_co_i32 m0, s2, -7
	v_movrels_b32_e32 v133, v34
	v_mov_b32_e32 v128, s7
	s_add_co_i32 m0, s2, -6
	s_add_co_i32 s7, s7, 32
	v_movrels_b32_e32 v142, v34
	s_add_co_i32 m0, s2, -5
	ds_load_b128 v[134:137], v128
	ds_load_b128 v[138:141], v128 offset:16
	v_movrels_b32_e32 v128, v34
	s_add_co_i32 m0, s2, -4
	s_wait_dscnt 0x1
	v_fmac_f32_e32 v132, v133, v134
	v_movrels_b32_e32 v133, v34
	s_add_co_i32 m0, s2, -3
	s_delay_alu instid0(VALU_DEP_2) | instskip(NEXT) | instid1(VALU_DEP_1)
	v_fmac_f32_e32 v132, v142, v135
	v_fmac_f32_e32 v132, v128, v136
	v_movrels_b32_e32 v128, v34
	s_add_co_i32 m0, s2, -2
	s_delay_alu instid0(VALU_DEP_2) | instskip(SKIP_3) | instid1(VALU_DEP_2)
	v_fmac_f32_e32 v132, v133, v137
	v_movrels_b32_e32 v133, v34
	s_add_co_i32 m0, s2, -1
	s_wait_dscnt 0x0
	v_fmac_f32_e32 v132, v128, v138
	v_movrels_b32_e32 v128, v34
	s_mov_b32 m0, s2
	s_add_nc_u64 s[2:3], s[2:3], 8
	v_movrels_b32_e32 v134, v34
	v_dual_fmac_f32 v132, v133, v139 :: v_dual_add_nc_u32 v133, s2, v130
	s_add_co_i32 s8, s2, -7
	s_delay_alu instid0(VALU_DEP_1) | instskip(NEXT) | instid1(VALU_DEP_2)
	v_fmac_f32_e32 v132, v128, v140
	v_cmp_eq_u32_e32 vcc_lo, 27, v133
	s_delay_alu instid0(VALU_DEP_2) | instskip(SKIP_1) | instid1(SALU_CYCLE_1)
	v_dual_mov_b32 v128, s8 :: v_dual_fmac_f32 v132, v134, v141
	s_or_b32 s6, vcc_lo, s6
	s_and_not1_b32 exec_lo, exec_lo, s6
	s_cbranch_execnz .LBB30_153
; %bb.154:
	s_or_b32 exec_lo, exec_lo, s6
.LBB30_155:
	s_delay_alu instid0(SALU_CYCLE_1) | instskip(SKIP_3) | instid1(VALU_DEP_1)
	s_or_b32 exec_lo, exec_lo, s0
	v_and_b32_e32 v65, 7, v129
	s_mov_b32 s2, 0
	s_mov_b32 s0, exec_lo
	v_cmpx_ne_u32_e32 0, v65
	s_cbranch_execz .LBB30_159
; %bb.156:
	v_lshl_add_u32 v130, v128, 2, 0x80
	v_mov_b32_e32 v129, 0
.LBB30_157:                             ; =>This Inner Loop Header: Depth=1
	v_cmp_eq_u32_e32 vcc_lo, 1, v128
	ds_load_b32 v134, v130
	v_dual_add_nc_u32 v65, -1, v65 :: v_dual_add_nc_u32 v130, 4, v130
	v_cndmask_b32_e32 v133, v34, v35, vcc_lo
	v_cmp_eq_u32_e32 vcc_lo, 2, v128
	s_delay_alu instid0(VALU_DEP_2) | instskip(SKIP_1) | instid1(VALU_DEP_2)
	v_cndmask_b32_e32 v133, v133, v36, vcc_lo
	v_cmp_eq_u32_e32 vcc_lo, 3, v128
	v_cndmask_b32_e32 v133, v133, v37, vcc_lo
	v_cmp_eq_u32_e32 vcc_lo, 4, v128
	s_delay_alu instid0(VALU_DEP_2) | instskip(SKIP_1) | instid1(VALU_DEP_2)
	v_cndmask_b32_e32 v133, v133, v38, vcc_lo
	v_cmp_eq_u32_e32 vcc_lo, 5, v128
	;; [unrolled: 5-line block ×14, first 2 shown]
	v_cndmask_b32_e32 v133, v133, v63, vcc_lo
	v_cmp_eq_u32_e32 vcc_lo, 30, v128
	v_add_nc_u64_e32 v[128:129], 1, v[128:129]
	s_delay_alu instid0(VALU_DEP_3) | instskip(SKIP_2) | instid1(VALU_DEP_2)
	v_cndmask_b32_e32 v133, v133, v64, vcc_lo
	v_cmp_eq_u32_e32 vcc_lo, 0, v65
	s_wait_dscnt 0x0
	v_fmac_f32_e32 v132, v133, v134
	s_or_b32 s2, vcc_lo, s2
	s_delay_alu instid0(SALU_CYCLE_1)
	s_and_not1_b32 exec_lo, exec_lo, s2
	s_cbranch_execnz .LBB30_157
; %bb.158:
	s_or_b32 exec_lo, exec_lo, s2
.LBB30_159:
	s_delay_alu instid0(SALU_CYCLE_1)
	s_or_b32 exec_lo, exec_lo, s0
.LBB30_160:
	s_delay_alu instid0(SALU_CYCLE_1)
	s_or_b32 exec_lo, exec_lo, s5
	v_mov_b32_e32 v53, 0
	ds_load_b32 v53, v53 offset:76
	s_wait_dscnt 0x0
	v_mul_f32_e32 v53, v132, v53
.LBB30_161:
	s_or_b32 exec_lo, exec_lo, s4
	v_cmp_lt_u32_e64 s0, 18, v0
	ds_store_b32 v131, v52
	s_wait_dscnt 0x0
	s_barrier_signal -1
	s_barrier_wait -1
	s_and_saveexec_b32 s4, s0
	s_cbranch_execz .LBB30_177
; %bb.162:
	s_and_not1_b32 vcc_lo, exec_lo, s31
	s_cbranch_vccnz .LBB30_164
; %bb.163:
	v_cmp_eq_u32_e32 vcc_lo, 1, v0
	ds_load_b32 v129, v131
	v_cndmask_b32_e32 v128, v34, v35, vcc_lo
	v_cmp_eq_u32_e32 vcc_lo, 2, v0
	s_delay_alu instid0(VALU_DEP_2) | instskip(SKIP_1) | instid1(VALU_DEP_2)
	v_cndmask_b32_e32 v128, v128, v36, vcc_lo
	v_cmp_eq_u32_e32 vcc_lo, 3, v0
	v_cndmask_b32_e32 v128, v128, v37, vcc_lo
	v_cmp_eq_u32_e32 vcc_lo, 4, v0
	s_delay_alu instid0(VALU_DEP_2) | instskip(SKIP_1) | instid1(VALU_DEP_2)
	v_cndmask_b32_e32 v128, v128, v38, vcc_lo
	v_cmp_eq_u32_e32 vcc_lo, 5, v0
	;; [unrolled: 5-line block ×14, first 2 shown]
	v_cndmask_b32_e32 v128, v128, v63, vcc_lo
	v_cmp_eq_u32_e32 vcc_lo, 30, v0
	s_delay_alu instid0(VALU_DEP_2) | instskip(SKIP_1) | instid1(VALU_DEP_1)
	v_cndmask_b32_e32 v128, v128, v64, vcc_lo
	s_wait_dscnt 0x0
	v_mul_f32_e32 v132, v128, v129
	s_cbranch_execz .LBB30_165
	s_branch .LBB30_166
.LBB30_164:
                                        ; implicit-def: $vgpr132
.LBB30_165:
	ds_load_b32 v132, v131
.LBB30_166:
	s_and_saveexec_b32 s5, s1
	s_cbranch_execz .LBB30_176
; %bb.167:
	v_subrev_nc_u32_e32 v130, 20, v0
	v_mov_b32_e32 v128, 19
	v_subrev_nc_u32_e32 v129, 19, v0
	s_mov_b32 s1, exec_lo
	s_delay_alu instid0(VALU_DEP_3)
	v_cmpx_lt_u32_e32 6, v130
	s_cbranch_execz .LBB30_171
; %bb.168:
	s_delay_alu instid0(VALU_DEP_2) | instskip(SKIP_3) | instid1(VALU_DEP_1)
	v_and_b32_e32 v128, -8, v129
	s_mov_b32 s6, 0
	s_mov_b64 s[2:3], 26
	s_movk_i32 s7, 0xcc
	v_sub_nc_u32_e32 v130, 0, v128
.LBB30_169:                             ; =>This Inner Loop Header: Depth=1
	s_add_co_i32 m0, s2, -7
	v_movrels_b32_e32 v133, v34
	v_mov_b32_e32 v128, s7
	s_add_co_i32 m0, s2, -6
	s_add_co_i32 s7, s7, 32
	v_movrels_b32_e32 v142, v34
	ds_load_2addr_b32 v[134:135], v128 offset1:1
	ds_load_2addr_b32 v[136:137], v128 offset0:2 offset1:3
	s_add_co_i32 m0, s2, -5
	s_wait_dscnt 0x1
	v_fmac_f32_e32 v132, v133, v134
	ds_load_2addr_b32 v[138:139], v128 offset0:4 offset1:5
	ds_load_2addr_b32 v[140:141], v128 offset0:6 offset1:7
	v_movrels_b32_e32 v128, v34
	s_add_co_i32 m0, s2, -4
	v_fmac_f32_e32 v132, v142, v135
	v_movrels_b32_e32 v133, v34
	s_add_co_i32 m0, s2, -3
	s_wait_dscnt 0x2
	s_delay_alu instid0(VALU_DEP_2) | instskip(SKIP_2) | instid1(VALU_DEP_2)
	v_fmac_f32_e32 v132, v128, v136
	v_movrels_b32_e32 v128, v34
	s_add_co_i32 m0, s2, -2
	v_fmac_f32_e32 v132, v133, v137
	v_movrels_b32_e32 v133, v34
	s_add_co_i32 m0, s2, -1
	s_wait_dscnt 0x1
	s_delay_alu instid0(VALU_DEP_2)
	v_fmac_f32_e32 v132, v128, v138
	v_movrels_b32_e32 v128, v34
	s_mov_b32 m0, s2
	s_add_nc_u64 s[2:3], s[2:3], 8
	v_movrels_b32_e32 v134, v34
	v_dual_fmac_f32 v132, v133, v139 :: v_dual_add_nc_u32 v133, s2, v130
	s_add_co_i32 s8, s2, -7
	s_wait_dscnt 0x0
	s_delay_alu instid0(VALU_DEP_1) | instskip(NEXT) | instid1(VALU_DEP_2)
	v_fmac_f32_e32 v132, v128, v140
	v_cmp_eq_u32_e32 vcc_lo, 26, v133
	s_delay_alu instid0(VALU_DEP_2) | instskip(SKIP_1) | instid1(SALU_CYCLE_1)
	v_dual_mov_b32 v128, s8 :: v_dual_fmac_f32 v132, v134, v141
	s_or_b32 s6, vcc_lo, s6
	s_and_not1_b32 exec_lo, exec_lo, s6
	s_cbranch_execnz .LBB30_169
; %bb.170:
	s_or_b32 exec_lo, exec_lo, s6
.LBB30_171:
	s_delay_alu instid0(SALU_CYCLE_1) | instskip(SKIP_3) | instid1(VALU_DEP_1)
	s_or_b32 exec_lo, exec_lo, s1
	v_and_b32_e32 v65, 7, v129
	s_mov_b32 s2, 0
	s_mov_b32 s1, exec_lo
	v_cmpx_ne_u32_e32 0, v65
	s_cbranch_execz .LBB30_175
; %bb.172:
	v_lshl_add_u32 v130, v128, 2, 0x80
	v_mov_b32_e32 v129, 0
.LBB30_173:                             ; =>This Inner Loop Header: Depth=1
	v_cmp_eq_u32_e32 vcc_lo, 1, v128
	ds_load_b32 v134, v130
	v_dual_add_nc_u32 v65, -1, v65 :: v_dual_add_nc_u32 v130, 4, v130
	v_cndmask_b32_e32 v133, v34, v35, vcc_lo
	v_cmp_eq_u32_e32 vcc_lo, 2, v128
	s_delay_alu instid0(VALU_DEP_2) | instskip(SKIP_1) | instid1(VALU_DEP_2)
	v_cndmask_b32_e32 v133, v133, v36, vcc_lo
	v_cmp_eq_u32_e32 vcc_lo, 3, v128
	v_cndmask_b32_e32 v133, v133, v37, vcc_lo
	v_cmp_eq_u32_e32 vcc_lo, 4, v128
	s_delay_alu instid0(VALU_DEP_2) | instskip(SKIP_1) | instid1(VALU_DEP_2)
	v_cndmask_b32_e32 v133, v133, v38, vcc_lo
	v_cmp_eq_u32_e32 vcc_lo, 5, v128
	;; [unrolled: 5-line block ×14, first 2 shown]
	v_cndmask_b32_e32 v133, v133, v63, vcc_lo
	v_cmp_eq_u32_e32 vcc_lo, 30, v128
	v_add_nc_u64_e32 v[128:129], 1, v[128:129]
	s_delay_alu instid0(VALU_DEP_3) | instskip(SKIP_2) | instid1(VALU_DEP_2)
	v_cndmask_b32_e32 v133, v133, v64, vcc_lo
	v_cmp_eq_u32_e32 vcc_lo, 0, v65
	s_wait_dscnt 0x0
	v_fmac_f32_e32 v132, v133, v134
	s_or_b32 s2, vcc_lo, s2
	s_delay_alu instid0(SALU_CYCLE_1)
	s_and_not1_b32 exec_lo, exec_lo, s2
	s_cbranch_execnz .LBB30_173
; %bb.174:
	s_or_b32 exec_lo, exec_lo, s2
.LBB30_175:
	s_delay_alu instid0(SALU_CYCLE_1)
	s_or_b32 exec_lo, exec_lo, s1
.LBB30_176:
	s_delay_alu instid0(SALU_CYCLE_1)
	s_or_b32 exec_lo, exec_lo, s5
	v_mov_b32_e32 v52, 0
	ds_load_b32 v52, v52 offset:72
	s_wait_dscnt 0x0
	v_mul_f32_e32 v52, v132, v52
.LBB30_177:
	s_or_b32 exec_lo, exec_lo, s4
	v_cmp_lt_u32_e64 s1, 17, v0
	ds_store_b32 v131, v51
	s_wait_dscnt 0x0
	s_barrier_signal -1
	s_barrier_wait -1
	s_and_saveexec_b32 s4, s1
	s_cbranch_execz .LBB30_193
; %bb.178:
	s_and_not1_b32 vcc_lo, exec_lo, s31
	s_cbranch_vccnz .LBB30_180
; %bb.179:
	v_cmp_eq_u32_e32 vcc_lo, 1, v0
	ds_load_b32 v129, v131
	v_cndmask_b32_e32 v128, v34, v35, vcc_lo
	v_cmp_eq_u32_e32 vcc_lo, 2, v0
	s_delay_alu instid0(VALU_DEP_2) | instskip(SKIP_1) | instid1(VALU_DEP_2)
	v_cndmask_b32_e32 v128, v128, v36, vcc_lo
	v_cmp_eq_u32_e32 vcc_lo, 3, v0
	v_cndmask_b32_e32 v128, v128, v37, vcc_lo
	v_cmp_eq_u32_e32 vcc_lo, 4, v0
	s_delay_alu instid0(VALU_DEP_2) | instskip(SKIP_1) | instid1(VALU_DEP_2)
	v_cndmask_b32_e32 v128, v128, v38, vcc_lo
	v_cmp_eq_u32_e32 vcc_lo, 5, v0
	;; [unrolled: 5-line block ×14, first 2 shown]
	v_cndmask_b32_e32 v128, v128, v63, vcc_lo
	v_cmp_eq_u32_e32 vcc_lo, 30, v0
	s_delay_alu instid0(VALU_DEP_2) | instskip(SKIP_1) | instid1(VALU_DEP_1)
	v_cndmask_b32_e32 v128, v128, v64, vcc_lo
	s_wait_dscnt 0x0
	v_mul_f32_e32 v132, v128, v129
	s_cbranch_execz .LBB30_181
	s_branch .LBB30_182
.LBB30_180:
                                        ; implicit-def: $vgpr132
.LBB30_181:
	ds_load_b32 v132, v131
.LBB30_182:
	s_and_saveexec_b32 s5, s0
	s_cbranch_execz .LBB30_192
; %bb.183:
	v_subrev_nc_u32_e32 v130, 19, v0
	v_mov_b32_e32 v128, 18
	v_subrev_nc_u32_e32 v129, 18, v0
	s_mov_b32 s0, exec_lo
	s_delay_alu instid0(VALU_DEP_3)
	v_cmpx_lt_u32_e32 6, v130
	s_cbranch_execz .LBB30_187
; %bb.184:
	s_delay_alu instid0(VALU_DEP_2) | instskip(SKIP_3) | instid1(VALU_DEP_1)
	v_and_b32_e32 v128, -8, v129
	s_mov_b32 s6, 0
	s_mov_b64 s[2:3], 25
	s_movk_i32 s7, 0xc8
	v_sub_nc_u32_e32 v130, 0, v128
.LBB30_185:                             ; =>This Inner Loop Header: Depth=1
	s_add_co_i32 m0, s2, -7
	v_movrels_b32_e32 v133, v34
	v_mov_b32_e32 v128, s7
	s_add_co_i32 m0, s2, -6
	s_add_co_i32 s7, s7, 32
	v_movrels_b32_e32 v142, v34
	s_add_co_i32 m0, s2, -5
	ds_load_2addr_b64 v[134:137], v128 offset1:1
	ds_load_2addr_b64 v[138:141], v128 offset0:2 offset1:3
	v_movrels_b32_e32 v128, v34
	s_add_co_i32 m0, s2, -4
	s_wait_dscnt 0x1
	v_fmac_f32_e32 v132, v133, v134
	v_movrels_b32_e32 v133, v34
	s_add_co_i32 m0, s2, -3
	s_delay_alu instid0(VALU_DEP_2) | instskip(NEXT) | instid1(VALU_DEP_1)
	v_fmac_f32_e32 v132, v142, v135
	v_fmac_f32_e32 v132, v128, v136
	v_movrels_b32_e32 v128, v34
	s_add_co_i32 m0, s2, -2
	s_delay_alu instid0(VALU_DEP_2) | instskip(SKIP_3) | instid1(VALU_DEP_2)
	v_fmac_f32_e32 v132, v133, v137
	v_movrels_b32_e32 v133, v34
	s_add_co_i32 m0, s2, -1
	s_wait_dscnt 0x0
	v_fmac_f32_e32 v132, v128, v138
	v_movrels_b32_e32 v128, v34
	s_mov_b32 m0, s2
	s_add_nc_u64 s[2:3], s[2:3], 8
	v_movrels_b32_e32 v134, v34
	v_dual_fmac_f32 v132, v133, v139 :: v_dual_add_nc_u32 v133, s2, v130
	s_add_co_i32 s8, s2, -7
	s_delay_alu instid0(VALU_DEP_1) | instskip(NEXT) | instid1(VALU_DEP_2)
	v_fmac_f32_e32 v132, v128, v140
	v_cmp_eq_u32_e32 vcc_lo, 25, v133
	s_delay_alu instid0(VALU_DEP_2) | instskip(SKIP_1) | instid1(SALU_CYCLE_1)
	v_dual_mov_b32 v128, s8 :: v_dual_fmac_f32 v132, v134, v141
	s_or_b32 s6, vcc_lo, s6
	s_and_not1_b32 exec_lo, exec_lo, s6
	s_cbranch_execnz .LBB30_185
; %bb.186:
	s_or_b32 exec_lo, exec_lo, s6
.LBB30_187:
	s_delay_alu instid0(SALU_CYCLE_1) | instskip(SKIP_3) | instid1(VALU_DEP_1)
	s_or_b32 exec_lo, exec_lo, s0
	v_and_b32_e32 v65, 7, v129
	s_mov_b32 s2, 0
	s_mov_b32 s0, exec_lo
	v_cmpx_ne_u32_e32 0, v65
	s_cbranch_execz .LBB30_191
; %bb.188:
	v_lshl_add_u32 v130, v128, 2, 0x80
	v_mov_b32_e32 v129, 0
.LBB30_189:                             ; =>This Inner Loop Header: Depth=1
	v_cmp_eq_u32_e32 vcc_lo, 1, v128
	ds_load_b32 v134, v130
	v_dual_add_nc_u32 v65, -1, v65 :: v_dual_add_nc_u32 v130, 4, v130
	v_cndmask_b32_e32 v133, v34, v35, vcc_lo
	v_cmp_eq_u32_e32 vcc_lo, 2, v128
	s_delay_alu instid0(VALU_DEP_2) | instskip(SKIP_1) | instid1(VALU_DEP_2)
	v_cndmask_b32_e32 v133, v133, v36, vcc_lo
	v_cmp_eq_u32_e32 vcc_lo, 3, v128
	v_cndmask_b32_e32 v133, v133, v37, vcc_lo
	v_cmp_eq_u32_e32 vcc_lo, 4, v128
	s_delay_alu instid0(VALU_DEP_2) | instskip(SKIP_1) | instid1(VALU_DEP_2)
	v_cndmask_b32_e32 v133, v133, v38, vcc_lo
	v_cmp_eq_u32_e32 vcc_lo, 5, v128
	;; [unrolled: 5-line block ×14, first 2 shown]
	v_cndmask_b32_e32 v133, v133, v63, vcc_lo
	v_cmp_eq_u32_e32 vcc_lo, 30, v128
	v_add_nc_u64_e32 v[128:129], 1, v[128:129]
	s_delay_alu instid0(VALU_DEP_3) | instskip(SKIP_2) | instid1(VALU_DEP_2)
	v_cndmask_b32_e32 v133, v133, v64, vcc_lo
	v_cmp_eq_u32_e32 vcc_lo, 0, v65
	s_wait_dscnt 0x0
	v_fmac_f32_e32 v132, v133, v134
	s_or_b32 s2, vcc_lo, s2
	s_delay_alu instid0(SALU_CYCLE_1)
	s_and_not1_b32 exec_lo, exec_lo, s2
	s_cbranch_execnz .LBB30_189
; %bb.190:
	s_or_b32 exec_lo, exec_lo, s2
.LBB30_191:
	s_delay_alu instid0(SALU_CYCLE_1)
	s_or_b32 exec_lo, exec_lo, s0
.LBB30_192:
	s_delay_alu instid0(SALU_CYCLE_1)
	s_or_b32 exec_lo, exec_lo, s5
	v_mov_b32_e32 v51, 0
	ds_load_b32 v51, v51 offset:68
	s_wait_dscnt 0x0
	v_mul_f32_e32 v51, v132, v51
.LBB30_193:
	s_or_b32 exec_lo, exec_lo, s4
	v_cmp_lt_u32_e64 s0, 16, v0
	ds_store_b32 v131, v50
	s_wait_dscnt 0x0
	s_barrier_signal -1
	s_barrier_wait -1
	s_and_saveexec_b32 s4, s0
	s_cbranch_execz .LBB30_209
; %bb.194:
	s_and_not1_b32 vcc_lo, exec_lo, s31
	s_cbranch_vccnz .LBB30_196
; %bb.195:
	v_cmp_eq_u32_e32 vcc_lo, 1, v0
	ds_load_b32 v129, v131
	v_cndmask_b32_e32 v128, v34, v35, vcc_lo
	v_cmp_eq_u32_e32 vcc_lo, 2, v0
	s_delay_alu instid0(VALU_DEP_2) | instskip(SKIP_1) | instid1(VALU_DEP_2)
	v_cndmask_b32_e32 v128, v128, v36, vcc_lo
	v_cmp_eq_u32_e32 vcc_lo, 3, v0
	v_cndmask_b32_e32 v128, v128, v37, vcc_lo
	v_cmp_eq_u32_e32 vcc_lo, 4, v0
	s_delay_alu instid0(VALU_DEP_2) | instskip(SKIP_1) | instid1(VALU_DEP_2)
	v_cndmask_b32_e32 v128, v128, v38, vcc_lo
	v_cmp_eq_u32_e32 vcc_lo, 5, v0
	;; [unrolled: 5-line block ×14, first 2 shown]
	v_cndmask_b32_e32 v128, v128, v63, vcc_lo
	v_cmp_eq_u32_e32 vcc_lo, 30, v0
	s_delay_alu instid0(VALU_DEP_2) | instskip(SKIP_1) | instid1(VALU_DEP_1)
	v_cndmask_b32_e32 v128, v128, v64, vcc_lo
	s_wait_dscnt 0x0
	v_mul_f32_e32 v132, v128, v129
	s_cbranch_execz .LBB30_197
	s_branch .LBB30_198
.LBB30_196:
                                        ; implicit-def: $vgpr132
.LBB30_197:
	ds_load_b32 v132, v131
.LBB30_198:
	s_and_saveexec_b32 s5, s1
	s_cbranch_execz .LBB30_208
; %bb.199:
	v_subrev_nc_u32_e32 v130, 18, v0
	v_mov_b32_e32 v128, 17
	v_subrev_nc_u32_e32 v129, 17, v0
	s_mov_b32 s1, exec_lo
	s_delay_alu instid0(VALU_DEP_3)
	v_cmpx_lt_u32_e32 6, v130
	s_cbranch_execz .LBB30_203
; %bb.200:
	s_delay_alu instid0(VALU_DEP_2) | instskip(SKIP_3) | instid1(VALU_DEP_1)
	v_and_b32_e32 v128, -8, v129
	s_mov_b32 s6, 0
	s_mov_b64 s[2:3], 24
	s_movk_i32 s7, 0xc4
	v_sub_nc_u32_e32 v130, 0, v128
.LBB30_201:                             ; =>This Inner Loop Header: Depth=1
	s_add_co_i32 m0, s2, -7
	v_movrels_b32_e32 v133, v34
	v_mov_b32_e32 v128, s7
	s_add_co_i32 m0, s2, -6
	s_add_co_i32 s7, s7, 32
	v_movrels_b32_e32 v142, v34
	ds_load_2addr_b32 v[134:135], v128 offset1:1
	ds_load_2addr_b32 v[136:137], v128 offset0:2 offset1:3
	s_add_co_i32 m0, s2, -5
	s_wait_dscnt 0x1
	v_fmac_f32_e32 v132, v133, v134
	ds_load_2addr_b32 v[138:139], v128 offset0:4 offset1:5
	ds_load_2addr_b32 v[140:141], v128 offset0:6 offset1:7
	v_movrels_b32_e32 v128, v34
	s_add_co_i32 m0, s2, -4
	v_fmac_f32_e32 v132, v142, v135
	v_movrels_b32_e32 v133, v34
	s_add_co_i32 m0, s2, -3
	s_wait_dscnt 0x2
	s_delay_alu instid0(VALU_DEP_2) | instskip(SKIP_2) | instid1(VALU_DEP_2)
	v_fmac_f32_e32 v132, v128, v136
	v_movrels_b32_e32 v128, v34
	s_add_co_i32 m0, s2, -2
	v_fmac_f32_e32 v132, v133, v137
	v_movrels_b32_e32 v133, v34
	s_add_co_i32 m0, s2, -1
	s_wait_dscnt 0x1
	s_delay_alu instid0(VALU_DEP_2)
	v_fmac_f32_e32 v132, v128, v138
	v_movrels_b32_e32 v128, v34
	s_mov_b32 m0, s2
	s_add_nc_u64 s[2:3], s[2:3], 8
	v_movrels_b32_e32 v134, v34
	v_dual_fmac_f32 v132, v133, v139 :: v_dual_add_nc_u32 v133, s2, v130
	s_add_co_i32 s8, s2, -7
	s_wait_dscnt 0x0
	s_delay_alu instid0(VALU_DEP_1) | instskip(NEXT) | instid1(VALU_DEP_2)
	v_fmac_f32_e32 v132, v128, v140
	v_cmp_eq_u32_e32 vcc_lo, 24, v133
	s_delay_alu instid0(VALU_DEP_2) | instskip(SKIP_1) | instid1(SALU_CYCLE_1)
	v_dual_mov_b32 v128, s8 :: v_dual_fmac_f32 v132, v134, v141
	s_or_b32 s6, vcc_lo, s6
	s_and_not1_b32 exec_lo, exec_lo, s6
	s_cbranch_execnz .LBB30_201
; %bb.202:
	s_or_b32 exec_lo, exec_lo, s6
.LBB30_203:
	s_delay_alu instid0(SALU_CYCLE_1) | instskip(SKIP_3) | instid1(VALU_DEP_1)
	s_or_b32 exec_lo, exec_lo, s1
	v_and_b32_e32 v65, 7, v129
	s_mov_b32 s2, 0
	s_mov_b32 s1, exec_lo
	v_cmpx_ne_u32_e32 0, v65
	s_cbranch_execz .LBB30_207
; %bb.204:
	v_lshl_add_u32 v130, v128, 2, 0x80
	v_mov_b32_e32 v129, 0
.LBB30_205:                             ; =>This Inner Loop Header: Depth=1
	v_cmp_eq_u32_e32 vcc_lo, 1, v128
	ds_load_b32 v134, v130
	v_dual_add_nc_u32 v65, -1, v65 :: v_dual_add_nc_u32 v130, 4, v130
	v_cndmask_b32_e32 v133, v34, v35, vcc_lo
	v_cmp_eq_u32_e32 vcc_lo, 2, v128
	s_delay_alu instid0(VALU_DEP_2) | instskip(SKIP_1) | instid1(VALU_DEP_2)
	v_cndmask_b32_e32 v133, v133, v36, vcc_lo
	v_cmp_eq_u32_e32 vcc_lo, 3, v128
	v_cndmask_b32_e32 v133, v133, v37, vcc_lo
	v_cmp_eq_u32_e32 vcc_lo, 4, v128
	s_delay_alu instid0(VALU_DEP_2) | instskip(SKIP_1) | instid1(VALU_DEP_2)
	v_cndmask_b32_e32 v133, v133, v38, vcc_lo
	v_cmp_eq_u32_e32 vcc_lo, 5, v128
	v_cndmask_b32_e32 v133, v133, v39, vcc_lo
	v_cmp_eq_u32_e32 vcc_lo, 6, v128
	s_delay_alu instid0(VALU_DEP_2) | instskip(SKIP_1) | instid1(VALU_DEP_2)
	v_cndmask_b32_e32 v133, v133, v40, vcc_lo
	v_cmp_eq_u32_e32 vcc_lo, 7, v128
	v_cndmask_b32_e32 v133, v133, v41, vcc_lo
	v_cmp_eq_u32_e32 vcc_lo, 8, v128
	s_delay_alu instid0(VALU_DEP_2) | instskip(SKIP_1) | instid1(VALU_DEP_2)
	v_cndmask_b32_e32 v133, v133, v42, vcc_lo
	v_cmp_eq_u32_e32 vcc_lo, 9, v128
	v_cndmask_b32_e32 v133, v133, v43, vcc_lo
	v_cmp_eq_u32_e32 vcc_lo, 10, v128
	s_delay_alu instid0(VALU_DEP_2) | instskip(SKIP_1) | instid1(VALU_DEP_2)
	v_cndmask_b32_e32 v133, v133, v44, vcc_lo
	v_cmp_eq_u32_e32 vcc_lo, 11, v128
	v_cndmask_b32_e32 v133, v133, v45, vcc_lo
	v_cmp_eq_u32_e32 vcc_lo, 12, v128
	s_delay_alu instid0(VALU_DEP_2) | instskip(SKIP_1) | instid1(VALU_DEP_2)
	v_cndmask_b32_e32 v133, v133, v46, vcc_lo
	v_cmp_eq_u32_e32 vcc_lo, 13, v128
	v_cndmask_b32_e32 v133, v133, v47, vcc_lo
	v_cmp_eq_u32_e32 vcc_lo, 14, v128
	s_delay_alu instid0(VALU_DEP_2) | instskip(SKIP_1) | instid1(VALU_DEP_2)
	v_cndmask_b32_e32 v133, v133, v48, vcc_lo
	v_cmp_eq_u32_e32 vcc_lo, 15, v128
	v_cndmask_b32_e32 v133, v133, v49, vcc_lo
	v_cmp_eq_u32_e32 vcc_lo, 16, v128
	s_delay_alu instid0(VALU_DEP_2) | instskip(SKIP_1) | instid1(VALU_DEP_2)
	v_cndmask_b32_e32 v133, v133, v50, vcc_lo
	v_cmp_eq_u32_e32 vcc_lo, 17, v128
	v_cndmask_b32_e32 v133, v133, v51, vcc_lo
	v_cmp_eq_u32_e32 vcc_lo, 18, v128
	s_delay_alu instid0(VALU_DEP_2) | instskip(SKIP_1) | instid1(VALU_DEP_2)
	v_cndmask_b32_e32 v133, v133, v52, vcc_lo
	v_cmp_eq_u32_e32 vcc_lo, 19, v128
	v_cndmask_b32_e32 v133, v133, v53, vcc_lo
	v_cmp_eq_u32_e32 vcc_lo, 20, v128
	s_delay_alu instid0(VALU_DEP_2) | instskip(SKIP_1) | instid1(VALU_DEP_2)
	v_cndmask_b32_e32 v133, v133, v54, vcc_lo
	v_cmp_eq_u32_e32 vcc_lo, 21, v128
	v_cndmask_b32_e32 v133, v133, v55, vcc_lo
	v_cmp_eq_u32_e32 vcc_lo, 22, v128
	s_delay_alu instid0(VALU_DEP_2) | instskip(SKIP_1) | instid1(VALU_DEP_2)
	v_cndmask_b32_e32 v133, v133, v56, vcc_lo
	v_cmp_eq_u32_e32 vcc_lo, 23, v128
	v_cndmask_b32_e32 v133, v133, v57, vcc_lo
	v_cmp_eq_u32_e32 vcc_lo, 24, v128
	s_delay_alu instid0(VALU_DEP_2) | instskip(SKIP_1) | instid1(VALU_DEP_2)
	v_cndmask_b32_e32 v133, v133, v58, vcc_lo
	v_cmp_eq_u32_e32 vcc_lo, 25, v128
	v_cndmask_b32_e32 v133, v133, v59, vcc_lo
	v_cmp_eq_u32_e32 vcc_lo, 26, v128
	s_delay_alu instid0(VALU_DEP_2) | instskip(SKIP_1) | instid1(VALU_DEP_2)
	v_cndmask_b32_e32 v133, v133, v60, vcc_lo
	v_cmp_eq_u32_e32 vcc_lo, 27, v128
	v_cndmask_b32_e32 v133, v133, v61, vcc_lo
	v_cmp_eq_u32_e32 vcc_lo, 28, v128
	s_delay_alu instid0(VALU_DEP_2) | instskip(SKIP_1) | instid1(VALU_DEP_2)
	v_cndmask_b32_e32 v133, v133, v62, vcc_lo
	v_cmp_eq_u32_e32 vcc_lo, 29, v128
	v_cndmask_b32_e32 v133, v133, v63, vcc_lo
	v_cmp_eq_u32_e32 vcc_lo, 30, v128
	v_add_nc_u64_e32 v[128:129], 1, v[128:129]
	s_delay_alu instid0(VALU_DEP_3) | instskip(SKIP_2) | instid1(VALU_DEP_2)
	v_cndmask_b32_e32 v133, v133, v64, vcc_lo
	v_cmp_eq_u32_e32 vcc_lo, 0, v65
	s_wait_dscnt 0x0
	v_fmac_f32_e32 v132, v133, v134
	s_or_b32 s2, vcc_lo, s2
	s_delay_alu instid0(SALU_CYCLE_1)
	s_and_not1_b32 exec_lo, exec_lo, s2
	s_cbranch_execnz .LBB30_205
; %bb.206:
	s_or_b32 exec_lo, exec_lo, s2
.LBB30_207:
	s_delay_alu instid0(SALU_CYCLE_1)
	s_or_b32 exec_lo, exec_lo, s1
.LBB30_208:
	s_delay_alu instid0(SALU_CYCLE_1)
	s_or_b32 exec_lo, exec_lo, s5
	v_mov_b32_e32 v50, 0
	ds_load_b32 v50, v50 offset:64
	s_wait_dscnt 0x0
	v_mul_f32_e32 v50, v132, v50
.LBB30_209:
	s_or_b32 exec_lo, exec_lo, s4
	v_cmp_lt_u32_e64 s1, 15, v0
	ds_store_b32 v131, v49
	s_wait_dscnt 0x0
	s_barrier_signal -1
	s_barrier_wait -1
	s_and_saveexec_b32 s4, s1
	s_cbranch_execz .LBB30_225
; %bb.210:
	s_and_not1_b32 vcc_lo, exec_lo, s31
	s_cbranch_vccnz .LBB30_212
; %bb.211:
	v_cmp_eq_u32_e32 vcc_lo, 1, v0
	ds_load_b32 v129, v131
	v_cndmask_b32_e32 v128, v34, v35, vcc_lo
	v_cmp_eq_u32_e32 vcc_lo, 2, v0
	s_delay_alu instid0(VALU_DEP_2) | instskip(SKIP_1) | instid1(VALU_DEP_2)
	v_cndmask_b32_e32 v128, v128, v36, vcc_lo
	v_cmp_eq_u32_e32 vcc_lo, 3, v0
	v_cndmask_b32_e32 v128, v128, v37, vcc_lo
	v_cmp_eq_u32_e32 vcc_lo, 4, v0
	s_delay_alu instid0(VALU_DEP_2) | instskip(SKIP_1) | instid1(VALU_DEP_2)
	v_cndmask_b32_e32 v128, v128, v38, vcc_lo
	v_cmp_eq_u32_e32 vcc_lo, 5, v0
	;; [unrolled: 5-line block ×14, first 2 shown]
	v_cndmask_b32_e32 v128, v128, v63, vcc_lo
	v_cmp_eq_u32_e32 vcc_lo, 30, v0
	s_delay_alu instid0(VALU_DEP_2) | instskip(SKIP_1) | instid1(VALU_DEP_1)
	v_cndmask_b32_e32 v128, v128, v64, vcc_lo
	s_wait_dscnt 0x0
	v_mul_f32_e32 v132, v128, v129
	s_cbranch_execz .LBB30_213
	s_branch .LBB30_214
.LBB30_212:
                                        ; implicit-def: $vgpr132
.LBB30_213:
	ds_load_b32 v132, v131
.LBB30_214:
	s_and_saveexec_b32 s5, s0
	s_cbranch_execz .LBB30_224
; %bb.215:
	v_subrev_nc_u32_e32 v128, 17, v0
	s_delay_alu instid0(VALU_DEP_1)
	v_cmp_lt_u32_e32 vcc_lo, 6, v128
	v_mov_b32_e32 v128, 16
	s_and_saveexec_b32 s0, vcc_lo
	s_cbranch_execz .LBB30_219
; %bb.216:
	v_and_b32_e32 v128, 24, v0
	s_mov_b32 s6, 0
	s_mov_b64 s[2:3], 23
	s_movk_i32 s7, 0xc0
	s_delay_alu instid0(VALU_DEP_1)
	v_sub_nc_u32_e32 v130, 0, v128
.LBB30_217:                             ; =>This Inner Loop Header: Depth=1
	s_add_co_i32 m0, s2, -7
	v_movrels_b32_e32 v129, v34
	v_mov_b32_e32 v128, s7
	s_add_co_i32 m0, s2, -6
	s_add_co_i32 s7, s7, 32
	v_movrels_b32_e32 v133, v34
	s_add_co_i32 m0, s2, -5
	ds_load_b128 v[134:137], v128
	ds_load_b128 v[138:141], v128 offset:16
	v_movrels_b32_e32 v128, v34
	s_add_co_i32 m0, s2, -4
	s_wait_dscnt 0x1
	v_fmac_f32_e32 v132, v129, v134
	v_movrels_b32_e32 v129, v34
	s_add_co_i32 m0, s2, -3
	s_delay_alu instid0(VALU_DEP_2) | instskip(NEXT) | instid1(VALU_DEP_1)
	v_fmac_f32_e32 v132, v133, v135
	v_fmac_f32_e32 v132, v128, v136
	v_movrels_b32_e32 v128, v34
	s_add_co_i32 m0, s2, -2
	s_delay_alu instid0(VALU_DEP_2) | instskip(SKIP_3) | instid1(VALU_DEP_2)
	v_fmac_f32_e32 v132, v129, v137
	v_movrels_b32_e32 v129, v34
	s_add_co_i32 m0, s2, -1
	s_wait_dscnt 0x0
	v_fmac_f32_e32 v132, v128, v138
	v_movrels_b32_e32 v128, v34
	s_mov_b32 m0, s2
	s_add_nc_u64 s[2:3], s[2:3], 8
	v_movrels_b32_e32 v133, v34
	v_dual_fmac_f32 v132, v129, v139 :: v_dual_add_nc_u32 v129, s2, v130
	s_add_co_i32 s8, s2, -7
	s_delay_alu instid0(VALU_DEP_1) | instskip(NEXT) | instid1(VALU_DEP_2)
	v_fmac_f32_e32 v132, v128, v140
	v_cmp_eq_u32_e32 vcc_lo, 7, v129
	s_delay_alu instid0(VALU_DEP_2) | instskip(SKIP_1) | instid1(SALU_CYCLE_1)
	v_dual_mov_b32 v128, s8 :: v_dual_fmac_f32 v132, v133, v141
	s_or_b32 s6, vcc_lo, s6
	s_and_not1_b32 exec_lo, exec_lo, s6
	s_cbranch_execnz .LBB30_217
; %bb.218:
	s_or_b32 exec_lo, exec_lo, s6
.LBB30_219:
	s_delay_alu instid0(SALU_CYCLE_1) | instskip(SKIP_3) | instid1(VALU_DEP_1)
	s_or_b32 exec_lo, exec_lo, s0
	v_and_b32_e32 v65, 7, v0
	s_mov_b32 s2, 0
	s_mov_b32 s0, exec_lo
	v_cmpx_ne_u32_e32 0, v65
	s_cbranch_execz .LBB30_223
; %bb.220:
	v_lshl_add_u32 v130, v128, 2, 0x80
	v_mov_b32_e32 v129, 0
.LBB30_221:                             ; =>This Inner Loop Header: Depth=1
	v_cmp_eq_u32_e32 vcc_lo, 1, v128
	ds_load_b32 v134, v130
	v_dual_add_nc_u32 v65, -1, v65 :: v_dual_add_nc_u32 v130, 4, v130
	v_cndmask_b32_e32 v133, v34, v35, vcc_lo
	v_cmp_eq_u32_e32 vcc_lo, 2, v128
	s_delay_alu instid0(VALU_DEP_2) | instskip(SKIP_1) | instid1(VALU_DEP_2)
	v_cndmask_b32_e32 v133, v133, v36, vcc_lo
	v_cmp_eq_u32_e32 vcc_lo, 3, v128
	v_cndmask_b32_e32 v133, v133, v37, vcc_lo
	v_cmp_eq_u32_e32 vcc_lo, 4, v128
	s_delay_alu instid0(VALU_DEP_2) | instskip(SKIP_1) | instid1(VALU_DEP_2)
	v_cndmask_b32_e32 v133, v133, v38, vcc_lo
	v_cmp_eq_u32_e32 vcc_lo, 5, v128
	;; [unrolled: 5-line block ×14, first 2 shown]
	v_cndmask_b32_e32 v133, v133, v63, vcc_lo
	v_cmp_eq_u32_e32 vcc_lo, 30, v128
	v_add_nc_u64_e32 v[128:129], 1, v[128:129]
	s_delay_alu instid0(VALU_DEP_3) | instskip(SKIP_2) | instid1(VALU_DEP_2)
	v_cndmask_b32_e32 v133, v133, v64, vcc_lo
	v_cmp_eq_u32_e32 vcc_lo, 0, v65
	s_wait_dscnt 0x0
	v_fmac_f32_e32 v132, v133, v134
	s_or_b32 s2, vcc_lo, s2
	s_delay_alu instid0(SALU_CYCLE_1)
	s_and_not1_b32 exec_lo, exec_lo, s2
	s_cbranch_execnz .LBB30_221
; %bb.222:
	s_or_b32 exec_lo, exec_lo, s2
.LBB30_223:
	s_delay_alu instid0(SALU_CYCLE_1)
	s_or_b32 exec_lo, exec_lo, s0
.LBB30_224:
	s_delay_alu instid0(SALU_CYCLE_1)
	s_or_b32 exec_lo, exec_lo, s5
	v_mov_b32_e32 v49, 0
	ds_load_b32 v49, v49 offset:60
	s_wait_dscnt 0x0
	v_mul_f32_e32 v49, v132, v49
.LBB30_225:
	s_or_b32 exec_lo, exec_lo, s4
	v_cmp_lt_u32_e64 s0, 14, v0
	ds_store_b32 v131, v48
	s_wait_dscnt 0x0
	s_barrier_signal -1
	s_barrier_wait -1
	s_and_saveexec_b32 s4, s0
	s_cbranch_execz .LBB30_241
; %bb.226:
	s_and_not1_b32 vcc_lo, exec_lo, s31
	s_cbranch_vccnz .LBB30_228
; %bb.227:
	v_cmp_eq_u32_e32 vcc_lo, 1, v0
	ds_load_b32 v129, v131
	v_cndmask_b32_e32 v128, v34, v35, vcc_lo
	v_cmp_eq_u32_e32 vcc_lo, 2, v0
	s_delay_alu instid0(VALU_DEP_2) | instskip(SKIP_1) | instid1(VALU_DEP_2)
	v_cndmask_b32_e32 v128, v128, v36, vcc_lo
	v_cmp_eq_u32_e32 vcc_lo, 3, v0
	v_cndmask_b32_e32 v128, v128, v37, vcc_lo
	v_cmp_eq_u32_e32 vcc_lo, 4, v0
	s_delay_alu instid0(VALU_DEP_2) | instskip(SKIP_1) | instid1(VALU_DEP_2)
	v_cndmask_b32_e32 v128, v128, v38, vcc_lo
	v_cmp_eq_u32_e32 vcc_lo, 5, v0
	;; [unrolled: 5-line block ×14, first 2 shown]
	v_cndmask_b32_e32 v128, v128, v63, vcc_lo
	v_cmp_eq_u32_e32 vcc_lo, 30, v0
	s_delay_alu instid0(VALU_DEP_2) | instskip(SKIP_1) | instid1(VALU_DEP_1)
	v_cndmask_b32_e32 v128, v128, v64, vcc_lo
	s_wait_dscnt 0x0
	v_mul_f32_e32 v132, v128, v129
	s_cbranch_execz .LBB30_229
	s_branch .LBB30_230
.LBB30_228:
                                        ; implicit-def: $vgpr132
.LBB30_229:
	ds_load_b32 v132, v131
.LBB30_230:
	s_and_saveexec_b32 s5, s1
	s_cbranch_execz .LBB30_240
; %bb.231:
	v_dual_add_nc_u32 v128, -16, v0 :: v_dual_add_nc_u32 v129, -15, v0
	s_delay_alu instid0(VALU_DEP_1)
	v_cmp_lt_u32_e32 vcc_lo, 6, v128
	v_mov_b32_e32 v128, 15
	s_and_saveexec_b32 s1, vcc_lo
	s_cbranch_execz .LBB30_235
; %bb.232:
	v_and_b32_e32 v128, -8, v129
	s_mov_b32 s6, 0
	s_mov_b64 s[2:3], 22
	s_movk_i32 s7, 0xbc
	s_delay_alu instid0(VALU_DEP_1)
	v_sub_nc_u32_e32 v130, 0, v128
.LBB30_233:                             ; =>This Inner Loop Header: Depth=1
	s_add_co_i32 m0, s2, -7
	v_movrels_b32_e32 v133, v34
	v_mov_b32_e32 v128, s7
	s_add_co_i32 m0, s2, -6
	s_add_co_i32 s7, s7, 32
	v_movrels_b32_e32 v142, v34
	ds_load_2addr_b32 v[134:135], v128 offset1:1
	ds_load_2addr_b32 v[136:137], v128 offset0:2 offset1:3
	s_add_co_i32 m0, s2, -5
	s_wait_dscnt 0x1
	v_fmac_f32_e32 v132, v133, v134
	ds_load_2addr_b32 v[138:139], v128 offset0:4 offset1:5
	ds_load_2addr_b32 v[140:141], v128 offset0:6 offset1:7
	v_movrels_b32_e32 v128, v34
	s_add_co_i32 m0, s2, -4
	v_fmac_f32_e32 v132, v142, v135
	v_movrels_b32_e32 v133, v34
	s_add_co_i32 m0, s2, -3
	s_wait_dscnt 0x2
	s_delay_alu instid0(VALU_DEP_2) | instskip(SKIP_2) | instid1(VALU_DEP_2)
	v_fmac_f32_e32 v132, v128, v136
	v_movrels_b32_e32 v128, v34
	s_add_co_i32 m0, s2, -2
	v_fmac_f32_e32 v132, v133, v137
	v_movrels_b32_e32 v133, v34
	s_add_co_i32 m0, s2, -1
	s_wait_dscnt 0x1
	s_delay_alu instid0(VALU_DEP_2)
	v_fmac_f32_e32 v132, v128, v138
	v_movrels_b32_e32 v128, v34
	s_mov_b32 m0, s2
	s_add_nc_u64 s[2:3], s[2:3], 8
	v_movrels_b32_e32 v134, v34
	v_dual_fmac_f32 v132, v133, v139 :: v_dual_add_nc_u32 v133, s2, v130
	s_add_co_i32 s8, s2, -7
	s_wait_dscnt 0x0
	s_delay_alu instid0(VALU_DEP_1) | instskip(NEXT) | instid1(VALU_DEP_2)
	v_fmac_f32_e32 v132, v128, v140
	v_cmp_eq_u32_e32 vcc_lo, 22, v133
	s_delay_alu instid0(VALU_DEP_2) | instskip(SKIP_1) | instid1(SALU_CYCLE_1)
	v_dual_mov_b32 v128, s8 :: v_dual_fmac_f32 v132, v134, v141
	s_or_b32 s6, vcc_lo, s6
	s_and_not1_b32 exec_lo, exec_lo, s6
	s_cbranch_execnz .LBB30_233
; %bb.234:
	s_or_b32 exec_lo, exec_lo, s6
.LBB30_235:
	s_delay_alu instid0(SALU_CYCLE_1) | instskip(SKIP_3) | instid1(VALU_DEP_1)
	s_or_b32 exec_lo, exec_lo, s1
	v_and_b32_e32 v65, 7, v129
	s_mov_b32 s2, 0
	s_mov_b32 s1, exec_lo
	v_cmpx_ne_u32_e32 0, v65
	s_cbranch_execz .LBB30_239
; %bb.236:
	v_lshl_add_u32 v130, v128, 2, 0x80
	v_mov_b32_e32 v129, 0
.LBB30_237:                             ; =>This Inner Loop Header: Depth=1
	v_cmp_eq_u32_e32 vcc_lo, 1, v128
	ds_load_b32 v134, v130
	v_dual_add_nc_u32 v65, -1, v65 :: v_dual_add_nc_u32 v130, 4, v130
	v_cndmask_b32_e32 v133, v34, v35, vcc_lo
	v_cmp_eq_u32_e32 vcc_lo, 2, v128
	s_delay_alu instid0(VALU_DEP_2) | instskip(SKIP_1) | instid1(VALU_DEP_2)
	v_cndmask_b32_e32 v133, v133, v36, vcc_lo
	v_cmp_eq_u32_e32 vcc_lo, 3, v128
	v_cndmask_b32_e32 v133, v133, v37, vcc_lo
	v_cmp_eq_u32_e32 vcc_lo, 4, v128
	s_delay_alu instid0(VALU_DEP_2) | instskip(SKIP_1) | instid1(VALU_DEP_2)
	v_cndmask_b32_e32 v133, v133, v38, vcc_lo
	v_cmp_eq_u32_e32 vcc_lo, 5, v128
	;; [unrolled: 5-line block ×14, first 2 shown]
	v_cndmask_b32_e32 v133, v133, v63, vcc_lo
	v_cmp_eq_u32_e32 vcc_lo, 30, v128
	v_add_nc_u64_e32 v[128:129], 1, v[128:129]
	s_delay_alu instid0(VALU_DEP_3) | instskip(SKIP_2) | instid1(VALU_DEP_2)
	v_cndmask_b32_e32 v133, v133, v64, vcc_lo
	v_cmp_eq_u32_e32 vcc_lo, 0, v65
	s_wait_dscnt 0x0
	v_fmac_f32_e32 v132, v133, v134
	s_or_b32 s2, vcc_lo, s2
	s_delay_alu instid0(SALU_CYCLE_1)
	s_and_not1_b32 exec_lo, exec_lo, s2
	s_cbranch_execnz .LBB30_237
; %bb.238:
	s_or_b32 exec_lo, exec_lo, s2
.LBB30_239:
	s_delay_alu instid0(SALU_CYCLE_1)
	s_or_b32 exec_lo, exec_lo, s1
.LBB30_240:
	s_delay_alu instid0(SALU_CYCLE_1)
	s_or_b32 exec_lo, exec_lo, s5
	v_mov_b32_e32 v48, 0
	ds_load_b32 v48, v48 offset:56
	s_wait_dscnt 0x0
	v_mul_f32_e32 v48, v132, v48
.LBB30_241:
	s_or_b32 exec_lo, exec_lo, s4
	v_cmp_lt_u32_e64 s1, 13, v0
	ds_store_b32 v131, v47
	s_wait_dscnt 0x0
	s_barrier_signal -1
	s_barrier_wait -1
	s_and_saveexec_b32 s4, s1
	s_cbranch_execz .LBB30_257
; %bb.242:
	s_and_not1_b32 vcc_lo, exec_lo, s31
	s_cbranch_vccnz .LBB30_244
; %bb.243:
	v_cmp_eq_u32_e32 vcc_lo, 1, v0
	ds_load_b32 v129, v131
	v_cndmask_b32_e32 v128, v34, v35, vcc_lo
	v_cmp_eq_u32_e32 vcc_lo, 2, v0
	s_delay_alu instid0(VALU_DEP_2) | instskip(SKIP_1) | instid1(VALU_DEP_2)
	v_cndmask_b32_e32 v128, v128, v36, vcc_lo
	v_cmp_eq_u32_e32 vcc_lo, 3, v0
	v_cndmask_b32_e32 v128, v128, v37, vcc_lo
	v_cmp_eq_u32_e32 vcc_lo, 4, v0
	s_delay_alu instid0(VALU_DEP_2) | instskip(SKIP_1) | instid1(VALU_DEP_2)
	v_cndmask_b32_e32 v128, v128, v38, vcc_lo
	v_cmp_eq_u32_e32 vcc_lo, 5, v0
	;; [unrolled: 5-line block ×14, first 2 shown]
	v_cndmask_b32_e32 v128, v128, v63, vcc_lo
	v_cmp_eq_u32_e32 vcc_lo, 30, v0
	s_delay_alu instid0(VALU_DEP_2) | instskip(SKIP_1) | instid1(VALU_DEP_1)
	v_cndmask_b32_e32 v128, v128, v64, vcc_lo
	s_wait_dscnt 0x0
	v_mul_f32_e32 v132, v128, v129
	s_cbranch_execz .LBB30_245
	s_branch .LBB30_246
.LBB30_244:
                                        ; implicit-def: $vgpr132
.LBB30_245:
	ds_load_b32 v132, v131
.LBB30_246:
	s_and_saveexec_b32 s5, s0
	s_cbranch_execz .LBB30_256
; %bb.247:
	v_dual_add_nc_u32 v128, -15, v0 :: v_dual_add_nc_u32 v129, -14, v0
	s_delay_alu instid0(VALU_DEP_1)
	v_cmp_lt_u32_e32 vcc_lo, 6, v128
	v_mov_b32_e32 v128, 14
	s_and_saveexec_b32 s0, vcc_lo
	s_cbranch_execz .LBB30_251
; %bb.248:
	v_and_b32_e32 v128, -8, v129
	s_mov_b32 s6, 0
	s_mov_b64 s[2:3], 21
	s_movk_i32 s7, 0xb8
	s_delay_alu instid0(VALU_DEP_1)
	v_sub_nc_u32_e32 v130, 0, v128
.LBB30_249:                             ; =>This Inner Loop Header: Depth=1
	s_add_co_i32 m0, s2, -7
	v_movrels_b32_e32 v133, v34
	v_mov_b32_e32 v128, s7
	s_add_co_i32 m0, s2, -6
	s_add_co_i32 s7, s7, 32
	v_movrels_b32_e32 v142, v34
	s_add_co_i32 m0, s2, -5
	ds_load_2addr_b64 v[134:137], v128 offset1:1
	ds_load_2addr_b64 v[138:141], v128 offset0:2 offset1:3
	v_movrels_b32_e32 v128, v34
	s_add_co_i32 m0, s2, -4
	s_wait_dscnt 0x1
	v_fmac_f32_e32 v132, v133, v134
	v_movrels_b32_e32 v133, v34
	s_add_co_i32 m0, s2, -3
	s_delay_alu instid0(VALU_DEP_2) | instskip(NEXT) | instid1(VALU_DEP_1)
	v_fmac_f32_e32 v132, v142, v135
	v_fmac_f32_e32 v132, v128, v136
	v_movrels_b32_e32 v128, v34
	s_add_co_i32 m0, s2, -2
	s_delay_alu instid0(VALU_DEP_2) | instskip(SKIP_3) | instid1(VALU_DEP_2)
	v_fmac_f32_e32 v132, v133, v137
	v_movrels_b32_e32 v133, v34
	s_add_co_i32 m0, s2, -1
	s_wait_dscnt 0x0
	v_fmac_f32_e32 v132, v128, v138
	v_movrels_b32_e32 v128, v34
	s_mov_b32 m0, s2
	s_add_nc_u64 s[2:3], s[2:3], 8
	v_movrels_b32_e32 v134, v34
	v_dual_fmac_f32 v132, v133, v139 :: v_dual_add_nc_u32 v133, s2, v130
	s_add_co_i32 s8, s2, -7
	s_delay_alu instid0(VALU_DEP_1) | instskip(NEXT) | instid1(VALU_DEP_2)
	v_fmac_f32_e32 v132, v128, v140
	v_cmp_eq_u32_e32 vcc_lo, 21, v133
	s_delay_alu instid0(VALU_DEP_2) | instskip(SKIP_1) | instid1(SALU_CYCLE_1)
	v_dual_mov_b32 v128, s8 :: v_dual_fmac_f32 v132, v134, v141
	s_or_b32 s6, vcc_lo, s6
	s_and_not1_b32 exec_lo, exec_lo, s6
	s_cbranch_execnz .LBB30_249
; %bb.250:
	s_or_b32 exec_lo, exec_lo, s6
.LBB30_251:
	s_delay_alu instid0(SALU_CYCLE_1) | instskip(SKIP_3) | instid1(VALU_DEP_1)
	s_or_b32 exec_lo, exec_lo, s0
	v_and_b32_e32 v65, 7, v129
	s_mov_b32 s2, 0
	s_mov_b32 s0, exec_lo
	v_cmpx_ne_u32_e32 0, v65
	s_cbranch_execz .LBB30_255
; %bb.252:
	v_lshl_add_u32 v130, v128, 2, 0x80
	v_mov_b32_e32 v129, 0
.LBB30_253:                             ; =>This Inner Loop Header: Depth=1
	v_cmp_eq_u32_e32 vcc_lo, 1, v128
	ds_load_b32 v134, v130
	v_dual_add_nc_u32 v65, -1, v65 :: v_dual_add_nc_u32 v130, 4, v130
	v_cndmask_b32_e32 v133, v34, v35, vcc_lo
	v_cmp_eq_u32_e32 vcc_lo, 2, v128
	s_delay_alu instid0(VALU_DEP_2) | instskip(SKIP_1) | instid1(VALU_DEP_2)
	v_cndmask_b32_e32 v133, v133, v36, vcc_lo
	v_cmp_eq_u32_e32 vcc_lo, 3, v128
	v_cndmask_b32_e32 v133, v133, v37, vcc_lo
	v_cmp_eq_u32_e32 vcc_lo, 4, v128
	s_delay_alu instid0(VALU_DEP_2) | instskip(SKIP_1) | instid1(VALU_DEP_2)
	v_cndmask_b32_e32 v133, v133, v38, vcc_lo
	v_cmp_eq_u32_e32 vcc_lo, 5, v128
	;; [unrolled: 5-line block ×14, first 2 shown]
	v_cndmask_b32_e32 v133, v133, v63, vcc_lo
	v_cmp_eq_u32_e32 vcc_lo, 30, v128
	v_add_nc_u64_e32 v[128:129], 1, v[128:129]
	s_delay_alu instid0(VALU_DEP_3) | instskip(SKIP_2) | instid1(VALU_DEP_2)
	v_cndmask_b32_e32 v133, v133, v64, vcc_lo
	v_cmp_eq_u32_e32 vcc_lo, 0, v65
	s_wait_dscnt 0x0
	v_fmac_f32_e32 v132, v133, v134
	s_or_b32 s2, vcc_lo, s2
	s_delay_alu instid0(SALU_CYCLE_1)
	s_and_not1_b32 exec_lo, exec_lo, s2
	s_cbranch_execnz .LBB30_253
; %bb.254:
	s_or_b32 exec_lo, exec_lo, s2
.LBB30_255:
	s_delay_alu instid0(SALU_CYCLE_1)
	s_or_b32 exec_lo, exec_lo, s0
.LBB30_256:
	s_delay_alu instid0(SALU_CYCLE_1)
	s_or_b32 exec_lo, exec_lo, s5
	v_mov_b32_e32 v47, 0
	ds_load_b32 v47, v47 offset:52
	s_wait_dscnt 0x0
	v_mul_f32_e32 v47, v132, v47
.LBB30_257:
	s_or_b32 exec_lo, exec_lo, s4
	v_cmp_lt_u32_e64 s0, 12, v0
	ds_store_b32 v131, v46
	s_wait_dscnt 0x0
	s_barrier_signal -1
	s_barrier_wait -1
	s_and_saveexec_b32 s4, s0
	s_cbranch_execz .LBB30_273
; %bb.258:
	s_and_not1_b32 vcc_lo, exec_lo, s31
	s_cbranch_vccnz .LBB30_260
; %bb.259:
	v_cmp_eq_u32_e32 vcc_lo, 1, v0
	ds_load_b32 v129, v131
	v_cndmask_b32_e32 v128, v34, v35, vcc_lo
	v_cmp_eq_u32_e32 vcc_lo, 2, v0
	s_delay_alu instid0(VALU_DEP_2) | instskip(SKIP_1) | instid1(VALU_DEP_2)
	v_cndmask_b32_e32 v128, v128, v36, vcc_lo
	v_cmp_eq_u32_e32 vcc_lo, 3, v0
	v_cndmask_b32_e32 v128, v128, v37, vcc_lo
	v_cmp_eq_u32_e32 vcc_lo, 4, v0
	s_delay_alu instid0(VALU_DEP_2) | instskip(SKIP_1) | instid1(VALU_DEP_2)
	v_cndmask_b32_e32 v128, v128, v38, vcc_lo
	v_cmp_eq_u32_e32 vcc_lo, 5, v0
	;; [unrolled: 5-line block ×14, first 2 shown]
	v_cndmask_b32_e32 v128, v128, v63, vcc_lo
	v_cmp_eq_u32_e32 vcc_lo, 30, v0
	s_delay_alu instid0(VALU_DEP_2) | instskip(SKIP_1) | instid1(VALU_DEP_1)
	v_cndmask_b32_e32 v128, v128, v64, vcc_lo
	s_wait_dscnt 0x0
	v_mul_f32_e32 v132, v128, v129
	s_cbranch_execz .LBB30_261
	s_branch .LBB30_262
.LBB30_260:
                                        ; implicit-def: $vgpr132
.LBB30_261:
	ds_load_b32 v132, v131
.LBB30_262:
	s_and_saveexec_b32 s5, s1
	s_cbranch_execz .LBB30_272
; %bb.263:
	v_dual_add_nc_u32 v128, -14, v0 :: v_dual_add_nc_u32 v129, -13, v0
	s_delay_alu instid0(VALU_DEP_1)
	v_cmp_lt_u32_e32 vcc_lo, 6, v128
	v_mov_b32_e32 v128, 13
	s_and_saveexec_b32 s1, vcc_lo
	s_cbranch_execz .LBB30_267
; %bb.264:
	v_and_b32_e32 v128, -8, v129
	s_mov_b32 s6, 0
	s_mov_b64 s[2:3], 20
	s_movk_i32 s7, 0xb4
	s_delay_alu instid0(VALU_DEP_1)
	v_sub_nc_u32_e32 v130, 0, v128
.LBB30_265:                             ; =>This Inner Loop Header: Depth=1
	s_add_co_i32 m0, s2, -7
	v_movrels_b32_e32 v133, v34
	v_mov_b32_e32 v128, s7
	s_add_co_i32 m0, s2, -6
	s_add_co_i32 s7, s7, 32
	v_movrels_b32_e32 v142, v34
	ds_load_2addr_b32 v[134:135], v128 offset1:1
	ds_load_2addr_b32 v[136:137], v128 offset0:2 offset1:3
	s_add_co_i32 m0, s2, -5
	s_wait_dscnt 0x1
	v_fmac_f32_e32 v132, v133, v134
	ds_load_2addr_b32 v[138:139], v128 offset0:4 offset1:5
	ds_load_2addr_b32 v[140:141], v128 offset0:6 offset1:7
	v_movrels_b32_e32 v128, v34
	s_add_co_i32 m0, s2, -4
	v_fmac_f32_e32 v132, v142, v135
	v_movrels_b32_e32 v133, v34
	s_add_co_i32 m0, s2, -3
	s_wait_dscnt 0x2
	s_delay_alu instid0(VALU_DEP_2) | instskip(SKIP_2) | instid1(VALU_DEP_2)
	v_fmac_f32_e32 v132, v128, v136
	v_movrels_b32_e32 v128, v34
	s_add_co_i32 m0, s2, -2
	v_fmac_f32_e32 v132, v133, v137
	v_movrels_b32_e32 v133, v34
	s_add_co_i32 m0, s2, -1
	s_wait_dscnt 0x1
	s_delay_alu instid0(VALU_DEP_2)
	v_fmac_f32_e32 v132, v128, v138
	v_movrels_b32_e32 v128, v34
	s_mov_b32 m0, s2
	s_add_nc_u64 s[2:3], s[2:3], 8
	v_movrels_b32_e32 v134, v34
	v_dual_fmac_f32 v132, v133, v139 :: v_dual_add_nc_u32 v133, s2, v130
	s_add_co_i32 s8, s2, -7
	s_wait_dscnt 0x0
	s_delay_alu instid0(VALU_DEP_1) | instskip(NEXT) | instid1(VALU_DEP_2)
	v_fmac_f32_e32 v132, v128, v140
	v_cmp_eq_u32_e32 vcc_lo, 20, v133
	s_delay_alu instid0(VALU_DEP_2) | instskip(SKIP_1) | instid1(SALU_CYCLE_1)
	v_dual_mov_b32 v128, s8 :: v_dual_fmac_f32 v132, v134, v141
	s_or_b32 s6, vcc_lo, s6
	s_and_not1_b32 exec_lo, exec_lo, s6
	s_cbranch_execnz .LBB30_265
; %bb.266:
	s_or_b32 exec_lo, exec_lo, s6
.LBB30_267:
	s_delay_alu instid0(SALU_CYCLE_1) | instskip(SKIP_3) | instid1(VALU_DEP_1)
	s_or_b32 exec_lo, exec_lo, s1
	v_and_b32_e32 v65, 7, v129
	s_mov_b32 s2, 0
	s_mov_b32 s1, exec_lo
	v_cmpx_ne_u32_e32 0, v65
	s_cbranch_execz .LBB30_271
; %bb.268:
	v_lshl_add_u32 v130, v128, 2, 0x80
	v_mov_b32_e32 v129, 0
.LBB30_269:                             ; =>This Inner Loop Header: Depth=1
	v_cmp_eq_u32_e32 vcc_lo, 1, v128
	ds_load_b32 v134, v130
	v_dual_add_nc_u32 v65, -1, v65 :: v_dual_add_nc_u32 v130, 4, v130
	v_cndmask_b32_e32 v133, v34, v35, vcc_lo
	v_cmp_eq_u32_e32 vcc_lo, 2, v128
	s_delay_alu instid0(VALU_DEP_2) | instskip(SKIP_1) | instid1(VALU_DEP_2)
	v_cndmask_b32_e32 v133, v133, v36, vcc_lo
	v_cmp_eq_u32_e32 vcc_lo, 3, v128
	v_cndmask_b32_e32 v133, v133, v37, vcc_lo
	v_cmp_eq_u32_e32 vcc_lo, 4, v128
	s_delay_alu instid0(VALU_DEP_2) | instskip(SKIP_1) | instid1(VALU_DEP_2)
	v_cndmask_b32_e32 v133, v133, v38, vcc_lo
	v_cmp_eq_u32_e32 vcc_lo, 5, v128
	;; [unrolled: 5-line block ×14, first 2 shown]
	v_cndmask_b32_e32 v133, v133, v63, vcc_lo
	v_cmp_eq_u32_e32 vcc_lo, 30, v128
	v_add_nc_u64_e32 v[128:129], 1, v[128:129]
	s_delay_alu instid0(VALU_DEP_3) | instskip(SKIP_2) | instid1(VALU_DEP_2)
	v_cndmask_b32_e32 v133, v133, v64, vcc_lo
	v_cmp_eq_u32_e32 vcc_lo, 0, v65
	s_wait_dscnt 0x0
	v_fmac_f32_e32 v132, v133, v134
	s_or_b32 s2, vcc_lo, s2
	s_delay_alu instid0(SALU_CYCLE_1)
	s_and_not1_b32 exec_lo, exec_lo, s2
	s_cbranch_execnz .LBB30_269
; %bb.270:
	s_or_b32 exec_lo, exec_lo, s2
.LBB30_271:
	s_delay_alu instid0(SALU_CYCLE_1)
	s_or_b32 exec_lo, exec_lo, s1
.LBB30_272:
	s_delay_alu instid0(SALU_CYCLE_1)
	s_or_b32 exec_lo, exec_lo, s5
	v_mov_b32_e32 v46, 0
	ds_load_b32 v46, v46 offset:48
	s_wait_dscnt 0x0
	v_mul_f32_e32 v46, v132, v46
.LBB30_273:
	s_or_b32 exec_lo, exec_lo, s4
	v_cmp_lt_u32_e64 s1, 11, v0
	ds_store_b32 v131, v45
	s_wait_dscnt 0x0
	s_barrier_signal -1
	s_barrier_wait -1
	s_and_saveexec_b32 s4, s1
	s_cbranch_execz .LBB30_289
; %bb.274:
	s_and_not1_b32 vcc_lo, exec_lo, s31
	s_cbranch_vccnz .LBB30_276
; %bb.275:
	v_cmp_eq_u32_e32 vcc_lo, 1, v0
	ds_load_b32 v129, v131
	v_cndmask_b32_e32 v128, v34, v35, vcc_lo
	v_cmp_eq_u32_e32 vcc_lo, 2, v0
	s_delay_alu instid0(VALU_DEP_2) | instskip(SKIP_1) | instid1(VALU_DEP_2)
	v_cndmask_b32_e32 v128, v128, v36, vcc_lo
	v_cmp_eq_u32_e32 vcc_lo, 3, v0
	v_cndmask_b32_e32 v128, v128, v37, vcc_lo
	v_cmp_eq_u32_e32 vcc_lo, 4, v0
	s_delay_alu instid0(VALU_DEP_2) | instskip(SKIP_1) | instid1(VALU_DEP_2)
	v_cndmask_b32_e32 v128, v128, v38, vcc_lo
	v_cmp_eq_u32_e32 vcc_lo, 5, v0
	;; [unrolled: 5-line block ×14, first 2 shown]
	v_cndmask_b32_e32 v128, v128, v63, vcc_lo
	v_cmp_eq_u32_e32 vcc_lo, 30, v0
	s_delay_alu instid0(VALU_DEP_2) | instskip(SKIP_1) | instid1(VALU_DEP_1)
	v_cndmask_b32_e32 v128, v128, v64, vcc_lo
	s_wait_dscnt 0x0
	v_mul_f32_e32 v132, v128, v129
	s_cbranch_execz .LBB30_277
	s_branch .LBB30_278
.LBB30_276:
                                        ; implicit-def: $vgpr132
.LBB30_277:
	ds_load_b32 v132, v131
.LBB30_278:
	s_and_saveexec_b32 s5, s0
	s_cbranch_execz .LBB30_288
; %bb.279:
	v_dual_add_nc_u32 v128, -13, v0 :: v_dual_add_nc_u32 v129, -12, v0
	s_delay_alu instid0(VALU_DEP_1)
	v_cmp_lt_u32_e32 vcc_lo, 6, v128
	v_mov_b32_e32 v128, 12
	s_and_saveexec_b32 s0, vcc_lo
	s_cbranch_execz .LBB30_283
; %bb.280:
	v_and_b32_e32 v128, -8, v129
	s_mov_b32 s6, 0
	s_mov_b64 s[2:3], 19
	s_movk_i32 s7, 0xb0
	s_delay_alu instid0(VALU_DEP_1)
	v_sub_nc_u32_e32 v130, 0, v128
.LBB30_281:                             ; =>This Inner Loop Header: Depth=1
	s_add_co_i32 m0, s2, -7
	v_movrels_b32_e32 v133, v34
	v_mov_b32_e32 v128, s7
	s_add_co_i32 m0, s2, -6
	s_add_co_i32 s7, s7, 32
	v_movrels_b32_e32 v142, v34
	s_add_co_i32 m0, s2, -5
	ds_load_b128 v[134:137], v128
	ds_load_b128 v[138:141], v128 offset:16
	v_movrels_b32_e32 v128, v34
	s_add_co_i32 m0, s2, -4
	s_wait_dscnt 0x1
	v_fmac_f32_e32 v132, v133, v134
	v_movrels_b32_e32 v133, v34
	s_add_co_i32 m0, s2, -3
	s_delay_alu instid0(VALU_DEP_2) | instskip(NEXT) | instid1(VALU_DEP_1)
	v_fmac_f32_e32 v132, v142, v135
	v_fmac_f32_e32 v132, v128, v136
	v_movrels_b32_e32 v128, v34
	s_add_co_i32 m0, s2, -2
	s_delay_alu instid0(VALU_DEP_2) | instskip(SKIP_3) | instid1(VALU_DEP_2)
	v_fmac_f32_e32 v132, v133, v137
	v_movrels_b32_e32 v133, v34
	s_add_co_i32 m0, s2, -1
	s_wait_dscnt 0x0
	v_fmac_f32_e32 v132, v128, v138
	v_movrels_b32_e32 v128, v34
	s_mov_b32 m0, s2
	s_add_nc_u64 s[2:3], s[2:3], 8
	v_movrels_b32_e32 v134, v34
	v_dual_fmac_f32 v132, v133, v139 :: v_dual_add_nc_u32 v133, s2, v130
	s_add_co_i32 s8, s2, -7
	s_delay_alu instid0(VALU_DEP_1) | instskip(NEXT) | instid1(VALU_DEP_2)
	v_fmac_f32_e32 v132, v128, v140
	v_cmp_eq_u32_e32 vcc_lo, 19, v133
	s_delay_alu instid0(VALU_DEP_2) | instskip(SKIP_1) | instid1(SALU_CYCLE_1)
	v_dual_mov_b32 v128, s8 :: v_dual_fmac_f32 v132, v134, v141
	s_or_b32 s6, vcc_lo, s6
	s_and_not1_b32 exec_lo, exec_lo, s6
	s_cbranch_execnz .LBB30_281
; %bb.282:
	s_or_b32 exec_lo, exec_lo, s6
.LBB30_283:
	s_delay_alu instid0(SALU_CYCLE_1) | instskip(SKIP_3) | instid1(VALU_DEP_1)
	s_or_b32 exec_lo, exec_lo, s0
	v_and_b32_e32 v65, 7, v129
	s_mov_b32 s2, 0
	s_mov_b32 s0, exec_lo
	v_cmpx_ne_u32_e32 0, v65
	s_cbranch_execz .LBB30_287
; %bb.284:
	v_lshl_add_u32 v130, v128, 2, 0x80
	v_mov_b32_e32 v129, 0
.LBB30_285:                             ; =>This Inner Loop Header: Depth=1
	v_cmp_eq_u32_e32 vcc_lo, 1, v128
	ds_load_b32 v134, v130
	v_dual_add_nc_u32 v65, -1, v65 :: v_dual_add_nc_u32 v130, 4, v130
	v_cndmask_b32_e32 v133, v34, v35, vcc_lo
	v_cmp_eq_u32_e32 vcc_lo, 2, v128
	s_delay_alu instid0(VALU_DEP_2) | instskip(SKIP_1) | instid1(VALU_DEP_2)
	v_cndmask_b32_e32 v133, v133, v36, vcc_lo
	v_cmp_eq_u32_e32 vcc_lo, 3, v128
	v_cndmask_b32_e32 v133, v133, v37, vcc_lo
	v_cmp_eq_u32_e32 vcc_lo, 4, v128
	s_delay_alu instid0(VALU_DEP_2) | instskip(SKIP_1) | instid1(VALU_DEP_2)
	v_cndmask_b32_e32 v133, v133, v38, vcc_lo
	v_cmp_eq_u32_e32 vcc_lo, 5, v128
	;; [unrolled: 5-line block ×14, first 2 shown]
	v_cndmask_b32_e32 v133, v133, v63, vcc_lo
	v_cmp_eq_u32_e32 vcc_lo, 30, v128
	v_add_nc_u64_e32 v[128:129], 1, v[128:129]
	s_delay_alu instid0(VALU_DEP_3) | instskip(SKIP_2) | instid1(VALU_DEP_2)
	v_cndmask_b32_e32 v133, v133, v64, vcc_lo
	v_cmp_eq_u32_e32 vcc_lo, 0, v65
	s_wait_dscnt 0x0
	v_fmac_f32_e32 v132, v133, v134
	s_or_b32 s2, vcc_lo, s2
	s_delay_alu instid0(SALU_CYCLE_1)
	s_and_not1_b32 exec_lo, exec_lo, s2
	s_cbranch_execnz .LBB30_285
; %bb.286:
	s_or_b32 exec_lo, exec_lo, s2
.LBB30_287:
	s_delay_alu instid0(SALU_CYCLE_1)
	s_or_b32 exec_lo, exec_lo, s0
.LBB30_288:
	s_delay_alu instid0(SALU_CYCLE_1)
	s_or_b32 exec_lo, exec_lo, s5
	v_mov_b32_e32 v45, 0
	ds_load_b32 v45, v45 offset:44
	s_wait_dscnt 0x0
	v_mul_f32_e32 v45, v132, v45
.LBB30_289:
	s_or_b32 exec_lo, exec_lo, s4
	v_cmp_lt_u32_e64 s0, 10, v0
	ds_store_b32 v131, v44
	s_wait_dscnt 0x0
	s_barrier_signal -1
	s_barrier_wait -1
	s_and_saveexec_b32 s4, s0
	s_cbranch_execz .LBB30_305
; %bb.290:
	s_and_not1_b32 vcc_lo, exec_lo, s31
	s_cbranch_vccnz .LBB30_292
; %bb.291:
	v_cmp_eq_u32_e32 vcc_lo, 1, v0
	ds_load_b32 v129, v131
	v_cndmask_b32_e32 v128, v34, v35, vcc_lo
	v_cmp_eq_u32_e32 vcc_lo, 2, v0
	s_delay_alu instid0(VALU_DEP_2) | instskip(SKIP_1) | instid1(VALU_DEP_2)
	v_cndmask_b32_e32 v128, v128, v36, vcc_lo
	v_cmp_eq_u32_e32 vcc_lo, 3, v0
	v_cndmask_b32_e32 v128, v128, v37, vcc_lo
	v_cmp_eq_u32_e32 vcc_lo, 4, v0
	s_delay_alu instid0(VALU_DEP_2) | instskip(SKIP_1) | instid1(VALU_DEP_2)
	v_cndmask_b32_e32 v128, v128, v38, vcc_lo
	v_cmp_eq_u32_e32 vcc_lo, 5, v0
	;; [unrolled: 5-line block ×14, first 2 shown]
	v_cndmask_b32_e32 v128, v128, v63, vcc_lo
	v_cmp_eq_u32_e32 vcc_lo, 30, v0
	s_delay_alu instid0(VALU_DEP_2) | instskip(SKIP_1) | instid1(VALU_DEP_1)
	v_cndmask_b32_e32 v128, v128, v64, vcc_lo
	s_wait_dscnt 0x0
	v_mul_f32_e32 v132, v128, v129
	s_cbranch_execz .LBB30_293
	s_branch .LBB30_294
.LBB30_292:
                                        ; implicit-def: $vgpr132
.LBB30_293:
	ds_load_b32 v132, v131
.LBB30_294:
	s_and_saveexec_b32 s5, s1
	s_cbranch_execz .LBB30_304
; %bb.295:
	v_dual_add_nc_u32 v128, -12, v0 :: v_dual_add_nc_u32 v129, -11, v0
	s_delay_alu instid0(VALU_DEP_1)
	v_cmp_lt_u32_e32 vcc_lo, 6, v128
	v_mov_b32_e32 v128, 11
	s_and_saveexec_b32 s1, vcc_lo
	s_cbranch_execz .LBB30_299
; %bb.296:
	v_and_b32_e32 v128, -8, v129
	s_mov_b32 s6, 0
	s_mov_b64 s[2:3], 18
	s_movk_i32 s7, 0xac
	s_delay_alu instid0(VALU_DEP_1)
	v_sub_nc_u32_e32 v130, 0, v128
.LBB30_297:                             ; =>This Inner Loop Header: Depth=1
	s_add_co_i32 m0, s2, -7
	v_movrels_b32_e32 v133, v34
	v_mov_b32_e32 v128, s7
	s_add_co_i32 m0, s2, -6
	s_add_co_i32 s7, s7, 32
	v_movrels_b32_e32 v142, v34
	ds_load_2addr_b32 v[134:135], v128 offset1:1
	ds_load_2addr_b32 v[136:137], v128 offset0:2 offset1:3
	s_add_co_i32 m0, s2, -5
	s_wait_dscnt 0x1
	v_fmac_f32_e32 v132, v133, v134
	ds_load_2addr_b32 v[138:139], v128 offset0:4 offset1:5
	ds_load_2addr_b32 v[140:141], v128 offset0:6 offset1:7
	v_movrels_b32_e32 v128, v34
	s_add_co_i32 m0, s2, -4
	v_fmac_f32_e32 v132, v142, v135
	v_movrels_b32_e32 v133, v34
	s_add_co_i32 m0, s2, -3
	s_wait_dscnt 0x2
	s_delay_alu instid0(VALU_DEP_2) | instskip(SKIP_2) | instid1(VALU_DEP_2)
	v_fmac_f32_e32 v132, v128, v136
	v_movrels_b32_e32 v128, v34
	s_add_co_i32 m0, s2, -2
	v_fmac_f32_e32 v132, v133, v137
	v_movrels_b32_e32 v133, v34
	s_add_co_i32 m0, s2, -1
	s_wait_dscnt 0x1
	s_delay_alu instid0(VALU_DEP_2)
	v_fmac_f32_e32 v132, v128, v138
	v_movrels_b32_e32 v128, v34
	s_mov_b32 m0, s2
	s_add_nc_u64 s[2:3], s[2:3], 8
	v_movrels_b32_e32 v134, v34
	v_dual_fmac_f32 v132, v133, v139 :: v_dual_add_nc_u32 v133, s2, v130
	s_add_co_i32 s8, s2, -7
	s_wait_dscnt 0x0
	s_delay_alu instid0(VALU_DEP_1) | instskip(NEXT) | instid1(VALU_DEP_2)
	v_fmac_f32_e32 v132, v128, v140
	v_cmp_eq_u32_e32 vcc_lo, 18, v133
	s_delay_alu instid0(VALU_DEP_2) | instskip(SKIP_1) | instid1(SALU_CYCLE_1)
	v_dual_mov_b32 v128, s8 :: v_dual_fmac_f32 v132, v134, v141
	s_or_b32 s6, vcc_lo, s6
	s_and_not1_b32 exec_lo, exec_lo, s6
	s_cbranch_execnz .LBB30_297
; %bb.298:
	s_or_b32 exec_lo, exec_lo, s6
.LBB30_299:
	s_delay_alu instid0(SALU_CYCLE_1) | instskip(SKIP_3) | instid1(VALU_DEP_1)
	s_or_b32 exec_lo, exec_lo, s1
	v_and_b32_e32 v65, 7, v129
	s_mov_b32 s2, 0
	s_mov_b32 s1, exec_lo
	v_cmpx_ne_u32_e32 0, v65
	s_cbranch_execz .LBB30_303
; %bb.300:
	v_lshl_add_u32 v130, v128, 2, 0x80
	v_mov_b32_e32 v129, 0
.LBB30_301:                             ; =>This Inner Loop Header: Depth=1
	v_cmp_eq_u32_e32 vcc_lo, 1, v128
	ds_load_b32 v134, v130
	v_dual_add_nc_u32 v65, -1, v65 :: v_dual_add_nc_u32 v130, 4, v130
	v_cndmask_b32_e32 v133, v34, v35, vcc_lo
	v_cmp_eq_u32_e32 vcc_lo, 2, v128
	s_delay_alu instid0(VALU_DEP_2) | instskip(SKIP_1) | instid1(VALU_DEP_2)
	v_cndmask_b32_e32 v133, v133, v36, vcc_lo
	v_cmp_eq_u32_e32 vcc_lo, 3, v128
	v_cndmask_b32_e32 v133, v133, v37, vcc_lo
	v_cmp_eq_u32_e32 vcc_lo, 4, v128
	s_delay_alu instid0(VALU_DEP_2) | instskip(SKIP_1) | instid1(VALU_DEP_2)
	v_cndmask_b32_e32 v133, v133, v38, vcc_lo
	v_cmp_eq_u32_e32 vcc_lo, 5, v128
	;; [unrolled: 5-line block ×14, first 2 shown]
	v_cndmask_b32_e32 v133, v133, v63, vcc_lo
	v_cmp_eq_u32_e32 vcc_lo, 30, v128
	v_add_nc_u64_e32 v[128:129], 1, v[128:129]
	s_delay_alu instid0(VALU_DEP_3) | instskip(SKIP_2) | instid1(VALU_DEP_2)
	v_cndmask_b32_e32 v133, v133, v64, vcc_lo
	v_cmp_eq_u32_e32 vcc_lo, 0, v65
	s_wait_dscnt 0x0
	v_fmac_f32_e32 v132, v133, v134
	s_or_b32 s2, vcc_lo, s2
	s_delay_alu instid0(SALU_CYCLE_1)
	s_and_not1_b32 exec_lo, exec_lo, s2
	s_cbranch_execnz .LBB30_301
; %bb.302:
	s_or_b32 exec_lo, exec_lo, s2
.LBB30_303:
	s_delay_alu instid0(SALU_CYCLE_1)
	s_or_b32 exec_lo, exec_lo, s1
.LBB30_304:
	s_delay_alu instid0(SALU_CYCLE_1)
	s_or_b32 exec_lo, exec_lo, s5
	v_mov_b32_e32 v44, 0
	ds_load_b32 v44, v44 offset:40
	s_wait_dscnt 0x0
	v_mul_f32_e32 v44, v132, v44
.LBB30_305:
	s_or_b32 exec_lo, exec_lo, s4
	v_cmp_lt_u32_e64 s1, 9, v0
	ds_store_b32 v131, v43
	s_wait_dscnt 0x0
	s_barrier_signal -1
	s_barrier_wait -1
	s_and_saveexec_b32 s4, s1
	s_cbranch_execz .LBB30_321
; %bb.306:
	s_and_not1_b32 vcc_lo, exec_lo, s31
	s_cbranch_vccnz .LBB30_308
; %bb.307:
	v_cmp_eq_u32_e32 vcc_lo, 1, v0
	ds_load_b32 v129, v131
	v_cndmask_b32_e32 v128, v34, v35, vcc_lo
	v_cmp_eq_u32_e32 vcc_lo, 2, v0
	s_delay_alu instid0(VALU_DEP_2) | instskip(SKIP_1) | instid1(VALU_DEP_2)
	v_cndmask_b32_e32 v128, v128, v36, vcc_lo
	v_cmp_eq_u32_e32 vcc_lo, 3, v0
	v_cndmask_b32_e32 v128, v128, v37, vcc_lo
	v_cmp_eq_u32_e32 vcc_lo, 4, v0
	s_delay_alu instid0(VALU_DEP_2) | instskip(SKIP_1) | instid1(VALU_DEP_2)
	v_cndmask_b32_e32 v128, v128, v38, vcc_lo
	v_cmp_eq_u32_e32 vcc_lo, 5, v0
	;; [unrolled: 5-line block ×14, first 2 shown]
	v_cndmask_b32_e32 v128, v128, v63, vcc_lo
	v_cmp_eq_u32_e32 vcc_lo, 30, v0
	s_delay_alu instid0(VALU_DEP_2) | instskip(SKIP_1) | instid1(VALU_DEP_1)
	v_cndmask_b32_e32 v128, v128, v64, vcc_lo
	s_wait_dscnt 0x0
	v_mul_f32_e32 v132, v128, v129
	s_cbranch_execz .LBB30_309
	s_branch .LBB30_310
.LBB30_308:
                                        ; implicit-def: $vgpr132
.LBB30_309:
	ds_load_b32 v132, v131
.LBB30_310:
	s_and_saveexec_b32 s5, s0
	s_cbranch_execz .LBB30_320
; %bb.311:
	v_dual_add_nc_u32 v128, -11, v0 :: v_dual_add_nc_u32 v129, -10, v0
	s_delay_alu instid0(VALU_DEP_1)
	v_cmp_lt_u32_e32 vcc_lo, 6, v128
	v_mov_b32_e32 v128, 10
	s_and_saveexec_b32 s0, vcc_lo
	s_cbranch_execz .LBB30_315
; %bb.312:
	v_and_b32_e32 v128, -8, v129
	s_mov_b32 s6, 0
	s_mov_b64 s[2:3], 17
	s_movk_i32 s7, 0xa8
	s_delay_alu instid0(VALU_DEP_1)
	v_sub_nc_u32_e32 v130, 0, v128
.LBB30_313:                             ; =>This Inner Loop Header: Depth=1
	s_add_co_i32 m0, s2, -7
	v_movrels_b32_e32 v133, v34
	v_mov_b32_e32 v128, s7
	s_add_co_i32 m0, s2, -6
	s_add_co_i32 s7, s7, 32
	v_movrels_b32_e32 v142, v34
	s_add_co_i32 m0, s2, -5
	ds_load_2addr_b64 v[134:137], v128 offset1:1
	ds_load_2addr_b64 v[138:141], v128 offset0:2 offset1:3
	v_movrels_b32_e32 v128, v34
	s_add_co_i32 m0, s2, -4
	s_wait_dscnt 0x1
	v_fmac_f32_e32 v132, v133, v134
	v_movrels_b32_e32 v133, v34
	s_add_co_i32 m0, s2, -3
	s_delay_alu instid0(VALU_DEP_2) | instskip(NEXT) | instid1(VALU_DEP_1)
	v_fmac_f32_e32 v132, v142, v135
	v_fmac_f32_e32 v132, v128, v136
	v_movrels_b32_e32 v128, v34
	s_add_co_i32 m0, s2, -2
	s_delay_alu instid0(VALU_DEP_2) | instskip(SKIP_3) | instid1(VALU_DEP_2)
	v_fmac_f32_e32 v132, v133, v137
	v_movrels_b32_e32 v133, v34
	s_add_co_i32 m0, s2, -1
	s_wait_dscnt 0x0
	v_fmac_f32_e32 v132, v128, v138
	v_movrels_b32_e32 v128, v34
	s_mov_b32 m0, s2
	s_add_nc_u64 s[2:3], s[2:3], 8
	v_movrels_b32_e32 v134, v34
	v_dual_fmac_f32 v132, v133, v139 :: v_dual_add_nc_u32 v133, s2, v130
	s_add_co_i32 s8, s2, -7
	s_delay_alu instid0(VALU_DEP_1) | instskip(NEXT) | instid1(VALU_DEP_2)
	v_fmac_f32_e32 v132, v128, v140
	v_cmp_eq_u32_e32 vcc_lo, 17, v133
	s_delay_alu instid0(VALU_DEP_2) | instskip(SKIP_1) | instid1(SALU_CYCLE_1)
	v_dual_mov_b32 v128, s8 :: v_dual_fmac_f32 v132, v134, v141
	s_or_b32 s6, vcc_lo, s6
	s_and_not1_b32 exec_lo, exec_lo, s6
	s_cbranch_execnz .LBB30_313
; %bb.314:
	s_or_b32 exec_lo, exec_lo, s6
.LBB30_315:
	s_delay_alu instid0(SALU_CYCLE_1) | instskip(SKIP_3) | instid1(VALU_DEP_1)
	s_or_b32 exec_lo, exec_lo, s0
	v_and_b32_e32 v65, 7, v129
	s_mov_b32 s2, 0
	s_mov_b32 s0, exec_lo
	v_cmpx_ne_u32_e32 0, v65
	s_cbranch_execz .LBB30_319
; %bb.316:
	v_lshl_add_u32 v130, v128, 2, 0x80
	v_mov_b32_e32 v129, 0
.LBB30_317:                             ; =>This Inner Loop Header: Depth=1
	v_cmp_eq_u32_e32 vcc_lo, 1, v128
	ds_load_b32 v134, v130
	v_dual_add_nc_u32 v65, -1, v65 :: v_dual_add_nc_u32 v130, 4, v130
	v_cndmask_b32_e32 v133, v34, v35, vcc_lo
	v_cmp_eq_u32_e32 vcc_lo, 2, v128
	s_delay_alu instid0(VALU_DEP_2) | instskip(SKIP_1) | instid1(VALU_DEP_2)
	v_cndmask_b32_e32 v133, v133, v36, vcc_lo
	v_cmp_eq_u32_e32 vcc_lo, 3, v128
	v_cndmask_b32_e32 v133, v133, v37, vcc_lo
	v_cmp_eq_u32_e32 vcc_lo, 4, v128
	s_delay_alu instid0(VALU_DEP_2) | instskip(SKIP_1) | instid1(VALU_DEP_2)
	v_cndmask_b32_e32 v133, v133, v38, vcc_lo
	v_cmp_eq_u32_e32 vcc_lo, 5, v128
	;; [unrolled: 5-line block ×14, first 2 shown]
	v_cndmask_b32_e32 v133, v133, v63, vcc_lo
	v_cmp_eq_u32_e32 vcc_lo, 30, v128
	v_add_nc_u64_e32 v[128:129], 1, v[128:129]
	s_delay_alu instid0(VALU_DEP_3) | instskip(SKIP_2) | instid1(VALU_DEP_2)
	v_cndmask_b32_e32 v133, v133, v64, vcc_lo
	v_cmp_eq_u32_e32 vcc_lo, 0, v65
	s_wait_dscnt 0x0
	v_fmac_f32_e32 v132, v133, v134
	s_or_b32 s2, vcc_lo, s2
	s_delay_alu instid0(SALU_CYCLE_1)
	s_and_not1_b32 exec_lo, exec_lo, s2
	s_cbranch_execnz .LBB30_317
; %bb.318:
	s_or_b32 exec_lo, exec_lo, s2
.LBB30_319:
	s_delay_alu instid0(SALU_CYCLE_1)
	s_or_b32 exec_lo, exec_lo, s0
.LBB30_320:
	s_delay_alu instid0(SALU_CYCLE_1)
	s_or_b32 exec_lo, exec_lo, s5
	v_mov_b32_e32 v43, 0
	ds_load_b32 v43, v43 offset:36
	s_wait_dscnt 0x0
	v_mul_f32_e32 v43, v132, v43
.LBB30_321:
	s_or_b32 exec_lo, exec_lo, s4
	v_cmp_lt_u32_e64 s0, 8, v0
	ds_store_b32 v131, v42
	s_wait_dscnt 0x0
	s_barrier_signal -1
	s_barrier_wait -1
	s_and_saveexec_b32 s4, s0
	s_cbranch_execz .LBB30_337
; %bb.322:
	s_and_not1_b32 vcc_lo, exec_lo, s31
	s_cbranch_vccnz .LBB30_324
; %bb.323:
	v_cmp_eq_u32_e32 vcc_lo, 1, v0
	ds_load_b32 v129, v131
	v_cndmask_b32_e32 v128, v34, v35, vcc_lo
	v_cmp_eq_u32_e32 vcc_lo, 2, v0
	s_delay_alu instid0(VALU_DEP_2) | instskip(SKIP_1) | instid1(VALU_DEP_2)
	v_cndmask_b32_e32 v128, v128, v36, vcc_lo
	v_cmp_eq_u32_e32 vcc_lo, 3, v0
	v_cndmask_b32_e32 v128, v128, v37, vcc_lo
	v_cmp_eq_u32_e32 vcc_lo, 4, v0
	s_delay_alu instid0(VALU_DEP_2) | instskip(SKIP_1) | instid1(VALU_DEP_2)
	v_cndmask_b32_e32 v128, v128, v38, vcc_lo
	v_cmp_eq_u32_e32 vcc_lo, 5, v0
	;; [unrolled: 5-line block ×14, first 2 shown]
	v_cndmask_b32_e32 v128, v128, v63, vcc_lo
	v_cmp_eq_u32_e32 vcc_lo, 30, v0
	s_delay_alu instid0(VALU_DEP_2) | instskip(SKIP_1) | instid1(VALU_DEP_1)
	v_cndmask_b32_e32 v128, v128, v64, vcc_lo
	s_wait_dscnt 0x0
	v_mul_f32_e32 v132, v128, v129
	s_cbranch_execz .LBB30_325
	s_branch .LBB30_326
.LBB30_324:
                                        ; implicit-def: $vgpr132
.LBB30_325:
	ds_load_b32 v132, v131
.LBB30_326:
	s_and_saveexec_b32 s5, s1
	s_cbranch_execz .LBB30_336
; %bb.327:
	v_dual_add_nc_u32 v128, -10, v0 :: v_dual_add_nc_u32 v129, -9, v0
	s_delay_alu instid0(VALU_DEP_1)
	v_cmp_lt_u32_e32 vcc_lo, 6, v128
	v_mov_b32_e32 v128, 9
	s_and_saveexec_b32 s1, vcc_lo
	s_cbranch_execz .LBB30_331
; %bb.328:
	v_and_b32_e32 v128, -8, v129
	s_mov_b32 s6, 0
	s_mov_b64 s[2:3], 16
	s_movk_i32 s7, 0xa4
	s_delay_alu instid0(VALU_DEP_1)
	v_sub_nc_u32_e32 v130, 0, v128
.LBB30_329:                             ; =>This Inner Loop Header: Depth=1
	s_add_co_i32 m0, s2, -7
	v_movrels_b32_e32 v133, v34
	v_mov_b32_e32 v128, s7
	s_add_co_i32 m0, s2, -6
	s_add_co_i32 s7, s7, 32
	v_movrels_b32_e32 v142, v34
	ds_load_2addr_b32 v[134:135], v128 offset1:1
	ds_load_2addr_b32 v[136:137], v128 offset0:2 offset1:3
	s_add_co_i32 m0, s2, -5
	s_wait_dscnt 0x1
	v_fmac_f32_e32 v132, v133, v134
	ds_load_2addr_b32 v[138:139], v128 offset0:4 offset1:5
	ds_load_2addr_b32 v[140:141], v128 offset0:6 offset1:7
	v_movrels_b32_e32 v128, v34
	s_add_co_i32 m0, s2, -4
	v_fmac_f32_e32 v132, v142, v135
	v_movrels_b32_e32 v133, v34
	s_add_co_i32 m0, s2, -3
	s_wait_dscnt 0x2
	s_delay_alu instid0(VALU_DEP_2) | instskip(SKIP_2) | instid1(VALU_DEP_2)
	v_fmac_f32_e32 v132, v128, v136
	v_movrels_b32_e32 v128, v34
	s_add_co_i32 m0, s2, -2
	v_fmac_f32_e32 v132, v133, v137
	v_movrels_b32_e32 v133, v34
	s_add_co_i32 m0, s2, -1
	s_wait_dscnt 0x1
	s_delay_alu instid0(VALU_DEP_2)
	v_fmac_f32_e32 v132, v128, v138
	v_movrels_b32_e32 v128, v34
	s_mov_b32 m0, s2
	s_add_nc_u64 s[2:3], s[2:3], 8
	v_movrels_b32_e32 v134, v34
	v_dual_fmac_f32 v132, v133, v139 :: v_dual_add_nc_u32 v133, s2, v130
	s_add_co_i32 s8, s2, -7
	s_wait_dscnt 0x0
	s_delay_alu instid0(VALU_DEP_1) | instskip(NEXT) | instid1(VALU_DEP_2)
	v_fmac_f32_e32 v132, v128, v140
	v_cmp_eq_u32_e32 vcc_lo, 16, v133
	s_delay_alu instid0(VALU_DEP_2) | instskip(SKIP_1) | instid1(SALU_CYCLE_1)
	v_dual_mov_b32 v128, s8 :: v_dual_fmac_f32 v132, v134, v141
	s_or_b32 s6, vcc_lo, s6
	s_and_not1_b32 exec_lo, exec_lo, s6
	s_cbranch_execnz .LBB30_329
; %bb.330:
	s_or_b32 exec_lo, exec_lo, s6
.LBB30_331:
	s_delay_alu instid0(SALU_CYCLE_1) | instskip(SKIP_3) | instid1(VALU_DEP_1)
	s_or_b32 exec_lo, exec_lo, s1
	v_and_b32_e32 v65, 7, v129
	s_mov_b32 s2, 0
	s_mov_b32 s1, exec_lo
	v_cmpx_ne_u32_e32 0, v65
	s_cbranch_execz .LBB30_335
; %bb.332:
	v_lshl_add_u32 v130, v128, 2, 0x80
	v_mov_b32_e32 v129, 0
.LBB30_333:                             ; =>This Inner Loop Header: Depth=1
	v_cmp_eq_u32_e32 vcc_lo, 1, v128
	ds_load_b32 v134, v130
	v_dual_add_nc_u32 v65, -1, v65 :: v_dual_add_nc_u32 v130, 4, v130
	v_cndmask_b32_e32 v133, v34, v35, vcc_lo
	v_cmp_eq_u32_e32 vcc_lo, 2, v128
	s_delay_alu instid0(VALU_DEP_2) | instskip(SKIP_1) | instid1(VALU_DEP_2)
	v_cndmask_b32_e32 v133, v133, v36, vcc_lo
	v_cmp_eq_u32_e32 vcc_lo, 3, v128
	v_cndmask_b32_e32 v133, v133, v37, vcc_lo
	v_cmp_eq_u32_e32 vcc_lo, 4, v128
	s_delay_alu instid0(VALU_DEP_2) | instskip(SKIP_1) | instid1(VALU_DEP_2)
	v_cndmask_b32_e32 v133, v133, v38, vcc_lo
	v_cmp_eq_u32_e32 vcc_lo, 5, v128
	;; [unrolled: 5-line block ×14, first 2 shown]
	v_cndmask_b32_e32 v133, v133, v63, vcc_lo
	v_cmp_eq_u32_e32 vcc_lo, 30, v128
	v_add_nc_u64_e32 v[128:129], 1, v[128:129]
	s_delay_alu instid0(VALU_DEP_3) | instskip(SKIP_2) | instid1(VALU_DEP_2)
	v_cndmask_b32_e32 v133, v133, v64, vcc_lo
	v_cmp_eq_u32_e32 vcc_lo, 0, v65
	s_wait_dscnt 0x0
	v_fmac_f32_e32 v132, v133, v134
	s_or_b32 s2, vcc_lo, s2
	s_delay_alu instid0(SALU_CYCLE_1)
	s_and_not1_b32 exec_lo, exec_lo, s2
	s_cbranch_execnz .LBB30_333
; %bb.334:
	s_or_b32 exec_lo, exec_lo, s2
.LBB30_335:
	s_delay_alu instid0(SALU_CYCLE_1)
	s_or_b32 exec_lo, exec_lo, s1
.LBB30_336:
	s_delay_alu instid0(SALU_CYCLE_1)
	s_or_b32 exec_lo, exec_lo, s5
	v_mov_b32_e32 v42, 0
	ds_load_b32 v42, v42 offset:32
	s_wait_dscnt 0x0
	v_mul_f32_e32 v42, v132, v42
.LBB30_337:
	s_or_b32 exec_lo, exec_lo, s4
	v_cmp_lt_u32_e64 s1, 7, v0
	ds_store_b32 v131, v41
	s_wait_dscnt 0x0
	s_barrier_signal -1
	s_barrier_wait -1
	s_and_saveexec_b32 s4, s1
	s_cbranch_execz .LBB30_353
; %bb.338:
	s_and_not1_b32 vcc_lo, exec_lo, s31
	s_cbranch_vccnz .LBB30_340
; %bb.339:
	v_cmp_eq_u32_e32 vcc_lo, 1, v0
	ds_load_b32 v129, v131
	v_cndmask_b32_e32 v128, v34, v35, vcc_lo
	v_cmp_eq_u32_e32 vcc_lo, 2, v0
	s_delay_alu instid0(VALU_DEP_2) | instskip(SKIP_1) | instid1(VALU_DEP_2)
	v_cndmask_b32_e32 v128, v128, v36, vcc_lo
	v_cmp_eq_u32_e32 vcc_lo, 3, v0
	v_cndmask_b32_e32 v128, v128, v37, vcc_lo
	v_cmp_eq_u32_e32 vcc_lo, 4, v0
	s_delay_alu instid0(VALU_DEP_2) | instskip(SKIP_1) | instid1(VALU_DEP_2)
	v_cndmask_b32_e32 v128, v128, v38, vcc_lo
	v_cmp_eq_u32_e32 vcc_lo, 5, v0
	v_cndmask_b32_e32 v128, v128, v39, vcc_lo
	v_cmp_eq_u32_e32 vcc_lo, 6, v0
	s_delay_alu instid0(VALU_DEP_2) | instskip(SKIP_1) | instid1(VALU_DEP_2)
	v_cndmask_b32_e32 v128, v128, v40, vcc_lo
	v_cmp_eq_u32_e32 vcc_lo, 7, v0
	v_cndmask_b32_e32 v128, v128, v41, vcc_lo
	v_cmp_eq_u32_e32 vcc_lo, 8, v0
	s_delay_alu instid0(VALU_DEP_2) | instskip(SKIP_1) | instid1(VALU_DEP_2)
	v_cndmask_b32_e32 v128, v128, v42, vcc_lo
	v_cmp_eq_u32_e32 vcc_lo, 9, v0
	v_cndmask_b32_e32 v128, v128, v43, vcc_lo
	v_cmp_eq_u32_e32 vcc_lo, 10, v0
	s_delay_alu instid0(VALU_DEP_2) | instskip(SKIP_1) | instid1(VALU_DEP_2)
	v_cndmask_b32_e32 v128, v128, v44, vcc_lo
	v_cmp_eq_u32_e32 vcc_lo, 11, v0
	v_cndmask_b32_e32 v128, v128, v45, vcc_lo
	v_cmp_eq_u32_e32 vcc_lo, 12, v0
	s_delay_alu instid0(VALU_DEP_2) | instskip(SKIP_1) | instid1(VALU_DEP_2)
	v_cndmask_b32_e32 v128, v128, v46, vcc_lo
	v_cmp_eq_u32_e32 vcc_lo, 13, v0
	v_cndmask_b32_e32 v128, v128, v47, vcc_lo
	v_cmp_eq_u32_e32 vcc_lo, 14, v0
	s_delay_alu instid0(VALU_DEP_2) | instskip(SKIP_1) | instid1(VALU_DEP_2)
	v_cndmask_b32_e32 v128, v128, v48, vcc_lo
	v_cmp_eq_u32_e32 vcc_lo, 15, v0
	v_cndmask_b32_e32 v128, v128, v49, vcc_lo
	v_cmp_eq_u32_e32 vcc_lo, 16, v0
	s_delay_alu instid0(VALU_DEP_2) | instskip(SKIP_1) | instid1(VALU_DEP_2)
	v_cndmask_b32_e32 v128, v128, v50, vcc_lo
	v_cmp_eq_u32_e32 vcc_lo, 17, v0
	v_cndmask_b32_e32 v128, v128, v51, vcc_lo
	v_cmp_eq_u32_e32 vcc_lo, 18, v0
	s_delay_alu instid0(VALU_DEP_2) | instskip(SKIP_1) | instid1(VALU_DEP_2)
	v_cndmask_b32_e32 v128, v128, v52, vcc_lo
	v_cmp_eq_u32_e32 vcc_lo, 19, v0
	v_cndmask_b32_e32 v128, v128, v53, vcc_lo
	v_cmp_eq_u32_e32 vcc_lo, 20, v0
	s_delay_alu instid0(VALU_DEP_2) | instskip(SKIP_1) | instid1(VALU_DEP_2)
	v_cndmask_b32_e32 v128, v128, v54, vcc_lo
	v_cmp_eq_u32_e32 vcc_lo, 21, v0
	v_cndmask_b32_e32 v128, v128, v55, vcc_lo
	v_cmp_eq_u32_e32 vcc_lo, 22, v0
	s_delay_alu instid0(VALU_DEP_2) | instskip(SKIP_1) | instid1(VALU_DEP_2)
	v_cndmask_b32_e32 v128, v128, v56, vcc_lo
	v_cmp_eq_u32_e32 vcc_lo, 23, v0
	v_cndmask_b32_e32 v128, v128, v57, vcc_lo
	v_cmp_eq_u32_e32 vcc_lo, 24, v0
	s_delay_alu instid0(VALU_DEP_2) | instskip(SKIP_1) | instid1(VALU_DEP_2)
	v_cndmask_b32_e32 v128, v128, v58, vcc_lo
	v_cmp_eq_u32_e32 vcc_lo, 25, v0
	v_cndmask_b32_e32 v128, v128, v59, vcc_lo
	v_cmp_eq_u32_e32 vcc_lo, 26, v0
	s_delay_alu instid0(VALU_DEP_2) | instskip(SKIP_1) | instid1(VALU_DEP_2)
	v_cndmask_b32_e32 v128, v128, v60, vcc_lo
	v_cmp_eq_u32_e32 vcc_lo, 27, v0
	v_cndmask_b32_e32 v128, v128, v61, vcc_lo
	v_cmp_eq_u32_e32 vcc_lo, 28, v0
	s_delay_alu instid0(VALU_DEP_2) | instskip(SKIP_1) | instid1(VALU_DEP_2)
	v_cndmask_b32_e32 v128, v128, v62, vcc_lo
	v_cmp_eq_u32_e32 vcc_lo, 29, v0
	v_cndmask_b32_e32 v128, v128, v63, vcc_lo
	v_cmp_eq_u32_e32 vcc_lo, 30, v0
	s_delay_alu instid0(VALU_DEP_2) | instskip(SKIP_1) | instid1(VALU_DEP_1)
	v_cndmask_b32_e32 v128, v128, v64, vcc_lo
	s_wait_dscnt 0x0
	v_mul_f32_e32 v132, v128, v129
	s_cbranch_execz .LBB30_341
	s_branch .LBB30_342
.LBB30_340:
                                        ; implicit-def: $vgpr132
.LBB30_341:
	ds_load_b32 v132, v131
.LBB30_342:
	s_and_saveexec_b32 s5, s0
	s_cbranch_execz .LBB30_352
; %bb.343:
	v_add_nc_u32_e32 v128, -9, v0
	s_delay_alu instid0(VALU_DEP_1)
	v_cmp_lt_u32_e32 vcc_lo, 6, v128
	v_mov_b32_e32 v128, 8
	s_and_saveexec_b32 s0, vcc_lo
	s_cbranch_execz .LBB30_347
; %bb.344:
	v_and_b32_e32 v128, 24, v0
	s_mov_b32 s6, 0
	s_mov_b64 s[2:3], 15
	s_movk_i32 s7, 0xa0
	s_delay_alu instid0(VALU_DEP_1)
	v_sub_nc_u32_e32 v130, 0, v128
.LBB30_345:                             ; =>This Inner Loop Header: Depth=1
	s_add_co_i32 m0, s2, -7
	v_movrels_b32_e32 v129, v34
	v_mov_b32_e32 v128, s7
	s_add_co_i32 m0, s2, -6
	s_add_co_i32 s7, s7, 32
	v_movrels_b32_e32 v133, v34
	s_add_co_i32 m0, s2, -5
	ds_load_b128 v[134:137], v128
	ds_load_b128 v[138:141], v128 offset:16
	v_movrels_b32_e32 v128, v34
	s_add_co_i32 m0, s2, -4
	s_wait_dscnt 0x1
	v_fmac_f32_e32 v132, v129, v134
	v_movrels_b32_e32 v129, v34
	s_add_co_i32 m0, s2, -3
	s_delay_alu instid0(VALU_DEP_2) | instskip(NEXT) | instid1(VALU_DEP_1)
	v_fmac_f32_e32 v132, v133, v135
	v_fmac_f32_e32 v132, v128, v136
	v_movrels_b32_e32 v128, v34
	s_add_co_i32 m0, s2, -2
	s_delay_alu instid0(VALU_DEP_2) | instskip(SKIP_3) | instid1(VALU_DEP_2)
	v_fmac_f32_e32 v132, v129, v137
	v_movrels_b32_e32 v129, v34
	s_add_co_i32 m0, s2, -1
	s_wait_dscnt 0x0
	v_fmac_f32_e32 v132, v128, v138
	v_movrels_b32_e32 v128, v34
	s_mov_b32 m0, s2
	s_add_nc_u64 s[2:3], s[2:3], 8
	v_movrels_b32_e32 v133, v34
	v_dual_fmac_f32 v132, v129, v139 :: v_dual_add_nc_u32 v129, s2, v130
	s_add_co_i32 s8, s2, -7
	s_delay_alu instid0(VALU_DEP_1) | instskip(NEXT) | instid1(VALU_DEP_2)
	v_fmac_f32_e32 v132, v128, v140
	v_cmp_eq_u32_e32 vcc_lo, 7, v129
	s_delay_alu instid0(VALU_DEP_2) | instskip(SKIP_1) | instid1(SALU_CYCLE_1)
	v_dual_mov_b32 v128, s8 :: v_dual_fmac_f32 v132, v133, v141
	s_or_b32 s6, vcc_lo, s6
	s_and_not1_b32 exec_lo, exec_lo, s6
	s_cbranch_execnz .LBB30_345
; %bb.346:
	s_or_b32 exec_lo, exec_lo, s6
.LBB30_347:
	s_delay_alu instid0(SALU_CYCLE_1) | instskip(SKIP_3) | instid1(VALU_DEP_1)
	s_or_b32 exec_lo, exec_lo, s0
	v_and_b32_e32 v65, 7, v0
	s_mov_b32 s2, 0
	s_mov_b32 s0, exec_lo
	v_cmpx_ne_u32_e32 0, v65
	s_cbranch_execz .LBB30_351
; %bb.348:
	v_lshl_add_u32 v130, v128, 2, 0x80
	v_mov_b32_e32 v129, 0
.LBB30_349:                             ; =>This Inner Loop Header: Depth=1
	v_cmp_eq_u32_e32 vcc_lo, 1, v128
	ds_load_b32 v134, v130
	v_dual_add_nc_u32 v65, -1, v65 :: v_dual_add_nc_u32 v130, 4, v130
	v_cndmask_b32_e32 v133, v34, v35, vcc_lo
	v_cmp_eq_u32_e32 vcc_lo, 2, v128
	s_delay_alu instid0(VALU_DEP_2) | instskip(SKIP_1) | instid1(VALU_DEP_2)
	v_cndmask_b32_e32 v133, v133, v36, vcc_lo
	v_cmp_eq_u32_e32 vcc_lo, 3, v128
	v_cndmask_b32_e32 v133, v133, v37, vcc_lo
	v_cmp_eq_u32_e32 vcc_lo, 4, v128
	s_delay_alu instid0(VALU_DEP_2) | instskip(SKIP_1) | instid1(VALU_DEP_2)
	v_cndmask_b32_e32 v133, v133, v38, vcc_lo
	v_cmp_eq_u32_e32 vcc_lo, 5, v128
	;; [unrolled: 5-line block ×14, first 2 shown]
	v_cndmask_b32_e32 v133, v133, v63, vcc_lo
	v_cmp_eq_u32_e32 vcc_lo, 30, v128
	v_add_nc_u64_e32 v[128:129], 1, v[128:129]
	s_delay_alu instid0(VALU_DEP_3) | instskip(SKIP_2) | instid1(VALU_DEP_2)
	v_cndmask_b32_e32 v133, v133, v64, vcc_lo
	v_cmp_eq_u32_e32 vcc_lo, 0, v65
	s_wait_dscnt 0x0
	v_fmac_f32_e32 v132, v133, v134
	s_or_b32 s2, vcc_lo, s2
	s_delay_alu instid0(SALU_CYCLE_1)
	s_and_not1_b32 exec_lo, exec_lo, s2
	s_cbranch_execnz .LBB30_349
; %bb.350:
	s_or_b32 exec_lo, exec_lo, s2
.LBB30_351:
	s_delay_alu instid0(SALU_CYCLE_1)
	s_or_b32 exec_lo, exec_lo, s0
.LBB30_352:
	s_delay_alu instid0(SALU_CYCLE_1)
	s_or_b32 exec_lo, exec_lo, s5
	v_mov_b32_e32 v41, 0
	ds_load_b32 v41, v41 offset:28
	s_wait_dscnt 0x0
	v_mul_f32_e32 v41, v132, v41
.LBB30_353:
	s_or_b32 exec_lo, exec_lo, s4
	v_cmp_lt_u32_e64 s0, 6, v0
	ds_store_b32 v131, v40
	s_wait_dscnt 0x0
	s_barrier_signal -1
	s_barrier_wait -1
	s_and_saveexec_b32 s4, s0
	s_cbranch_execz .LBB30_369
; %bb.354:
	s_and_not1_b32 vcc_lo, exec_lo, s31
	s_cbranch_vccnz .LBB30_356
; %bb.355:
	v_cmp_eq_u32_e32 vcc_lo, 1, v0
	ds_load_b32 v129, v131
	v_cndmask_b32_e32 v128, v34, v35, vcc_lo
	v_cmp_eq_u32_e32 vcc_lo, 2, v0
	s_delay_alu instid0(VALU_DEP_2) | instskip(SKIP_1) | instid1(VALU_DEP_2)
	v_cndmask_b32_e32 v128, v128, v36, vcc_lo
	v_cmp_eq_u32_e32 vcc_lo, 3, v0
	v_cndmask_b32_e32 v128, v128, v37, vcc_lo
	v_cmp_eq_u32_e32 vcc_lo, 4, v0
	s_delay_alu instid0(VALU_DEP_2) | instskip(SKIP_1) | instid1(VALU_DEP_2)
	v_cndmask_b32_e32 v128, v128, v38, vcc_lo
	v_cmp_eq_u32_e32 vcc_lo, 5, v0
	;; [unrolled: 5-line block ×14, first 2 shown]
	v_cndmask_b32_e32 v128, v128, v63, vcc_lo
	v_cmp_eq_u32_e32 vcc_lo, 30, v0
	s_delay_alu instid0(VALU_DEP_2) | instskip(SKIP_1) | instid1(VALU_DEP_1)
	v_cndmask_b32_e32 v128, v128, v64, vcc_lo
	s_wait_dscnt 0x0
	v_mul_f32_e32 v132, v128, v129
	s_cbranch_execz .LBB30_357
	s_branch .LBB30_358
.LBB30_356:
                                        ; implicit-def: $vgpr132
.LBB30_357:
	ds_load_b32 v132, v131
.LBB30_358:
	s_and_saveexec_b32 s5, s1
	s_cbranch_execz .LBB30_368
; %bb.359:
	v_dual_add_nc_u32 v128, -8, v0 :: v_dual_add_nc_u32 v129, -7, v0
	s_delay_alu instid0(VALU_DEP_1)
	v_cmp_lt_u32_e32 vcc_lo, 6, v128
	v_mov_b32_e32 v128, 7
	s_and_saveexec_b32 s1, vcc_lo
	s_cbranch_execz .LBB30_363
; %bb.360:
	v_and_b32_e32 v128, -8, v129
	s_mov_b32 s6, 0
	s_mov_b64 s[2:3], 14
	s_movk_i32 s7, 0x9c
	s_delay_alu instid0(VALU_DEP_1)
	v_sub_nc_u32_e32 v130, 0, v128
.LBB30_361:                             ; =>This Inner Loop Header: Depth=1
	s_add_co_i32 m0, s2, -7
	v_movrels_b32_e32 v133, v34
	v_mov_b32_e32 v128, s7
	s_add_co_i32 m0, s2, -6
	s_add_co_i32 s7, s7, 32
	v_movrels_b32_e32 v142, v34
	ds_load_2addr_b32 v[134:135], v128 offset1:1
	ds_load_2addr_b32 v[136:137], v128 offset0:2 offset1:3
	s_add_co_i32 m0, s2, -5
	s_wait_dscnt 0x1
	v_fmac_f32_e32 v132, v133, v134
	ds_load_2addr_b32 v[138:139], v128 offset0:4 offset1:5
	ds_load_2addr_b32 v[140:141], v128 offset0:6 offset1:7
	v_movrels_b32_e32 v128, v34
	s_add_co_i32 m0, s2, -4
	v_fmac_f32_e32 v132, v142, v135
	v_movrels_b32_e32 v133, v34
	s_add_co_i32 m0, s2, -3
	s_wait_dscnt 0x2
	s_delay_alu instid0(VALU_DEP_2) | instskip(SKIP_2) | instid1(VALU_DEP_2)
	v_fmac_f32_e32 v132, v128, v136
	v_movrels_b32_e32 v128, v34
	s_add_co_i32 m0, s2, -2
	v_fmac_f32_e32 v132, v133, v137
	v_movrels_b32_e32 v133, v34
	s_add_co_i32 m0, s2, -1
	s_wait_dscnt 0x1
	s_delay_alu instid0(VALU_DEP_2)
	v_fmac_f32_e32 v132, v128, v138
	v_movrels_b32_e32 v128, v34
	s_mov_b32 m0, s2
	s_add_nc_u64 s[2:3], s[2:3], 8
	v_movrels_b32_e32 v134, v34
	v_dual_fmac_f32 v132, v133, v139 :: v_dual_add_nc_u32 v133, s2, v130
	s_add_co_i32 s8, s2, -7
	s_wait_dscnt 0x0
	s_delay_alu instid0(VALU_DEP_1) | instskip(NEXT) | instid1(VALU_DEP_2)
	v_fmac_f32_e32 v132, v128, v140
	v_cmp_eq_u32_e32 vcc_lo, 14, v133
	s_delay_alu instid0(VALU_DEP_2) | instskip(SKIP_1) | instid1(SALU_CYCLE_1)
	v_dual_mov_b32 v128, s8 :: v_dual_fmac_f32 v132, v134, v141
	s_or_b32 s6, vcc_lo, s6
	s_and_not1_b32 exec_lo, exec_lo, s6
	s_cbranch_execnz .LBB30_361
; %bb.362:
	s_or_b32 exec_lo, exec_lo, s6
.LBB30_363:
	s_delay_alu instid0(SALU_CYCLE_1) | instskip(SKIP_3) | instid1(VALU_DEP_1)
	s_or_b32 exec_lo, exec_lo, s1
	v_and_b32_e32 v65, 7, v129
	s_mov_b32 s2, 0
	s_mov_b32 s1, exec_lo
	v_cmpx_ne_u32_e32 0, v65
	s_cbranch_execz .LBB30_367
; %bb.364:
	v_lshl_add_u32 v130, v128, 2, 0x80
	v_mov_b32_e32 v129, 0
.LBB30_365:                             ; =>This Inner Loop Header: Depth=1
	v_cmp_eq_u32_e32 vcc_lo, 1, v128
	ds_load_b32 v134, v130
	v_dual_add_nc_u32 v65, -1, v65 :: v_dual_add_nc_u32 v130, 4, v130
	v_cndmask_b32_e32 v133, v34, v35, vcc_lo
	v_cmp_eq_u32_e32 vcc_lo, 2, v128
	s_delay_alu instid0(VALU_DEP_2) | instskip(SKIP_1) | instid1(VALU_DEP_2)
	v_cndmask_b32_e32 v133, v133, v36, vcc_lo
	v_cmp_eq_u32_e32 vcc_lo, 3, v128
	v_cndmask_b32_e32 v133, v133, v37, vcc_lo
	v_cmp_eq_u32_e32 vcc_lo, 4, v128
	s_delay_alu instid0(VALU_DEP_2) | instskip(SKIP_1) | instid1(VALU_DEP_2)
	v_cndmask_b32_e32 v133, v133, v38, vcc_lo
	v_cmp_eq_u32_e32 vcc_lo, 5, v128
	;; [unrolled: 5-line block ×14, first 2 shown]
	v_cndmask_b32_e32 v133, v133, v63, vcc_lo
	v_cmp_eq_u32_e32 vcc_lo, 30, v128
	v_add_nc_u64_e32 v[128:129], 1, v[128:129]
	s_delay_alu instid0(VALU_DEP_3) | instskip(SKIP_2) | instid1(VALU_DEP_2)
	v_cndmask_b32_e32 v133, v133, v64, vcc_lo
	v_cmp_eq_u32_e32 vcc_lo, 0, v65
	s_wait_dscnt 0x0
	v_fmac_f32_e32 v132, v133, v134
	s_or_b32 s2, vcc_lo, s2
	s_delay_alu instid0(SALU_CYCLE_1)
	s_and_not1_b32 exec_lo, exec_lo, s2
	s_cbranch_execnz .LBB30_365
; %bb.366:
	s_or_b32 exec_lo, exec_lo, s2
.LBB30_367:
	s_delay_alu instid0(SALU_CYCLE_1)
	s_or_b32 exec_lo, exec_lo, s1
.LBB30_368:
	s_delay_alu instid0(SALU_CYCLE_1)
	s_or_b32 exec_lo, exec_lo, s5
	v_mov_b32_e32 v40, 0
	ds_load_b32 v40, v40 offset:24
	s_wait_dscnt 0x0
	v_mul_f32_e32 v40, v132, v40
.LBB30_369:
	s_or_b32 exec_lo, exec_lo, s4
	v_cmp_lt_u32_e64 s1, 5, v0
	ds_store_b32 v131, v39
	s_wait_dscnt 0x0
	s_barrier_signal -1
	s_barrier_wait -1
	s_and_saveexec_b32 s4, s1
	s_cbranch_execz .LBB30_385
; %bb.370:
	s_and_not1_b32 vcc_lo, exec_lo, s31
	s_cbranch_vccnz .LBB30_372
; %bb.371:
	v_cmp_eq_u32_e32 vcc_lo, 1, v0
	ds_load_b32 v129, v131
	v_cndmask_b32_e32 v128, v34, v35, vcc_lo
	v_cmp_eq_u32_e32 vcc_lo, 2, v0
	s_delay_alu instid0(VALU_DEP_2) | instskip(SKIP_1) | instid1(VALU_DEP_2)
	v_cndmask_b32_e32 v128, v128, v36, vcc_lo
	v_cmp_eq_u32_e32 vcc_lo, 3, v0
	v_cndmask_b32_e32 v128, v128, v37, vcc_lo
	v_cmp_eq_u32_e32 vcc_lo, 4, v0
	s_delay_alu instid0(VALU_DEP_2) | instskip(SKIP_1) | instid1(VALU_DEP_2)
	v_cndmask_b32_e32 v128, v128, v38, vcc_lo
	v_cmp_eq_u32_e32 vcc_lo, 5, v0
	;; [unrolled: 5-line block ×14, first 2 shown]
	v_cndmask_b32_e32 v128, v128, v63, vcc_lo
	v_cmp_eq_u32_e32 vcc_lo, 30, v0
	s_delay_alu instid0(VALU_DEP_2) | instskip(SKIP_1) | instid1(VALU_DEP_1)
	v_cndmask_b32_e32 v128, v128, v64, vcc_lo
	s_wait_dscnt 0x0
	v_mul_f32_e32 v132, v128, v129
	s_cbranch_execz .LBB30_373
	s_branch .LBB30_374
.LBB30_372:
                                        ; implicit-def: $vgpr132
.LBB30_373:
	ds_load_b32 v132, v131
.LBB30_374:
	s_and_saveexec_b32 s5, s0
	s_cbranch_execz .LBB30_384
; %bb.375:
	v_dual_add_nc_u32 v130, -7, v0 :: v_dual_add_nc_u32 v129, -6, v0
	v_mov_b32_e32 v128, 6
	s_mov_b32 s0, exec_lo
	s_delay_alu instid0(VALU_DEP_2)
	v_cmpx_lt_u32_e32 6, v130
	s_cbranch_execz .LBB30_379
; %bb.376:
	v_and_b32_e32 v128, -8, v129
	s_mov_b32 s6, 0
	s_mov_b64 s[2:3], 13
	s_movk_i32 s7, 0x98
	s_delay_alu instid0(VALU_DEP_1)
	v_sub_nc_u32_e32 v130, 0, v128
.LBB30_377:                             ; =>This Inner Loop Header: Depth=1
	s_add_co_i32 m0, s2, -7
	v_movrels_b32_e32 v133, v34
	v_mov_b32_e32 v128, s7
	s_add_co_i32 m0, s2, -6
	s_add_co_i32 s7, s7, 32
	v_movrels_b32_e32 v142, v34
	s_add_co_i32 m0, s2, -5
	ds_load_2addr_b64 v[134:137], v128 offset1:1
	ds_load_2addr_b64 v[138:141], v128 offset0:2 offset1:3
	v_movrels_b32_e32 v128, v34
	s_add_co_i32 m0, s2, -4
	s_wait_dscnt 0x1
	v_fmac_f32_e32 v132, v133, v134
	v_movrels_b32_e32 v133, v34
	s_add_co_i32 m0, s2, -3
	s_delay_alu instid0(VALU_DEP_2) | instskip(NEXT) | instid1(VALU_DEP_1)
	v_fmac_f32_e32 v132, v142, v135
	v_fmac_f32_e32 v132, v128, v136
	v_movrels_b32_e32 v128, v34
	s_add_co_i32 m0, s2, -2
	s_delay_alu instid0(VALU_DEP_2) | instskip(SKIP_3) | instid1(VALU_DEP_2)
	v_fmac_f32_e32 v132, v133, v137
	v_movrels_b32_e32 v133, v34
	s_add_co_i32 m0, s2, -1
	s_wait_dscnt 0x0
	v_fmac_f32_e32 v132, v128, v138
	v_movrels_b32_e32 v128, v34
	s_mov_b32 m0, s2
	s_add_nc_u64 s[2:3], s[2:3], 8
	v_movrels_b32_e32 v134, v34
	v_dual_fmac_f32 v132, v133, v139 :: v_dual_add_nc_u32 v133, s2, v130
	s_add_co_i32 s8, s2, -7
	s_delay_alu instid0(VALU_DEP_1) | instskip(NEXT) | instid1(VALU_DEP_2)
	v_fmac_f32_e32 v132, v128, v140
	v_cmp_eq_u32_e32 vcc_lo, 13, v133
	s_delay_alu instid0(VALU_DEP_2) | instskip(SKIP_1) | instid1(SALU_CYCLE_1)
	v_dual_mov_b32 v128, s8 :: v_dual_fmac_f32 v132, v134, v141
	s_or_b32 s6, vcc_lo, s6
	s_and_not1_b32 exec_lo, exec_lo, s6
	s_cbranch_execnz .LBB30_377
; %bb.378:
	s_or_b32 exec_lo, exec_lo, s6
.LBB30_379:
	s_delay_alu instid0(SALU_CYCLE_1) | instskip(SKIP_3) | instid1(VALU_DEP_1)
	s_or_b32 exec_lo, exec_lo, s0
	v_and_b32_e32 v65, 7, v129
	s_mov_b32 s2, 0
	s_mov_b32 s0, exec_lo
	v_cmpx_ne_u32_e32 0, v65
	s_cbranch_execz .LBB30_383
; %bb.380:
	v_lshl_add_u32 v130, v128, 2, 0x80
	v_mov_b32_e32 v129, 0
.LBB30_381:                             ; =>This Inner Loop Header: Depth=1
	v_cmp_eq_u32_e32 vcc_lo, 1, v128
	ds_load_b32 v134, v130
	v_dual_add_nc_u32 v65, -1, v65 :: v_dual_add_nc_u32 v130, 4, v130
	v_cndmask_b32_e32 v133, v34, v35, vcc_lo
	v_cmp_eq_u32_e32 vcc_lo, 2, v128
	s_delay_alu instid0(VALU_DEP_2) | instskip(SKIP_1) | instid1(VALU_DEP_2)
	v_cndmask_b32_e32 v133, v133, v36, vcc_lo
	v_cmp_eq_u32_e32 vcc_lo, 3, v128
	v_cndmask_b32_e32 v133, v133, v37, vcc_lo
	v_cmp_eq_u32_e32 vcc_lo, 4, v128
	s_delay_alu instid0(VALU_DEP_2) | instskip(SKIP_1) | instid1(VALU_DEP_2)
	v_cndmask_b32_e32 v133, v133, v38, vcc_lo
	v_cmp_eq_u32_e32 vcc_lo, 5, v128
	;; [unrolled: 5-line block ×14, first 2 shown]
	v_cndmask_b32_e32 v133, v133, v63, vcc_lo
	v_cmp_eq_u32_e32 vcc_lo, 30, v128
	v_add_nc_u64_e32 v[128:129], 1, v[128:129]
	s_delay_alu instid0(VALU_DEP_3) | instskip(SKIP_2) | instid1(VALU_DEP_2)
	v_cndmask_b32_e32 v133, v133, v64, vcc_lo
	v_cmp_eq_u32_e32 vcc_lo, 0, v65
	s_wait_dscnt 0x0
	v_fmac_f32_e32 v132, v133, v134
	s_or_b32 s2, vcc_lo, s2
	s_delay_alu instid0(SALU_CYCLE_1)
	s_and_not1_b32 exec_lo, exec_lo, s2
	s_cbranch_execnz .LBB30_381
; %bb.382:
	s_or_b32 exec_lo, exec_lo, s2
.LBB30_383:
	s_delay_alu instid0(SALU_CYCLE_1)
	s_or_b32 exec_lo, exec_lo, s0
.LBB30_384:
	s_delay_alu instid0(SALU_CYCLE_1)
	s_or_b32 exec_lo, exec_lo, s5
	v_mov_b32_e32 v39, 0
	ds_load_b32 v39, v39 offset:20
	s_wait_dscnt 0x0
	v_mul_f32_e32 v39, v132, v39
.LBB30_385:
	s_or_b32 exec_lo, exec_lo, s4
	v_cmp_lt_u32_e64 s0, 4, v0
	ds_store_b32 v131, v38
	s_wait_dscnt 0x0
	s_barrier_signal -1
	s_barrier_wait -1
	s_and_saveexec_b32 s4, s0
	s_cbranch_execz .LBB30_401
; %bb.386:
	s_and_not1_b32 vcc_lo, exec_lo, s31
	s_cbranch_vccnz .LBB30_388
; %bb.387:
	v_cmp_eq_u32_e32 vcc_lo, 1, v0
	ds_load_b32 v129, v131
	v_cndmask_b32_e32 v128, v34, v35, vcc_lo
	v_cmp_eq_u32_e32 vcc_lo, 2, v0
	s_delay_alu instid0(VALU_DEP_2) | instskip(SKIP_1) | instid1(VALU_DEP_2)
	v_cndmask_b32_e32 v128, v128, v36, vcc_lo
	v_cmp_eq_u32_e32 vcc_lo, 3, v0
	v_cndmask_b32_e32 v128, v128, v37, vcc_lo
	v_cmp_eq_u32_e32 vcc_lo, 4, v0
	s_delay_alu instid0(VALU_DEP_2) | instskip(SKIP_1) | instid1(VALU_DEP_2)
	v_cndmask_b32_e32 v128, v128, v38, vcc_lo
	v_cmp_eq_u32_e32 vcc_lo, 5, v0
	;; [unrolled: 5-line block ×14, first 2 shown]
	v_cndmask_b32_e32 v128, v128, v63, vcc_lo
	v_cmp_eq_u32_e32 vcc_lo, 30, v0
	s_delay_alu instid0(VALU_DEP_2) | instskip(SKIP_1) | instid1(VALU_DEP_1)
	v_cndmask_b32_e32 v128, v128, v64, vcc_lo
	s_wait_dscnt 0x0
	v_mul_f32_e32 v132, v128, v129
	s_cbranch_execz .LBB30_389
	s_branch .LBB30_390
.LBB30_388:
                                        ; implicit-def: $vgpr132
.LBB30_389:
	ds_load_b32 v132, v131
.LBB30_390:
	s_and_saveexec_b32 s5, s1
	s_cbranch_execz .LBB30_400
; %bb.391:
	v_dual_add_nc_u32 v128, -6, v0 :: v_dual_add_nc_u32 v129, -5, v0
	s_delay_alu instid0(VALU_DEP_1)
	v_cmp_lt_u32_e32 vcc_lo, 6, v128
	v_mov_b32_e32 v128, 5
	s_and_saveexec_b32 s1, vcc_lo
	s_cbranch_execz .LBB30_395
; %bb.392:
	v_and_b32_e32 v128, -8, v129
	s_mov_b32 s6, 0
	s_mov_b64 s[2:3], 12
	s_movk_i32 s7, 0x94
	s_delay_alu instid0(VALU_DEP_1)
	v_sub_nc_u32_e32 v130, 0, v128
.LBB30_393:                             ; =>This Inner Loop Header: Depth=1
	s_add_co_i32 m0, s2, -7
	v_movrels_b32_e32 v133, v34
	v_mov_b32_e32 v128, s7
	s_add_co_i32 m0, s2, -6
	s_add_co_i32 s7, s7, 32
	v_movrels_b32_e32 v142, v34
	ds_load_2addr_b32 v[134:135], v128 offset1:1
	ds_load_2addr_b32 v[136:137], v128 offset0:2 offset1:3
	s_add_co_i32 m0, s2, -5
	s_wait_dscnt 0x1
	v_fmac_f32_e32 v132, v133, v134
	ds_load_2addr_b32 v[138:139], v128 offset0:4 offset1:5
	ds_load_2addr_b32 v[140:141], v128 offset0:6 offset1:7
	v_movrels_b32_e32 v128, v34
	s_add_co_i32 m0, s2, -4
	v_fmac_f32_e32 v132, v142, v135
	v_movrels_b32_e32 v133, v34
	s_add_co_i32 m0, s2, -3
	s_wait_dscnt 0x2
	s_delay_alu instid0(VALU_DEP_2) | instskip(SKIP_2) | instid1(VALU_DEP_2)
	v_fmac_f32_e32 v132, v128, v136
	v_movrels_b32_e32 v128, v34
	s_add_co_i32 m0, s2, -2
	v_fmac_f32_e32 v132, v133, v137
	v_movrels_b32_e32 v133, v34
	s_add_co_i32 m0, s2, -1
	s_wait_dscnt 0x1
	s_delay_alu instid0(VALU_DEP_2)
	v_fmac_f32_e32 v132, v128, v138
	v_movrels_b32_e32 v128, v34
	s_mov_b32 m0, s2
	s_add_nc_u64 s[2:3], s[2:3], 8
	v_movrels_b32_e32 v134, v34
	v_dual_fmac_f32 v132, v133, v139 :: v_dual_add_nc_u32 v133, s2, v130
	s_add_co_i32 s8, s2, -7
	s_wait_dscnt 0x0
	s_delay_alu instid0(VALU_DEP_1) | instskip(NEXT) | instid1(VALU_DEP_2)
	v_fmac_f32_e32 v132, v128, v140
	v_cmp_eq_u32_e32 vcc_lo, 12, v133
	s_delay_alu instid0(VALU_DEP_2) | instskip(SKIP_1) | instid1(SALU_CYCLE_1)
	v_dual_mov_b32 v128, s8 :: v_dual_fmac_f32 v132, v134, v141
	s_or_b32 s6, vcc_lo, s6
	s_and_not1_b32 exec_lo, exec_lo, s6
	s_cbranch_execnz .LBB30_393
; %bb.394:
	s_or_b32 exec_lo, exec_lo, s6
.LBB30_395:
	s_delay_alu instid0(SALU_CYCLE_1) | instskip(SKIP_3) | instid1(VALU_DEP_1)
	s_or_b32 exec_lo, exec_lo, s1
	v_and_b32_e32 v65, 7, v129
	s_mov_b32 s2, 0
	s_mov_b32 s1, exec_lo
	v_cmpx_ne_u32_e32 0, v65
	s_cbranch_execz .LBB30_399
; %bb.396:
	v_lshl_add_u32 v130, v128, 2, 0x80
	v_mov_b32_e32 v129, 0
.LBB30_397:                             ; =>This Inner Loop Header: Depth=1
	v_cmp_eq_u32_e32 vcc_lo, 1, v128
	ds_load_b32 v134, v130
	v_dual_add_nc_u32 v65, -1, v65 :: v_dual_add_nc_u32 v130, 4, v130
	v_cndmask_b32_e32 v133, v34, v35, vcc_lo
	v_cmp_eq_u32_e32 vcc_lo, 2, v128
	s_delay_alu instid0(VALU_DEP_2) | instskip(SKIP_1) | instid1(VALU_DEP_2)
	v_cndmask_b32_e32 v133, v133, v36, vcc_lo
	v_cmp_eq_u32_e32 vcc_lo, 3, v128
	v_cndmask_b32_e32 v133, v133, v37, vcc_lo
	v_cmp_eq_u32_e32 vcc_lo, 4, v128
	s_delay_alu instid0(VALU_DEP_2) | instskip(SKIP_1) | instid1(VALU_DEP_2)
	v_cndmask_b32_e32 v133, v133, v38, vcc_lo
	v_cmp_eq_u32_e32 vcc_lo, 5, v128
	;; [unrolled: 5-line block ×14, first 2 shown]
	v_cndmask_b32_e32 v133, v133, v63, vcc_lo
	v_cmp_eq_u32_e32 vcc_lo, 30, v128
	v_add_nc_u64_e32 v[128:129], 1, v[128:129]
	s_delay_alu instid0(VALU_DEP_3) | instskip(SKIP_2) | instid1(VALU_DEP_2)
	v_cndmask_b32_e32 v133, v133, v64, vcc_lo
	v_cmp_eq_u32_e32 vcc_lo, 0, v65
	s_wait_dscnt 0x0
	v_fmac_f32_e32 v132, v133, v134
	s_or_b32 s2, vcc_lo, s2
	s_delay_alu instid0(SALU_CYCLE_1)
	s_and_not1_b32 exec_lo, exec_lo, s2
	s_cbranch_execnz .LBB30_397
; %bb.398:
	s_or_b32 exec_lo, exec_lo, s2
.LBB30_399:
	s_delay_alu instid0(SALU_CYCLE_1)
	s_or_b32 exec_lo, exec_lo, s1
.LBB30_400:
	s_delay_alu instid0(SALU_CYCLE_1)
	s_or_b32 exec_lo, exec_lo, s5
	v_mov_b32_e32 v38, 0
	ds_load_b32 v38, v38 offset:16
	s_wait_dscnt 0x0
	v_mul_f32_e32 v38, v132, v38
.LBB30_401:
	s_or_b32 exec_lo, exec_lo, s4
	v_cmp_lt_u32_e64 s1, 3, v0
	ds_store_b32 v131, v37
	s_wait_dscnt 0x0
	s_barrier_signal -1
	s_barrier_wait -1
	s_and_saveexec_b32 s4, s1
	s_cbranch_execz .LBB30_417
; %bb.402:
	s_and_not1_b32 vcc_lo, exec_lo, s31
	s_cbranch_vccnz .LBB30_404
; %bb.403:
	v_cmp_eq_u32_e32 vcc_lo, 1, v0
	ds_load_b32 v129, v131
	v_cndmask_b32_e32 v128, v34, v35, vcc_lo
	v_cmp_eq_u32_e32 vcc_lo, 2, v0
	s_delay_alu instid0(VALU_DEP_2) | instskip(SKIP_1) | instid1(VALU_DEP_2)
	v_cndmask_b32_e32 v128, v128, v36, vcc_lo
	v_cmp_eq_u32_e32 vcc_lo, 3, v0
	v_cndmask_b32_e32 v128, v128, v37, vcc_lo
	v_cmp_eq_u32_e32 vcc_lo, 4, v0
	s_delay_alu instid0(VALU_DEP_2) | instskip(SKIP_1) | instid1(VALU_DEP_2)
	v_cndmask_b32_e32 v128, v128, v38, vcc_lo
	v_cmp_eq_u32_e32 vcc_lo, 5, v0
	;; [unrolled: 5-line block ×14, first 2 shown]
	v_cndmask_b32_e32 v128, v128, v63, vcc_lo
	v_cmp_eq_u32_e32 vcc_lo, 30, v0
	s_delay_alu instid0(VALU_DEP_2) | instskip(SKIP_1) | instid1(VALU_DEP_1)
	v_cndmask_b32_e32 v128, v128, v64, vcc_lo
	s_wait_dscnt 0x0
	v_mul_f32_e32 v132, v128, v129
	s_cbranch_execz .LBB30_405
	s_branch .LBB30_406
.LBB30_404:
                                        ; implicit-def: $vgpr132
.LBB30_405:
	ds_load_b32 v132, v131
.LBB30_406:
	s_and_saveexec_b32 s5, s0
	s_cbranch_execz .LBB30_416
; %bb.407:
	v_dual_add_nc_u32 v128, -5, v0 :: v_dual_add_nc_u32 v129, -4, v0
	s_delay_alu instid0(VALU_DEP_1)
	v_cmp_lt_u32_e32 vcc_lo, 6, v128
	v_mov_b32_e32 v128, 4
	s_and_saveexec_b32 s0, vcc_lo
	s_cbranch_execz .LBB30_411
; %bb.408:
	v_and_b32_e32 v128, -8, v129
	s_mov_b32 s6, 0
	s_mov_b64 s[2:3], 5
	s_movk_i32 s7, 0x90
	s_delay_alu instid0(VALU_DEP_1)
	v_sub_nc_u32_e32 v130, 0, v128
.LBB30_409:                             ; =>This Inner Loop Header: Depth=1
	s_add_co_i32 m0, s2, -1
	v_movrels_b32_e32 v133, v34
	v_mov_b32_e32 v128, s7
	s_mov_b32 m0, s2
	s_add_co_i32 s7, s7, 32
	v_movrels_b32_e32 v142, v34
	s_add_co_i32 m0, s2, 1
	ds_load_b128 v[134:137], v128
	ds_load_b128 v[138:141], v128 offset:16
	v_movrels_b32_e32 v128, v34
	s_add_co_i32 m0, s2, 2
	s_wait_dscnt 0x1
	v_fmac_f32_e32 v132, v133, v134
	v_movrels_b32_e32 v133, v34
	s_add_co_i32 m0, s2, 3
	s_delay_alu instid0(VALU_DEP_2) | instskip(NEXT) | instid1(VALU_DEP_1)
	v_fmac_f32_e32 v132, v142, v135
	v_fmac_f32_e32 v132, v128, v136
	v_movrels_b32_e32 v128, v34
	s_add_co_i32 m0, s2, 4
	s_delay_alu instid0(VALU_DEP_2) | instskip(SKIP_3) | instid1(VALU_DEP_2)
	v_fmac_f32_e32 v132, v133, v137
	v_movrels_b32_e32 v133, v34
	s_add_co_i32 m0, s2, 5
	s_wait_dscnt 0x0
	v_fmac_f32_e32 v132, v128, v138
	v_movrels_b32_e32 v128, v34
	s_add_co_i32 m0, s2, 6
	s_add_nc_u64 s[2:3], s[2:3], 8
	v_movrels_b32_e32 v134, v34
	v_dual_fmac_f32 v132, v133, v139 :: v_dual_add_nc_u32 v133, s2, v130
	s_add_co_i32 s8, s2, -1
	s_delay_alu instid0(VALU_DEP_1) | instskip(NEXT) | instid1(VALU_DEP_2)
	v_fmac_f32_e32 v132, v128, v140
	v_cmp_eq_u32_e32 vcc_lo, 5, v133
	s_delay_alu instid0(VALU_DEP_2) | instskip(SKIP_1) | instid1(SALU_CYCLE_1)
	v_dual_mov_b32 v128, s8 :: v_dual_fmac_f32 v132, v134, v141
	s_or_b32 s6, vcc_lo, s6
	s_and_not1_b32 exec_lo, exec_lo, s6
	s_cbranch_execnz .LBB30_409
; %bb.410:
	s_or_b32 exec_lo, exec_lo, s6
.LBB30_411:
	s_delay_alu instid0(SALU_CYCLE_1) | instskip(SKIP_3) | instid1(VALU_DEP_1)
	s_or_b32 exec_lo, exec_lo, s0
	v_and_b32_e32 v65, 7, v129
	s_mov_b32 s2, 0
	s_mov_b32 s0, exec_lo
	v_cmpx_ne_u32_e32 0, v65
	s_cbranch_execz .LBB30_415
; %bb.412:
	v_lshl_add_u32 v130, v128, 2, 0x80
	v_mov_b32_e32 v129, 0
.LBB30_413:                             ; =>This Inner Loop Header: Depth=1
	v_cmp_eq_u32_e32 vcc_lo, 1, v128
	ds_load_b32 v134, v130
	v_dual_add_nc_u32 v65, -1, v65 :: v_dual_add_nc_u32 v130, 4, v130
	v_cndmask_b32_e32 v133, v34, v35, vcc_lo
	v_cmp_eq_u32_e32 vcc_lo, 2, v128
	s_delay_alu instid0(VALU_DEP_2) | instskip(SKIP_1) | instid1(VALU_DEP_2)
	v_cndmask_b32_e32 v133, v133, v36, vcc_lo
	v_cmp_eq_u32_e32 vcc_lo, 3, v128
	v_cndmask_b32_e32 v133, v133, v37, vcc_lo
	v_cmp_eq_u32_e32 vcc_lo, 4, v128
	s_delay_alu instid0(VALU_DEP_2) | instskip(SKIP_1) | instid1(VALU_DEP_2)
	v_cndmask_b32_e32 v133, v133, v38, vcc_lo
	v_cmp_eq_u32_e32 vcc_lo, 5, v128
	;; [unrolled: 5-line block ×14, first 2 shown]
	v_cndmask_b32_e32 v133, v133, v63, vcc_lo
	v_cmp_eq_u32_e32 vcc_lo, 30, v128
	v_add_nc_u64_e32 v[128:129], 1, v[128:129]
	s_delay_alu instid0(VALU_DEP_3) | instskip(SKIP_2) | instid1(VALU_DEP_2)
	v_cndmask_b32_e32 v133, v133, v64, vcc_lo
	v_cmp_eq_u32_e32 vcc_lo, 0, v65
	s_wait_dscnt 0x0
	v_fmac_f32_e32 v132, v133, v134
	s_or_b32 s2, vcc_lo, s2
	s_delay_alu instid0(SALU_CYCLE_1)
	s_and_not1_b32 exec_lo, exec_lo, s2
	s_cbranch_execnz .LBB30_413
; %bb.414:
	s_or_b32 exec_lo, exec_lo, s2
.LBB30_415:
	s_delay_alu instid0(SALU_CYCLE_1)
	s_or_b32 exec_lo, exec_lo, s0
.LBB30_416:
	s_delay_alu instid0(SALU_CYCLE_1)
	s_or_b32 exec_lo, exec_lo, s5
	v_mov_b32_e32 v37, 0
	ds_load_b32 v37, v37 offset:12
	s_wait_dscnt 0x0
	v_mul_f32_e32 v37, v132, v37
.LBB30_417:
	s_or_b32 exec_lo, exec_lo, s4
	v_cmp_lt_u32_e64 s0, 2, v0
	ds_store_b32 v131, v36
	s_wait_dscnt 0x0
	s_barrier_signal -1
	s_barrier_wait -1
	s_and_saveexec_b32 s4, s0
	s_cbranch_execz .LBB30_433
; %bb.418:
	s_and_not1_b32 vcc_lo, exec_lo, s31
	s_cbranch_vccnz .LBB30_420
; %bb.419:
	v_cmp_eq_u32_e32 vcc_lo, 1, v0
	ds_load_b32 v129, v131
	v_cndmask_b32_e32 v128, v34, v35, vcc_lo
	v_cmp_eq_u32_e32 vcc_lo, 2, v0
	s_delay_alu instid0(VALU_DEP_2) | instskip(SKIP_1) | instid1(VALU_DEP_2)
	v_cndmask_b32_e32 v128, v128, v36, vcc_lo
	v_cmp_eq_u32_e32 vcc_lo, 3, v0
	v_cndmask_b32_e32 v128, v128, v37, vcc_lo
	v_cmp_eq_u32_e32 vcc_lo, 4, v0
	s_delay_alu instid0(VALU_DEP_2) | instskip(SKIP_1) | instid1(VALU_DEP_2)
	v_cndmask_b32_e32 v128, v128, v38, vcc_lo
	v_cmp_eq_u32_e32 vcc_lo, 5, v0
	;; [unrolled: 5-line block ×14, first 2 shown]
	v_cndmask_b32_e32 v128, v128, v63, vcc_lo
	v_cmp_eq_u32_e32 vcc_lo, 30, v0
	s_delay_alu instid0(VALU_DEP_2) | instskip(SKIP_1) | instid1(VALU_DEP_1)
	v_cndmask_b32_e32 v128, v128, v64, vcc_lo
	s_wait_dscnt 0x0
	v_mul_f32_e32 v132, v128, v129
	s_cbranch_execz .LBB30_421
	s_branch .LBB30_422
.LBB30_420:
                                        ; implicit-def: $vgpr132
.LBB30_421:
	ds_load_b32 v132, v131
.LBB30_422:
	s_and_saveexec_b32 s5, s1
	s_cbranch_execz .LBB30_432
; %bb.423:
	v_dual_add_nc_u32 v128, -4, v0 :: v_dual_add_nc_u32 v129, -3, v0
	s_delay_alu instid0(VALU_DEP_1)
	v_cmp_lt_u32_e32 vcc_lo, 6, v128
	v_mov_b32_e32 v128, 3
	s_and_saveexec_b32 s1, vcc_lo
	s_cbranch_execz .LBB30_427
; %bb.424:
	v_and_b32_e32 v128, -8, v129
	s_mov_b32 s6, 0
	s_mov_b64 s[2:3], 10
	s_movk_i32 s7, 0x8c
	s_delay_alu instid0(VALU_DEP_1)
	v_sub_nc_u32_e32 v130, 0, v128
.LBB30_425:                             ; =>This Inner Loop Header: Depth=1
	s_add_co_i32 m0, s2, -7
	v_movrels_b32_e32 v133, v34
	v_mov_b32_e32 v128, s7
	s_add_co_i32 m0, s2, -6
	s_add_co_i32 s7, s7, 32
	v_movrels_b32_e32 v142, v34
	ds_load_2addr_b32 v[134:135], v128 offset1:1
	ds_load_2addr_b32 v[136:137], v128 offset0:2 offset1:3
	s_add_co_i32 m0, s2, -5
	s_wait_dscnt 0x1
	v_fmac_f32_e32 v132, v133, v134
	ds_load_2addr_b32 v[138:139], v128 offset0:4 offset1:5
	ds_load_2addr_b32 v[140:141], v128 offset0:6 offset1:7
	v_movrels_b32_e32 v128, v34
	s_add_co_i32 m0, s2, -4
	v_fmac_f32_e32 v132, v142, v135
	v_movrels_b32_e32 v133, v34
	s_add_co_i32 m0, s2, -3
	s_wait_dscnt 0x2
	s_delay_alu instid0(VALU_DEP_2) | instskip(SKIP_2) | instid1(VALU_DEP_2)
	v_fmac_f32_e32 v132, v128, v136
	v_movrels_b32_e32 v128, v34
	s_add_co_i32 m0, s2, -2
	v_fmac_f32_e32 v132, v133, v137
	v_movrels_b32_e32 v133, v34
	s_add_co_i32 m0, s2, -1
	s_wait_dscnt 0x1
	s_delay_alu instid0(VALU_DEP_2)
	v_fmac_f32_e32 v132, v128, v138
	v_movrels_b32_e32 v128, v34
	s_mov_b32 m0, s2
	s_add_nc_u64 s[2:3], s[2:3], 8
	v_movrels_b32_e32 v134, v34
	v_dual_fmac_f32 v132, v133, v139 :: v_dual_add_nc_u32 v133, s2, v130
	s_add_co_i32 s8, s2, -7
	s_wait_dscnt 0x0
	s_delay_alu instid0(VALU_DEP_1) | instskip(NEXT) | instid1(VALU_DEP_2)
	v_fmac_f32_e32 v132, v128, v140
	v_cmp_eq_u32_e32 vcc_lo, 10, v133
	s_delay_alu instid0(VALU_DEP_2) | instskip(SKIP_1) | instid1(SALU_CYCLE_1)
	v_dual_mov_b32 v128, s8 :: v_dual_fmac_f32 v132, v134, v141
	s_or_b32 s6, vcc_lo, s6
	s_and_not1_b32 exec_lo, exec_lo, s6
	s_cbranch_execnz .LBB30_425
; %bb.426:
	s_or_b32 exec_lo, exec_lo, s6
.LBB30_427:
	s_delay_alu instid0(SALU_CYCLE_1) | instskip(SKIP_3) | instid1(VALU_DEP_1)
	s_or_b32 exec_lo, exec_lo, s1
	v_and_b32_e32 v65, 7, v129
	s_mov_b32 s2, 0
	s_mov_b32 s1, exec_lo
	v_cmpx_ne_u32_e32 0, v65
	s_cbranch_execz .LBB30_431
; %bb.428:
	v_lshl_add_u32 v130, v128, 2, 0x80
	v_mov_b32_e32 v129, 0
.LBB30_429:                             ; =>This Inner Loop Header: Depth=1
	v_cmp_eq_u32_e32 vcc_lo, 1, v128
	ds_load_b32 v134, v130
	v_dual_add_nc_u32 v65, -1, v65 :: v_dual_add_nc_u32 v130, 4, v130
	v_cndmask_b32_e32 v133, v34, v35, vcc_lo
	v_cmp_eq_u32_e32 vcc_lo, 2, v128
	s_delay_alu instid0(VALU_DEP_2) | instskip(SKIP_1) | instid1(VALU_DEP_2)
	v_cndmask_b32_e32 v133, v133, v36, vcc_lo
	v_cmp_eq_u32_e32 vcc_lo, 3, v128
	v_cndmask_b32_e32 v133, v133, v37, vcc_lo
	v_cmp_eq_u32_e32 vcc_lo, 4, v128
	s_delay_alu instid0(VALU_DEP_2) | instskip(SKIP_1) | instid1(VALU_DEP_2)
	v_cndmask_b32_e32 v133, v133, v38, vcc_lo
	v_cmp_eq_u32_e32 vcc_lo, 5, v128
	;; [unrolled: 5-line block ×14, first 2 shown]
	v_cndmask_b32_e32 v133, v133, v63, vcc_lo
	v_cmp_eq_u32_e32 vcc_lo, 30, v128
	v_add_nc_u64_e32 v[128:129], 1, v[128:129]
	s_delay_alu instid0(VALU_DEP_3) | instskip(SKIP_2) | instid1(VALU_DEP_2)
	v_cndmask_b32_e32 v133, v133, v64, vcc_lo
	v_cmp_eq_u32_e32 vcc_lo, 0, v65
	s_wait_dscnt 0x0
	v_fmac_f32_e32 v132, v133, v134
	s_or_b32 s2, vcc_lo, s2
	s_delay_alu instid0(SALU_CYCLE_1)
	s_and_not1_b32 exec_lo, exec_lo, s2
	s_cbranch_execnz .LBB30_429
; %bb.430:
	s_or_b32 exec_lo, exec_lo, s2
.LBB30_431:
	s_delay_alu instid0(SALU_CYCLE_1)
	s_or_b32 exec_lo, exec_lo, s1
.LBB30_432:
	s_delay_alu instid0(SALU_CYCLE_1)
	s_or_b32 exec_lo, exec_lo, s5
	v_mov_b32_e32 v36, 0
	ds_load_b32 v36, v36 offset:8
	s_wait_dscnt 0x0
	v_mul_f32_e32 v36, v132, v36
.LBB30_433:
	s_or_b32 exec_lo, exec_lo, s4
	v_cmp_lt_u32_e64 s1, 1, v0
	ds_store_b32 v131, v35
	s_wait_dscnt 0x0
	s_barrier_signal -1
	s_barrier_wait -1
	s_and_saveexec_b32 s4, s1
	s_cbranch_execz .LBB30_449
; %bb.434:
	s_and_not1_b32 vcc_lo, exec_lo, s31
	s_cbranch_vccnz .LBB30_436
; %bb.435:
	v_cmp_eq_u32_e32 vcc_lo, 1, v0
	ds_load_b32 v129, v131
	v_cndmask_b32_e32 v128, v34, v35, vcc_lo
	v_cmp_eq_u32_e32 vcc_lo, 2, v0
	s_delay_alu instid0(VALU_DEP_2) | instskip(SKIP_1) | instid1(VALU_DEP_2)
	v_cndmask_b32_e32 v128, v128, v36, vcc_lo
	v_cmp_eq_u32_e32 vcc_lo, 3, v0
	v_cndmask_b32_e32 v128, v128, v37, vcc_lo
	v_cmp_eq_u32_e32 vcc_lo, 4, v0
	s_delay_alu instid0(VALU_DEP_2) | instskip(SKIP_1) | instid1(VALU_DEP_2)
	v_cndmask_b32_e32 v128, v128, v38, vcc_lo
	v_cmp_eq_u32_e32 vcc_lo, 5, v0
	;; [unrolled: 5-line block ×14, first 2 shown]
	v_cndmask_b32_e32 v128, v128, v63, vcc_lo
	v_cmp_eq_u32_e32 vcc_lo, 30, v0
	s_delay_alu instid0(VALU_DEP_2) | instskip(SKIP_1) | instid1(VALU_DEP_1)
	v_cndmask_b32_e32 v128, v128, v64, vcc_lo
	s_wait_dscnt 0x0
	v_mul_f32_e32 v132, v128, v129
	s_cbranch_execz .LBB30_437
	s_branch .LBB30_438
.LBB30_436:
                                        ; implicit-def: $vgpr132
.LBB30_437:
	ds_load_b32 v132, v131
.LBB30_438:
	s_and_saveexec_b32 s5, s0
	s_cbranch_execz .LBB30_448
; %bb.439:
	v_dual_add_nc_u32 v128, -3, v0 :: v_dual_add_nc_u32 v129, -2, v0
	s_delay_alu instid0(VALU_DEP_1)
	v_cmp_lt_u32_e32 vcc_lo, 6, v128
	v_mov_b32_e32 v128, 2
	s_and_saveexec_b32 s0, vcc_lo
	s_cbranch_execz .LBB30_443
; %bb.440:
	v_and_b32_e32 v128, -8, v129
	s_mov_b32 s6, 0
	s_mov_b64 s[2:3], 9
	s_movk_i32 s7, 0x88
	s_delay_alu instid0(VALU_DEP_1)
	v_sub_nc_u32_e32 v130, 0, v128
.LBB30_441:                             ; =>This Inner Loop Header: Depth=1
	s_add_co_i32 m0, s2, -7
	v_movrels_b32_e32 v133, v34
	v_mov_b32_e32 v128, s7
	s_add_co_i32 m0, s2, -6
	s_add_co_i32 s7, s7, 32
	v_movrels_b32_e32 v142, v34
	s_add_co_i32 m0, s2, -5
	ds_load_2addr_b64 v[134:137], v128 offset1:1
	ds_load_2addr_b64 v[138:141], v128 offset0:2 offset1:3
	v_movrels_b32_e32 v128, v34
	s_add_co_i32 m0, s2, -4
	s_wait_dscnt 0x1
	v_fmac_f32_e32 v132, v133, v134
	v_movrels_b32_e32 v133, v34
	s_add_co_i32 m0, s2, -3
	s_delay_alu instid0(VALU_DEP_2) | instskip(NEXT) | instid1(VALU_DEP_1)
	v_fmac_f32_e32 v132, v142, v135
	v_fmac_f32_e32 v132, v128, v136
	v_movrels_b32_e32 v128, v34
	s_add_co_i32 m0, s2, -2
	s_delay_alu instid0(VALU_DEP_2) | instskip(SKIP_3) | instid1(VALU_DEP_2)
	v_fmac_f32_e32 v132, v133, v137
	v_movrels_b32_e32 v133, v34
	s_add_co_i32 m0, s2, -1
	s_wait_dscnt 0x0
	v_fmac_f32_e32 v132, v128, v138
	v_movrels_b32_e32 v128, v34
	s_mov_b32 m0, s2
	s_add_nc_u64 s[2:3], s[2:3], 8
	v_movrels_b32_e32 v134, v34
	v_dual_fmac_f32 v132, v133, v139 :: v_dual_add_nc_u32 v133, s2, v130
	s_add_co_i32 s8, s2, -7
	s_delay_alu instid0(VALU_DEP_1) | instskip(NEXT) | instid1(VALU_DEP_2)
	v_fmac_f32_e32 v132, v128, v140
	v_cmp_eq_u32_e32 vcc_lo, 9, v133
	s_delay_alu instid0(VALU_DEP_2) | instskip(SKIP_1) | instid1(SALU_CYCLE_1)
	v_dual_mov_b32 v128, s8 :: v_dual_fmac_f32 v132, v134, v141
	s_or_b32 s6, vcc_lo, s6
	s_and_not1_b32 exec_lo, exec_lo, s6
	s_cbranch_execnz .LBB30_441
; %bb.442:
	s_or_b32 exec_lo, exec_lo, s6
.LBB30_443:
	s_delay_alu instid0(SALU_CYCLE_1) | instskip(SKIP_3) | instid1(VALU_DEP_1)
	s_or_b32 exec_lo, exec_lo, s0
	v_and_b32_e32 v65, 7, v129
	s_mov_b32 s2, 0
	s_mov_b32 s0, exec_lo
	v_cmpx_ne_u32_e32 0, v65
	s_cbranch_execz .LBB30_447
; %bb.444:
	v_lshl_add_u32 v130, v128, 2, 0x80
	v_mov_b32_e32 v129, 0
.LBB30_445:                             ; =>This Inner Loop Header: Depth=1
	v_cmp_eq_u32_e32 vcc_lo, 1, v128
	ds_load_b32 v134, v130
	v_dual_add_nc_u32 v65, -1, v65 :: v_dual_add_nc_u32 v130, 4, v130
	v_cndmask_b32_e32 v133, v34, v35, vcc_lo
	v_cmp_eq_u32_e32 vcc_lo, 2, v128
	s_delay_alu instid0(VALU_DEP_2) | instskip(SKIP_1) | instid1(VALU_DEP_2)
	v_cndmask_b32_e32 v133, v133, v36, vcc_lo
	v_cmp_eq_u32_e32 vcc_lo, 3, v128
	v_cndmask_b32_e32 v133, v133, v37, vcc_lo
	v_cmp_eq_u32_e32 vcc_lo, 4, v128
	s_delay_alu instid0(VALU_DEP_2) | instskip(SKIP_1) | instid1(VALU_DEP_2)
	v_cndmask_b32_e32 v133, v133, v38, vcc_lo
	v_cmp_eq_u32_e32 vcc_lo, 5, v128
	;; [unrolled: 5-line block ×14, first 2 shown]
	v_cndmask_b32_e32 v133, v133, v63, vcc_lo
	v_cmp_eq_u32_e32 vcc_lo, 30, v128
	v_add_nc_u64_e32 v[128:129], 1, v[128:129]
	s_delay_alu instid0(VALU_DEP_3) | instskip(SKIP_2) | instid1(VALU_DEP_2)
	v_cndmask_b32_e32 v133, v133, v64, vcc_lo
	v_cmp_eq_u32_e32 vcc_lo, 0, v65
	s_wait_dscnt 0x0
	v_fmac_f32_e32 v132, v133, v134
	s_or_b32 s2, vcc_lo, s2
	s_delay_alu instid0(SALU_CYCLE_1)
	s_and_not1_b32 exec_lo, exec_lo, s2
	s_cbranch_execnz .LBB30_445
; %bb.446:
	s_or_b32 exec_lo, exec_lo, s2
.LBB30_447:
	s_delay_alu instid0(SALU_CYCLE_1)
	s_or_b32 exec_lo, exec_lo, s0
.LBB30_448:
	s_delay_alu instid0(SALU_CYCLE_1)
	s_or_b32 exec_lo, exec_lo, s5
	v_mov_b32_e32 v35, 0
	ds_load_b32 v35, v35 offset:4
	s_wait_dscnt 0x0
	v_mul_f32_e32 v35, v132, v35
.LBB30_449:
	s_or_b32 exec_lo, exec_lo, s4
	s_mov_b32 s2, 0
	s_mov_b32 s3, exec_lo
	ds_store_b32 v131, v34
	s_wait_dscnt 0x0
	s_barrier_signal -1
	s_barrier_wait -1
	v_cmpx_ne_u32_e32 0, v0
	s_cbranch_execz .LBB30_465
; %bb.450:
	s_and_not1_b32 vcc_lo, exec_lo, s31
	s_cbranch_vccnz .LBB30_452
; %bb.451:
	v_cmp_eq_u32_e32 vcc_lo, 1, v0
	ds_load_b32 v129, v131
	v_cndmask_b32_e32 v128, v34, v35, vcc_lo
	v_cmp_eq_u32_e32 vcc_lo, 2, v0
	s_delay_alu instid0(VALU_DEP_2) | instskip(SKIP_1) | instid1(VALU_DEP_2)
	v_cndmask_b32_e32 v128, v128, v36, vcc_lo
	v_cmp_eq_u32_e32 vcc_lo, 3, v0
	v_cndmask_b32_e32 v128, v128, v37, vcc_lo
	v_cmp_eq_u32_e32 vcc_lo, 4, v0
	s_delay_alu instid0(VALU_DEP_2) | instskip(SKIP_1) | instid1(VALU_DEP_2)
	v_cndmask_b32_e32 v128, v128, v38, vcc_lo
	v_cmp_eq_u32_e32 vcc_lo, 5, v0
	;; [unrolled: 5-line block ×14, first 2 shown]
	v_cndmask_b32_e32 v128, v128, v63, vcc_lo
	v_cmp_eq_u32_e32 vcc_lo, 30, v0
	s_delay_alu instid0(VALU_DEP_2) | instskip(SKIP_1) | instid1(VALU_DEP_1)
	v_cndmask_b32_e32 v128, v128, v64, vcc_lo
	s_wait_dscnt 0x0
	v_mul_f32_e32 v132, v128, v129
	s_cbranch_execz .LBB30_453
	s_branch .LBB30_454
.LBB30_452:
                                        ; implicit-def: $vgpr132
.LBB30_453:
	ds_load_b32 v132, v131
.LBB30_454:
	s_and_saveexec_b32 s4, s1
	s_cbranch_execz .LBB30_464
; %bb.455:
	v_dual_add_nc_u32 v128, -2, v0 :: v_dual_add_nc_u32 v129, -1, v0
	s_delay_alu instid0(VALU_DEP_1)
	v_cmp_lt_u32_e32 vcc_lo, 6, v128
	v_mov_b32_e32 v128, 1
	s_and_saveexec_b32 s5, vcc_lo
	s_cbranch_execz .LBB30_459
; %bb.456:
	v_and_b32_e32 v128, -8, v129
	s_mov_b32 s6, 0
	s_mov_b64 s[0:1], 8
	s_movk_i32 s7, 0x84
	s_delay_alu instid0(VALU_DEP_1)
	v_sub_nc_u32_e32 v130, 0, v128
.LBB30_457:                             ; =>This Inner Loop Header: Depth=1
	s_add_co_i32 m0, s0, -7
	v_movrels_b32_e32 v133, v34
	v_mov_b32_e32 v128, s7
	s_add_co_i32 m0, s0, -6
	s_add_co_i32 s7, s7, 32
	v_movrels_b32_e32 v142, v34
	ds_load_2addr_b32 v[134:135], v128 offset1:1
	ds_load_2addr_b32 v[136:137], v128 offset0:2 offset1:3
	s_add_co_i32 m0, s0, -5
	s_wait_dscnt 0x1
	v_fmac_f32_e32 v132, v133, v134
	ds_load_2addr_b32 v[138:139], v128 offset0:4 offset1:5
	ds_load_2addr_b32 v[140:141], v128 offset0:6 offset1:7
	v_movrels_b32_e32 v128, v34
	s_add_co_i32 m0, s0, -4
	v_fmac_f32_e32 v132, v142, v135
	v_movrels_b32_e32 v133, v34
	s_add_co_i32 m0, s0, -3
	s_wait_dscnt 0x2
	s_delay_alu instid0(VALU_DEP_2) | instskip(SKIP_2) | instid1(VALU_DEP_2)
	v_fmac_f32_e32 v132, v128, v136
	v_movrels_b32_e32 v128, v34
	s_add_co_i32 m0, s0, -2
	v_fmac_f32_e32 v132, v133, v137
	v_movrels_b32_e32 v133, v34
	s_add_co_i32 m0, s0, -1
	s_wait_dscnt 0x1
	s_delay_alu instid0(VALU_DEP_2)
	v_fmac_f32_e32 v132, v128, v138
	v_movrels_b32_e32 v128, v34
	s_mov_b32 m0, s0
	s_add_nc_u64 s[0:1], s[0:1], 8
	v_movrels_b32_e32 v134, v34
	v_dual_fmac_f32 v132, v133, v139 :: v_dual_add_nc_u32 v133, s0, v130
	s_add_co_i32 s8, s0, -7
	s_wait_dscnt 0x0
	s_delay_alu instid0(VALU_DEP_1) | instskip(NEXT) | instid1(VALU_DEP_2)
	v_fmac_f32_e32 v132, v128, v140
	v_cmp_eq_u32_e32 vcc_lo, 8, v133
	s_delay_alu instid0(VALU_DEP_2) | instskip(SKIP_1) | instid1(SALU_CYCLE_1)
	v_dual_mov_b32 v128, s8 :: v_dual_fmac_f32 v132, v134, v141
	s_or_b32 s6, vcc_lo, s6
	s_and_not1_b32 exec_lo, exec_lo, s6
	s_cbranch_execnz .LBB30_457
; %bb.458:
	s_or_b32 exec_lo, exec_lo, s6
.LBB30_459:
	s_delay_alu instid0(SALU_CYCLE_1) | instskip(SKIP_3) | instid1(VALU_DEP_1)
	s_or_b32 exec_lo, exec_lo, s5
	v_and_b32_e32 v65, 7, v129
	s_mov_b32 s1, 0
	s_mov_b32 s0, exec_lo
	v_cmpx_ne_u32_e32 0, v65
	s_cbranch_execz .LBB30_463
; %bb.460:
	v_lshl_add_u32 v130, v128, 2, 0x80
	v_mov_b32_e32 v129, 0
.LBB30_461:                             ; =>This Inner Loop Header: Depth=1
	v_cmp_eq_u32_e32 vcc_lo, 1, v128
	ds_load_b32 v134, v130
	v_dual_add_nc_u32 v65, -1, v65 :: v_dual_add_nc_u32 v130, 4, v130
	v_cndmask_b32_e32 v133, v34, v35, vcc_lo
	v_cmp_eq_u32_e32 vcc_lo, 2, v128
	s_delay_alu instid0(VALU_DEP_2) | instskip(SKIP_1) | instid1(VALU_DEP_2)
	v_cndmask_b32_e32 v133, v133, v36, vcc_lo
	v_cmp_eq_u32_e32 vcc_lo, 3, v128
	v_cndmask_b32_e32 v133, v133, v37, vcc_lo
	v_cmp_eq_u32_e32 vcc_lo, 4, v128
	s_delay_alu instid0(VALU_DEP_2) | instskip(SKIP_1) | instid1(VALU_DEP_2)
	v_cndmask_b32_e32 v133, v133, v38, vcc_lo
	v_cmp_eq_u32_e32 vcc_lo, 5, v128
	;; [unrolled: 5-line block ×14, first 2 shown]
	v_cndmask_b32_e32 v133, v133, v63, vcc_lo
	v_cmp_eq_u32_e32 vcc_lo, 30, v128
	v_add_nc_u64_e32 v[128:129], 1, v[128:129]
	s_delay_alu instid0(VALU_DEP_3) | instskip(SKIP_2) | instid1(VALU_DEP_2)
	v_cndmask_b32_e32 v133, v133, v64, vcc_lo
	v_cmp_eq_u32_e32 vcc_lo, 0, v65
	s_wait_dscnt 0x0
	v_fmac_f32_e32 v132, v133, v134
	s_or_b32 s1, vcc_lo, s1
	s_delay_alu instid0(SALU_CYCLE_1)
	s_and_not1_b32 exec_lo, exec_lo, s1
	s_cbranch_execnz .LBB30_461
; %bb.462:
	s_or_b32 exec_lo, exec_lo, s1
.LBB30_463:
	s_delay_alu instid0(SALU_CYCLE_1)
	s_or_b32 exec_lo, exec_lo, s0
.LBB30_464:
	s_delay_alu instid0(SALU_CYCLE_1)
	s_or_b32 exec_lo, exec_lo, s4
	v_mov_b32_e32 v34, 0
	ds_load_b32 v34, v34
	s_wait_dscnt 0x0
	v_mul_f32_e32 v34, v132, v34
.LBB30_465:
	s_or_b32 exec_lo, exec_lo, s3
	s_delay_alu instid0(SALU_CYCLE_1)
	s_and_b32 vcc_lo, exec_lo, s2
	s_cbranch_vccz .LBB30_769
.LBB30_466:
	v_cmp_eq_u32_e64 s0, 0, v0
	s_wait_loadcnt 0x1e
	ds_store_b32 v131, v3
	s_wait_loadcnt_dscnt 0x0
	s_barrier_signal -1
	s_barrier_wait -1
	s_and_saveexec_b32 s1, s0
	s_cbranch_execz .LBB30_472
; %bb.467:
	s_and_b32 vcc_lo, exec_lo, s31
	s_cbranch_vccz .LBB30_469
; %bb.468:
	v_cmp_eq_u32_e32 vcc_lo, 1, v0
	ds_load_b32 v33, v131
	v_cndmask_b32_e32 v3, v2, v3, vcc_lo
	v_cmp_eq_u32_e32 vcc_lo, 2, v0
	s_delay_alu instid0(VALU_DEP_2) | instskip(SKIP_1) | instid1(VALU_DEP_2)
	v_cndmask_b32_e32 v3, v3, v4, vcc_lo
	v_cmp_eq_u32_e32 vcc_lo, 3, v0
	v_cndmask_b32_e32 v3, v3, v5, vcc_lo
	v_cmp_eq_u32_e32 vcc_lo, 4, v0
	s_delay_alu instid0(VALU_DEP_2) | instskip(SKIP_1) | instid1(VALU_DEP_2)
	v_cndmask_b32_e32 v3, v3, v6, vcc_lo
	v_cmp_eq_u32_e32 vcc_lo, 5, v0
	;; [unrolled: 5-line block ×14, first 2 shown]
	v_cndmask_b32_e32 v3, v3, v31, vcc_lo
	v_cmp_eq_u32_e32 vcc_lo, 30, v0
	s_delay_alu instid0(VALU_DEP_2) | instskip(SKIP_1) | instid1(VALU_DEP_1)
	v_cndmask_b32_e32 v3, v3, v32, vcc_lo
	s_wait_dscnt 0x0
	v_mul_f32_e32 v3, v3, v33
	s_cbranch_execz .LBB30_470
	s_branch .LBB30_471
.LBB30_469:
                                        ; implicit-def: $vgpr3
.LBB30_470:
	ds_load_b32 v3, v131
.LBB30_471:
	v_mov_b32_e32 v33, 0
	ds_load_b32 v33, v33 offset:4
	s_wait_dscnt 0x0
	v_mul_f32_e32 v3, v3, v33
.LBB30_472:
	s_or_b32 exec_lo, exec_lo, s1
	v_cndmask_b32_e64 v36, 0, 1, s31
	s_mov_b32 s1, exec_lo
	ds_store_b32 v131, v4
	s_wait_dscnt 0x0
	s_barrier_signal -1
	s_barrier_wait -1
	v_cmpx_gt_u32_e32 2, v0
	s_cbranch_execz .LBB30_478
; %bb.473:
	s_and_not1_b32 vcc_lo, exec_lo, s31
	s_cbranch_vccnz .LBB30_475
; %bb.474:
	v_cmp_eq_u32_e32 vcc_lo, 1, v0
	v_cndmask_b32_e32 v33, v2, v3, vcc_lo
	v_cmp_eq_u32_e32 vcc_lo, 2, v0
	s_delay_alu instid0(VALU_DEP_2) | instskip(SKIP_4) | instid1(VALU_DEP_2)
	v_cndmask_b32_e32 v4, v33, v4, vcc_lo
	v_cmp_eq_u32_e32 vcc_lo, 3, v0
	ds_load_b32 v33, v131
	v_cndmask_b32_e32 v4, v4, v5, vcc_lo
	v_cmp_eq_u32_e32 vcc_lo, 4, v0
	v_cndmask_b32_e32 v4, v4, v6, vcc_lo
	v_cmp_eq_u32_e32 vcc_lo, 5, v0
	s_delay_alu instid0(VALU_DEP_2) | instskip(SKIP_1) | instid1(VALU_DEP_2)
	v_cndmask_b32_e32 v4, v4, v7, vcc_lo
	v_cmp_eq_u32_e32 vcc_lo, 6, v0
	v_cndmask_b32_e32 v4, v4, v8, vcc_lo
	v_cmp_eq_u32_e32 vcc_lo, 7, v0
	s_delay_alu instid0(VALU_DEP_2) | instskip(SKIP_1) | instid1(VALU_DEP_2)
	;; [unrolled: 5-line block ×13, first 2 shown]
	v_cndmask_b32_e32 v4, v4, v31, vcc_lo
	v_cmp_eq_u32_e32 vcc_lo, 30, v0
	v_cndmask_b32_e32 v4, v4, v32, vcc_lo
	s_wait_dscnt 0x0
	s_delay_alu instid0(VALU_DEP_1)
	v_mul_f32_e32 v4, v4, v33
	s_cbranch_execz .LBB30_476
	s_branch .LBB30_477
.LBB30_475:
                                        ; implicit-def: $vgpr4
.LBB30_476:
	ds_load_b32 v4, v131
.LBB30_477:
	v_mov_b32_e32 v33, 0
	ds_load_2addr_b32 v[34:35], v33 offset0:2 offset1:33
	s_wait_dscnt 0x0
	v_fma_f32 v33, v3, v35, v4
	s_delay_alu instid0(VALU_DEP_1) | instskip(NEXT) | instid1(VALU_DEP_1)
	v_cndmask_b32_e64 v4, v4, v33, s0
	v_mul_f32_e32 v4, v4, v34
.LBB30_478:
	s_or_b32 exec_lo, exec_lo, s1
	v_add_nc_u32_e32 v37, 1, v0
	v_cmp_gt_u32_e64 s1, 3, v0
	ds_store_b32 v131, v5
	s_wait_dscnt 0x0
	s_barrier_signal -1
	s_barrier_wait -1
	s_and_saveexec_b32 s2, s1
	s_cbranch_execz .LBB30_486
; %bb.479:
	v_cmp_ne_u32_e32 vcc_lo, 1, v36
	s_cbranch_vccnz .LBB30_481
; %bb.480:
	v_cmp_eq_u32_e32 vcc_lo, 1, v0
	ds_load_b32 v34, v131
	v_cndmask_b32_e32 v33, v2, v3, vcc_lo
	v_cmp_eq_u32_e32 vcc_lo, 2, v0
	s_delay_alu instid0(VALU_DEP_2) | instskip(SKIP_1) | instid1(VALU_DEP_2)
	v_cndmask_b32_e32 v33, v33, v4, vcc_lo
	v_cmp_eq_u32_e32 vcc_lo, 3, v0
	v_cndmask_b32_e32 v33, v33, v5, vcc_lo
	v_cmp_eq_u32_e32 vcc_lo, 4, v0
	s_delay_alu instid0(VALU_DEP_2) | instskip(SKIP_1) | instid1(VALU_DEP_2)
	v_cndmask_b32_e32 v33, v33, v6, vcc_lo
	v_cmp_eq_u32_e32 vcc_lo, 5, v0
	;; [unrolled: 5-line block ×14, first 2 shown]
	v_cndmask_b32_e32 v33, v33, v31, vcc_lo
	v_cmp_eq_u32_e32 vcc_lo, 30, v0
	s_delay_alu instid0(VALU_DEP_2) | instskip(SKIP_1) | instid1(VALU_DEP_1)
	v_cndmask_b32_e32 v33, v33, v32, vcc_lo
	s_wait_dscnt 0x0
	v_mul_f32_e32 v33, v33, v34
	s_cbranch_execz .LBB30_482
	s_branch .LBB30_483
.LBB30_481:
                                        ; implicit-def: $vgpr33
.LBB30_482:
	ds_load_b32 v33, v131
.LBB30_483:
	s_mov_b32 s3, exec_lo
	v_cmpx_ne_u32_e32 2, v0
	s_cbranch_execz .LBB30_485
; %bb.484:
	v_cmp_eq_u32_e32 vcc_lo, 1, v37
	v_dual_mov_b32 v35, 0 :: v_dual_cndmask_b32 v34, v2, v3
	v_cmp_eq_u32_e32 vcc_lo, 2, v37
	ds_load_b32 v35, v35 offset:136
	v_cndmask_b32_e32 v34, v34, v4, vcc_lo
	v_cmp_eq_u32_e32 vcc_lo, 3, v37
	s_delay_alu instid0(VALU_DEP_2) | instskip(SKIP_4) | instid1(VALU_DEP_2)
	v_cndmask_b32_e32 v5, v34, v5, vcc_lo
	v_cmp_eq_u32_e32 vcc_lo, 4, v37
	ds_load_b32 v34, v131 offset:4
	v_cndmask_b32_e32 v5, v5, v6, vcc_lo
	v_cmp_eq_u32_e32 vcc_lo, 5, v37
	v_cndmask_b32_e32 v5, v5, v7, vcc_lo
	v_cmp_eq_u32_e32 vcc_lo, 6, v37
	s_delay_alu instid0(VALU_DEP_2) | instskip(SKIP_1) | instid1(VALU_DEP_2)
	v_cndmask_b32_e32 v5, v5, v8, vcc_lo
	v_cmp_eq_u32_e32 vcc_lo, 7, v37
	v_cndmask_b32_e32 v5, v5, v9, vcc_lo
	v_cmp_eq_u32_e32 vcc_lo, 8, v37
	s_delay_alu instid0(VALU_DEP_2) | instskip(SKIP_1) | instid1(VALU_DEP_2)
	;; [unrolled: 5-line block ×12, first 2 shown]
	v_cndmask_b32_e32 v5, v5, v30, vcc_lo
	v_cmp_eq_u32_e32 vcc_lo, 29, v37
	v_cndmask_b32_e32 v5, v5, v31, vcc_lo
	v_cmp_eq_u32_e32 vcc_lo, 30, v37
	s_delay_alu instid0(VALU_DEP_2) | instskip(SKIP_1) | instid1(VALU_DEP_1)
	v_cndmask_b32_e32 v5, v5, v32, vcc_lo
	s_wait_dscnt 0x0
	v_fmac_f32_e32 v33, v5, v34
	s_delay_alu instid0(VALU_DEP_1) | instskip(NEXT) | instid1(VALU_DEP_1)
	v_fma_f32 v5, v4, v35, v33
	v_cndmask_b32_e64 v33, v33, v5, s0
.LBB30_485:
	s_or_b32 exec_lo, exec_lo, s3
	v_mov_b32_e32 v5, 0
	ds_load_b32 v5, v5 offset:12
	s_wait_dscnt 0x0
	v_mul_f32_e32 v5, v33, v5
.LBB30_486:
	s_or_b32 exec_lo, exec_lo, s2
	s_delay_alu instid0(SALU_CYCLE_1)
	s_mov_b32 s2, exec_lo
	ds_store_b32 v131, v6
	s_wait_dscnt 0x0
	s_barrier_signal -1
	s_barrier_wait -1
	v_cmpx_gt_u32_e32 4, v0
	s_cbranch_execz .LBB30_496
; %bb.487:
	v_cmp_ne_u32_e32 vcc_lo, 1, v36
	s_cbranch_vccnz .LBB30_489
; %bb.488:
	v_cmp_eq_u32_e32 vcc_lo, 1, v0
	ds_load_b32 v34, v131
	v_cndmask_b32_e32 v33, v2, v3, vcc_lo
	v_cmp_eq_u32_e32 vcc_lo, 2, v0
	s_delay_alu instid0(VALU_DEP_2) | instskip(SKIP_1) | instid1(VALU_DEP_2)
	v_cndmask_b32_e32 v33, v33, v4, vcc_lo
	v_cmp_eq_u32_e32 vcc_lo, 3, v0
	v_cndmask_b32_e32 v33, v33, v5, vcc_lo
	v_cmp_eq_u32_e32 vcc_lo, 4, v0
	s_delay_alu instid0(VALU_DEP_2) | instskip(SKIP_1) | instid1(VALU_DEP_2)
	v_cndmask_b32_e32 v33, v33, v6, vcc_lo
	v_cmp_eq_u32_e32 vcc_lo, 5, v0
	;; [unrolled: 5-line block ×14, first 2 shown]
	v_cndmask_b32_e32 v33, v33, v31, vcc_lo
	v_cmp_eq_u32_e32 vcc_lo, 30, v0
	s_delay_alu instid0(VALU_DEP_2) | instskip(SKIP_1) | instid1(VALU_DEP_1)
	v_cndmask_b32_e32 v33, v33, v32, vcc_lo
	s_wait_dscnt 0x0
	v_mul_f32_e32 v33, v33, v34
	s_cbranch_execz .LBB30_490
	s_branch .LBB30_491
.LBB30_489:
                                        ; implicit-def: $vgpr33
.LBB30_490:
	ds_load_b32 v33, v131
.LBB30_491:
	s_mov_b32 s3, exec_lo
	v_cmpx_ne_u32_e32 3, v0
	s_cbranch_execz .LBB30_495
; %bb.492:
	v_mov_b64_e32 v[34:35], v[0:1]
	v_lshl_add_u32 v38, v0, 2, 0x84
	s_mov_b32 s4, 0
.LBB30_493:                             ; =>This Inner Loop Header: Depth=1
	s_delay_alu instid0(VALU_DEP_2)
	v_add_nc_u64_e32 v[34:35], 1, v[34:35]
	ds_load_b32 v40, v38
	v_add_nc_u32_e32 v38, 4, v38
	v_cmp_eq_u32_e32 vcc_lo, 1, v34
	v_cndmask_b32_e32 v39, v2, v3, vcc_lo
	v_cmp_eq_u32_e32 vcc_lo, 2, v34
	s_delay_alu instid0(VALU_DEP_2) | instskip(SKIP_1) | instid1(VALU_DEP_2)
	v_cndmask_b32_e32 v39, v39, v4, vcc_lo
	v_cmp_eq_u32_e32 vcc_lo, 3, v34
	v_cndmask_b32_e32 v39, v39, v5, vcc_lo
	v_cmp_eq_u32_e32 vcc_lo, 4, v34
	s_delay_alu instid0(VALU_DEP_2) | instskip(SKIP_1) | instid1(VALU_DEP_2)
	v_cndmask_b32_e32 v39, v39, v6, vcc_lo
	;; [unrolled: 5-line block ×14, first 2 shown]
	v_cmp_eq_u32_e32 vcc_lo, 29, v34
	v_cndmask_b32_e32 v39, v39, v31, vcc_lo
	v_cmp_eq_u32_e32 vcc_lo, 30, v34
	s_delay_alu instid0(VALU_DEP_2) | instskip(SKIP_2) | instid1(VALU_DEP_2)
	v_cndmask_b32_e32 v39, v39, v32, vcc_lo
	v_cmp_lt_u32_e32 vcc_lo, 2, v34
	s_wait_dscnt 0x0
	v_fmac_f32_e32 v33, v39, v40
	s_or_b32 s4, vcc_lo, s4
	s_delay_alu instid0(SALU_CYCLE_1)
	s_and_not1_b32 exec_lo, exec_lo, s4
	s_cbranch_execnz .LBB30_493
; %bb.494:
	s_or_b32 exec_lo, exec_lo, s4
.LBB30_495:
	s_delay_alu instid0(SALU_CYCLE_1)
	s_or_b32 exec_lo, exec_lo, s3
	v_mov_b32_e32 v6, 0
	ds_load_b32 v6, v6 offset:16
	s_wait_dscnt 0x0
	v_mul_f32_e32 v6, v33, v6
.LBB30_496:
	s_or_b32 exec_lo, exec_lo, s2
	v_cmp_gt_u32_e64 s2, 5, v0
	ds_store_b32 v131, v7
	s_wait_dscnt 0x0
	s_barrier_signal -1
	s_barrier_wait -1
	s_and_saveexec_b32 s3, s2
	s_cbranch_execz .LBB30_506
; %bb.497:
	v_cmp_ne_u32_e32 vcc_lo, 1, v36
	s_cbranch_vccnz .LBB30_499
; %bb.498:
	v_cmp_eq_u32_e32 vcc_lo, 1, v0
	ds_load_b32 v34, v131
	v_cndmask_b32_e32 v33, v2, v3, vcc_lo
	v_cmp_eq_u32_e32 vcc_lo, 2, v0
	s_delay_alu instid0(VALU_DEP_2) | instskip(SKIP_1) | instid1(VALU_DEP_2)
	v_cndmask_b32_e32 v33, v33, v4, vcc_lo
	v_cmp_eq_u32_e32 vcc_lo, 3, v0
	v_cndmask_b32_e32 v33, v33, v5, vcc_lo
	v_cmp_eq_u32_e32 vcc_lo, 4, v0
	s_delay_alu instid0(VALU_DEP_2) | instskip(SKIP_1) | instid1(VALU_DEP_2)
	v_cndmask_b32_e32 v33, v33, v6, vcc_lo
	v_cmp_eq_u32_e32 vcc_lo, 5, v0
	;; [unrolled: 5-line block ×14, first 2 shown]
	v_cndmask_b32_e32 v33, v33, v31, vcc_lo
	v_cmp_eq_u32_e32 vcc_lo, 30, v0
	s_delay_alu instid0(VALU_DEP_2) | instskip(SKIP_1) | instid1(VALU_DEP_1)
	v_cndmask_b32_e32 v33, v33, v32, vcc_lo
	s_wait_dscnt 0x0
	v_mul_f32_e32 v33, v33, v34
	s_cbranch_execz .LBB30_500
	s_branch .LBB30_501
.LBB30_499:
                                        ; implicit-def: $vgpr33
.LBB30_500:
	ds_load_b32 v33, v131
.LBB30_501:
	s_mov_b32 s4, exec_lo
	v_cmpx_ne_u32_e32 4, v0
	s_cbranch_execz .LBB30_505
; %bb.502:
	v_mov_b64_e32 v[34:35], v[0:1]
	v_lshl_add_u32 v38, v0, 2, 0x84
	s_mov_b32 s5, 0
.LBB30_503:                             ; =>This Inner Loop Header: Depth=1
	s_delay_alu instid0(VALU_DEP_2)
	v_add_nc_u64_e32 v[34:35], 1, v[34:35]
	ds_load_b32 v40, v38
	v_add_nc_u32_e32 v38, 4, v38
	v_cmp_eq_u32_e32 vcc_lo, 1, v34
	v_cndmask_b32_e32 v39, v2, v3, vcc_lo
	v_cmp_eq_u32_e32 vcc_lo, 2, v34
	s_delay_alu instid0(VALU_DEP_2) | instskip(SKIP_1) | instid1(VALU_DEP_2)
	v_cndmask_b32_e32 v39, v39, v4, vcc_lo
	v_cmp_eq_u32_e32 vcc_lo, 3, v34
	v_cndmask_b32_e32 v39, v39, v5, vcc_lo
	v_cmp_eq_u32_e32 vcc_lo, 4, v34
	s_delay_alu instid0(VALU_DEP_2) | instskip(SKIP_1) | instid1(VALU_DEP_2)
	v_cndmask_b32_e32 v39, v39, v6, vcc_lo
	;; [unrolled: 5-line block ×14, first 2 shown]
	v_cmp_eq_u32_e32 vcc_lo, 29, v34
	v_cndmask_b32_e32 v39, v39, v31, vcc_lo
	v_cmp_eq_u32_e32 vcc_lo, 30, v34
	s_delay_alu instid0(VALU_DEP_2) | instskip(SKIP_2) | instid1(VALU_DEP_2)
	v_cndmask_b32_e32 v39, v39, v32, vcc_lo
	v_cmp_lt_u32_e32 vcc_lo, 3, v34
	s_wait_dscnt 0x0
	v_fmac_f32_e32 v33, v39, v40
	s_or_b32 s5, vcc_lo, s5
	s_delay_alu instid0(SALU_CYCLE_1)
	s_and_not1_b32 exec_lo, exec_lo, s5
	s_cbranch_execnz .LBB30_503
; %bb.504:
	s_or_b32 exec_lo, exec_lo, s5
.LBB30_505:
	s_delay_alu instid0(SALU_CYCLE_1)
	s_or_b32 exec_lo, exec_lo, s4
	v_mov_b32_e32 v7, 0
	ds_load_b32 v7, v7 offset:20
	s_wait_dscnt 0x0
	v_mul_f32_e32 v7, v33, v7
.LBB30_506:
	s_or_b32 exec_lo, exec_lo, s3
	s_delay_alu instid0(SALU_CYCLE_1)
	s_mov_b32 s3, exec_lo
	ds_store_b32 v131, v8
	s_wait_dscnt 0x0
	s_barrier_signal -1
	s_barrier_wait -1
	v_cmpx_gt_u32_e32 6, v0
	s_cbranch_execz .LBB30_516
; %bb.507:
	v_cmp_ne_u32_e32 vcc_lo, 1, v36
	s_cbranch_vccnz .LBB30_509
; %bb.508:
	v_cmp_eq_u32_e32 vcc_lo, 1, v0
	ds_load_b32 v34, v131
	v_cndmask_b32_e32 v33, v2, v3, vcc_lo
	v_cmp_eq_u32_e32 vcc_lo, 2, v0
	s_delay_alu instid0(VALU_DEP_2) | instskip(SKIP_1) | instid1(VALU_DEP_2)
	v_cndmask_b32_e32 v33, v33, v4, vcc_lo
	v_cmp_eq_u32_e32 vcc_lo, 3, v0
	v_cndmask_b32_e32 v33, v33, v5, vcc_lo
	v_cmp_eq_u32_e32 vcc_lo, 4, v0
	s_delay_alu instid0(VALU_DEP_2) | instskip(SKIP_1) | instid1(VALU_DEP_2)
	v_cndmask_b32_e32 v33, v33, v6, vcc_lo
	v_cmp_eq_u32_e32 vcc_lo, 5, v0
	;; [unrolled: 5-line block ×14, first 2 shown]
	v_cndmask_b32_e32 v33, v33, v31, vcc_lo
	v_cmp_eq_u32_e32 vcc_lo, 30, v0
	s_delay_alu instid0(VALU_DEP_2) | instskip(SKIP_1) | instid1(VALU_DEP_1)
	v_cndmask_b32_e32 v33, v33, v32, vcc_lo
	s_wait_dscnt 0x0
	v_mul_f32_e32 v33, v33, v34
	s_cbranch_execz .LBB30_510
	s_branch .LBB30_511
.LBB30_509:
                                        ; implicit-def: $vgpr33
.LBB30_510:
	ds_load_b32 v33, v131
.LBB30_511:
	s_mov_b32 s4, exec_lo
	v_cmpx_ne_u32_e32 5, v0
	s_cbranch_execz .LBB30_515
; %bb.512:
	v_mov_b64_e32 v[34:35], v[0:1]
	v_lshl_add_u32 v38, v0, 2, 0x84
	s_mov_b32 s5, 0
.LBB30_513:                             ; =>This Inner Loop Header: Depth=1
	s_delay_alu instid0(VALU_DEP_2)
	v_add_nc_u64_e32 v[34:35], 1, v[34:35]
	ds_load_b32 v40, v38
	v_add_nc_u32_e32 v38, 4, v38
	v_cmp_eq_u32_e32 vcc_lo, 1, v34
	v_cndmask_b32_e32 v39, v2, v3, vcc_lo
	v_cmp_eq_u32_e32 vcc_lo, 2, v34
	s_delay_alu instid0(VALU_DEP_2) | instskip(SKIP_1) | instid1(VALU_DEP_2)
	v_cndmask_b32_e32 v39, v39, v4, vcc_lo
	v_cmp_eq_u32_e32 vcc_lo, 3, v34
	v_cndmask_b32_e32 v39, v39, v5, vcc_lo
	v_cmp_eq_u32_e32 vcc_lo, 4, v34
	s_delay_alu instid0(VALU_DEP_2) | instskip(SKIP_1) | instid1(VALU_DEP_2)
	v_cndmask_b32_e32 v39, v39, v6, vcc_lo
	;; [unrolled: 5-line block ×14, first 2 shown]
	v_cmp_eq_u32_e32 vcc_lo, 29, v34
	v_cndmask_b32_e32 v39, v39, v31, vcc_lo
	v_cmp_eq_u32_e32 vcc_lo, 30, v34
	s_delay_alu instid0(VALU_DEP_2) | instskip(SKIP_2) | instid1(VALU_DEP_2)
	v_cndmask_b32_e32 v39, v39, v32, vcc_lo
	v_cmp_lt_u32_e32 vcc_lo, 4, v34
	s_wait_dscnt 0x0
	v_fmac_f32_e32 v33, v39, v40
	s_or_b32 s5, vcc_lo, s5
	s_delay_alu instid0(SALU_CYCLE_1)
	s_and_not1_b32 exec_lo, exec_lo, s5
	s_cbranch_execnz .LBB30_513
; %bb.514:
	s_or_b32 exec_lo, exec_lo, s5
.LBB30_515:
	s_delay_alu instid0(SALU_CYCLE_1)
	s_or_b32 exec_lo, exec_lo, s4
	v_mov_b32_e32 v8, 0
	ds_load_b32 v8, v8 offset:24
	s_wait_dscnt 0x0
	v_mul_f32_e32 v8, v33, v8
.LBB30_516:
	s_or_b32 exec_lo, exec_lo, s3
	v_cmp_gt_u32_e64 s3, 7, v0
	ds_store_b32 v131, v9
	s_wait_dscnt 0x0
	s_barrier_signal -1
	s_barrier_wait -1
	s_and_saveexec_b32 s4, s3
	s_cbranch_execz .LBB30_526
; %bb.517:
	v_cmp_ne_u32_e32 vcc_lo, 1, v36
	s_cbranch_vccnz .LBB30_519
; %bb.518:
	v_cmp_eq_u32_e32 vcc_lo, 1, v0
	ds_load_b32 v34, v131
	v_cndmask_b32_e32 v33, v2, v3, vcc_lo
	v_cmp_eq_u32_e32 vcc_lo, 2, v0
	s_delay_alu instid0(VALU_DEP_2) | instskip(SKIP_1) | instid1(VALU_DEP_2)
	v_cndmask_b32_e32 v33, v33, v4, vcc_lo
	v_cmp_eq_u32_e32 vcc_lo, 3, v0
	v_cndmask_b32_e32 v33, v33, v5, vcc_lo
	v_cmp_eq_u32_e32 vcc_lo, 4, v0
	s_delay_alu instid0(VALU_DEP_2) | instskip(SKIP_1) | instid1(VALU_DEP_2)
	v_cndmask_b32_e32 v33, v33, v6, vcc_lo
	v_cmp_eq_u32_e32 vcc_lo, 5, v0
	;; [unrolled: 5-line block ×14, first 2 shown]
	v_cndmask_b32_e32 v33, v33, v31, vcc_lo
	v_cmp_eq_u32_e32 vcc_lo, 30, v0
	s_delay_alu instid0(VALU_DEP_2) | instskip(SKIP_1) | instid1(VALU_DEP_1)
	v_cndmask_b32_e32 v33, v33, v32, vcc_lo
	s_wait_dscnt 0x0
	v_mul_f32_e32 v33, v33, v34
	s_cbranch_execz .LBB30_520
	s_branch .LBB30_521
.LBB30_519:
                                        ; implicit-def: $vgpr33
.LBB30_520:
	ds_load_b32 v33, v131
.LBB30_521:
	s_mov_b32 s5, exec_lo
	v_cmpx_ne_u32_e32 6, v0
	s_cbranch_execz .LBB30_525
; %bb.522:
	v_mov_b64_e32 v[34:35], v[0:1]
	v_lshl_add_u32 v38, v0, 2, 0x84
	s_mov_b32 s6, 0
.LBB30_523:                             ; =>This Inner Loop Header: Depth=1
	s_delay_alu instid0(VALU_DEP_2)
	v_add_nc_u64_e32 v[34:35], 1, v[34:35]
	ds_load_b32 v40, v38
	v_add_nc_u32_e32 v38, 4, v38
	v_cmp_eq_u32_e32 vcc_lo, 1, v34
	v_cndmask_b32_e32 v39, v2, v3, vcc_lo
	v_cmp_eq_u32_e32 vcc_lo, 2, v34
	s_delay_alu instid0(VALU_DEP_2) | instskip(SKIP_1) | instid1(VALU_DEP_2)
	v_cndmask_b32_e32 v39, v39, v4, vcc_lo
	v_cmp_eq_u32_e32 vcc_lo, 3, v34
	v_cndmask_b32_e32 v39, v39, v5, vcc_lo
	v_cmp_eq_u32_e32 vcc_lo, 4, v34
	s_delay_alu instid0(VALU_DEP_2) | instskip(SKIP_1) | instid1(VALU_DEP_2)
	v_cndmask_b32_e32 v39, v39, v6, vcc_lo
	v_cmp_eq_u32_e32 vcc_lo, 5, v34
	v_cndmask_b32_e32 v39, v39, v7, vcc_lo
	v_cmp_eq_u32_e32 vcc_lo, 6, v34
	s_delay_alu instid0(VALU_DEP_2) | instskip(SKIP_1) | instid1(VALU_DEP_2)
	v_cndmask_b32_e32 v39, v39, v8, vcc_lo
	v_cmp_eq_u32_e32 vcc_lo, 7, v34
	v_cndmask_b32_e32 v39, v39, v9, vcc_lo
	v_cmp_eq_u32_e32 vcc_lo, 8, v34
	s_delay_alu instid0(VALU_DEP_2) | instskip(SKIP_1) | instid1(VALU_DEP_2)
	v_cndmask_b32_e32 v39, v39, v10, vcc_lo
	v_cmp_eq_u32_e32 vcc_lo, 9, v34
	v_cndmask_b32_e32 v39, v39, v11, vcc_lo
	v_cmp_eq_u32_e32 vcc_lo, 10, v34
	s_delay_alu instid0(VALU_DEP_2) | instskip(SKIP_1) | instid1(VALU_DEP_2)
	v_cndmask_b32_e32 v39, v39, v12, vcc_lo
	v_cmp_eq_u32_e32 vcc_lo, 11, v34
	v_cndmask_b32_e32 v39, v39, v13, vcc_lo
	v_cmp_eq_u32_e32 vcc_lo, 12, v34
	s_delay_alu instid0(VALU_DEP_2) | instskip(SKIP_1) | instid1(VALU_DEP_2)
	v_cndmask_b32_e32 v39, v39, v14, vcc_lo
	v_cmp_eq_u32_e32 vcc_lo, 13, v34
	v_cndmask_b32_e32 v39, v39, v15, vcc_lo
	v_cmp_eq_u32_e32 vcc_lo, 14, v34
	s_delay_alu instid0(VALU_DEP_2) | instskip(SKIP_1) | instid1(VALU_DEP_2)
	v_cndmask_b32_e32 v39, v39, v16, vcc_lo
	v_cmp_eq_u32_e32 vcc_lo, 15, v34
	v_cndmask_b32_e32 v39, v39, v17, vcc_lo
	v_cmp_eq_u32_e32 vcc_lo, 16, v34
	s_delay_alu instid0(VALU_DEP_2) | instskip(SKIP_1) | instid1(VALU_DEP_2)
	v_cndmask_b32_e32 v39, v39, v18, vcc_lo
	v_cmp_eq_u32_e32 vcc_lo, 17, v34
	v_cndmask_b32_e32 v39, v39, v19, vcc_lo
	v_cmp_eq_u32_e32 vcc_lo, 18, v34
	s_delay_alu instid0(VALU_DEP_2) | instskip(SKIP_1) | instid1(VALU_DEP_2)
	v_cndmask_b32_e32 v39, v39, v20, vcc_lo
	v_cmp_eq_u32_e32 vcc_lo, 19, v34
	v_cndmask_b32_e32 v39, v39, v21, vcc_lo
	v_cmp_eq_u32_e32 vcc_lo, 20, v34
	s_delay_alu instid0(VALU_DEP_2) | instskip(SKIP_1) | instid1(VALU_DEP_2)
	v_cndmask_b32_e32 v39, v39, v22, vcc_lo
	v_cmp_eq_u32_e32 vcc_lo, 21, v34
	v_cndmask_b32_e32 v39, v39, v23, vcc_lo
	v_cmp_eq_u32_e32 vcc_lo, 22, v34
	s_delay_alu instid0(VALU_DEP_2) | instskip(SKIP_1) | instid1(VALU_DEP_2)
	v_cndmask_b32_e32 v39, v39, v24, vcc_lo
	v_cmp_eq_u32_e32 vcc_lo, 23, v34
	v_cndmask_b32_e32 v39, v39, v25, vcc_lo
	v_cmp_eq_u32_e32 vcc_lo, 24, v34
	s_delay_alu instid0(VALU_DEP_2) | instskip(SKIP_1) | instid1(VALU_DEP_2)
	v_cndmask_b32_e32 v39, v39, v26, vcc_lo
	v_cmp_eq_u32_e32 vcc_lo, 25, v34
	v_cndmask_b32_e32 v39, v39, v27, vcc_lo
	v_cmp_eq_u32_e32 vcc_lo, 26, v34
	s_delay_alu instid0(VALU_DEP_2) | instskip(SKIP_1) | instid1(VALU_DEP_2)
	v_cndmask_b32_e32 v39, v39, v28, vcc_lo
	v_cmp_eq_u32_e32 vcc_lo, 27, v34
	v_cndmask_b32_e32 v39, v39, v29, vcc_lo
	v_cmp_eq_u32_e32 vcc_lo, 28, v34
	s_delay_alu instid0(VALU_DEP_2) | instskip(SKIP_1) | instid1(VALU_DEP_2)
	v_cndmask_b32_e32 v39, v39, v30, vcc_lo
	v_cmp_eq_u32_e32 vcc_lo, 29, v34
	v_cndmask_b32_e32 v39, v39, v31, vcc_lo
	v_cmp_eq_u32_e32 vcc_lo, 30, v34
	s_delay_alu instid0(VALU_DEP_2) | instskip(SKIP_2) | instid1(VALU_DEP_2)
	v_cndmask_b32_e32 v39, v39, v32, vcc_lo
	v_cmp_lt_u32_e32 vcc_lo, 5, v34
	s_wait_dscnt 0x0
	v_fmac_f32_e32 v33, v39, v40
	s_or_b32 s6, vcc_lo, s6
	s_delay_alu instid0(SALU_CYCLE_1)
	s_and_not1_b32 exec_lo, exec_lo, s6
	s_cbranch_execnz .LBB30_523
; %bb.524:
	s_or_b32 exec_lo, exec_lo, s6
.LBB30_525:
	s_delay_alu instid0(SALU_CYCLE_1)
	s_or_b32 exec_lo, exec_lo, s5
	v_mov_b32_e32 v9, 0
	ds_load_b32 v9, v9 offset:28
	s_wait_dscnt 0x0
	v_mul_f32_e32 v9, v33, v9
.LBB30_526:
	s_or_b32 exec_lo, exec_lo, s4
	s_delay_alu instid0(SALU_CYCLE_1)
	s_mov_b32 s4, exec_lo
	ds_store_b32 v131, v10
	s_wait_dscnt 0x0
	s_barrier_signal -1
	s_barrier_wait -1
	v_cmpx_gt_u32_e32 8, v0
	s_cbranch_execz .LBB30_536
; %bb.527:
	v_cmp_ne_u32_e32 vcc_lo, 1, v36
	s_cbranch_vccnz .LBB30_529
; %bb.528:
	v_cmp_eq_u32_e32 vcc_lo, 1, v0
	ds_load_b32 v34, v131
	v_cndmask_b32_e32 v33, v2, v3, vcc_lo
	v_cmp_eq_u32_e32 vcc_lo, 2, v0
	s_delay_alu instid0(VALU_DEP_2) | instskip(SKIP_1) | instid1(VALU_DEP_2)
	v_cndmask_b32_e32 v33, v33, v4, vcc_lo
	v_cmp_eq_u32_e32 vcc_lo, 3, v0
	v_cndmask_b32_e32 v33, v33, v5, vcc_lo
	v_cmp_eq_u32_e32 vcc_lo, 4, v0
	s_delay_alu instid0(VALU_DEP_2) | instskip(SKIP_1) | instid1(VALU_DEP_2)
	v_cndmask_b32_e32 v33, v33, v6, vcc_lo
	v_cmp_eq_u32_e32 vcc_lo, 5, v0
	;; [unrolled: 5-line block ×14, first 2 shown]
	v_cndmask_b32_e32 v33, v33, v31, vcc_lo
	v_cmp_eq_u32_e32 vcc_lo, 30, v0
	s_delay_alu instid0(VALU_DEP_2) | instskip(SKIP_1) | instid1(VALU_DEP_1)
	v_cndmask_b32_e32 v33, v33, v32, vcc_lo
	s_wait_dscnt 0x0
	v_mul_f32_e32 v33, v33, v34
	s_cbranch_execz .LBB30_530
	s_branch .LBB30_531
.LBB30_529:
                                        ; implicit-def: $vgpr33
.LBB30_530:
	ds_load_b32 v33, v131
.LBB30_531:
	s_mov_b32 s5, exec_lo
	v_cmpx_ne_u32_e32 7, v0
	s_cbranch_execz .LBB30_535
; %bb.532:
	v_mov_b64_e32 v[34:35], v[0:1]
	v_lshl_add_u32 v38, v0, 2, 0x84
	s_mov_b32 s6, 0
.LBB30_533:                             ; =>This Inner Loop Header: Depth=1
	s_delay_alu instid0(VALU_DEP_2)
	v_add_nc_u64_e32 v[34:35], 1, v[34:35]
	ds_load_b32 v40, v38
	v_add_nc_u32_e32 v38, 4, v38
	v_cmp_eq_u32_e32 vcc_lo, 1, v34
	v_cndmask_b32_e32 v39, v2, v3, vcc_lo
	v_cmp_eq_u32_e32 vcc_lo, 2, v34
	s_delay_alu instid0(VALU_DEP_2) | instskip(SKIP_1) | instid1(VALU_DEP_2)
	v_cndmask_b32_e32 v39, v39, v4, vcc_lo
	v_cmp_eq_u32_e32 vcc_lo, 3, v34
	v_cndmask_b32_e32 v39, v39, v5, vcc_lo
	v_cmp_eq_u32_e32 vcc_lo, 4, v34
	s_delay_alu instid0(VALU_DEP_2) | instskip(SKIP_1) | instid1(VALU_DEP_2)
	v_cndmask_b32_e32 v39, v39, v6, vcc_lo
	;; [unrolled: 5-line block ×14, first 2 shown]
	v_cmp_eq_u32_e32 vcc_lo, 29, v34
	v_cndmask_b32_e32 v39, v39, v31, vcc_lo
	v_cmp_eq_u32_e32 vcc_lo, 30, v34
	s_delay_alu instid0(VALU_DEP_2) | instskip(SKIP_2) | instid1(VALU_DEP_2)
	v_cndmask_b32_e32 v39, v39, v32, vcc_lo
	v_cmp_lt_u32_e32 vcc_lo, 6, v34
	s_wait_dscnt 0x0
	v_fmac_f32_e32 v33, v39, v40
	s_or_b32 s6, vcc_lo, s6
	s_delay_alu instid0(SALU_CYCLE_1)
	s_and_not1_b32 exec_lo, exec_lo, s6
	s_cbranch_execnz .LBB30_533
; %bb.534:
	s_or_b32 exec_lo, exec_lo, s6
.LBB30_535:
	s_delay_alu instid0(SALU_CYCLE_1)
	s_or_b32 exec_lo, exec_lo, s5
	v_mov_b32_e32 v10, 0
	ds_load_b32 v10, v10 offset:32
	s_wait_dscnt 0x0
	v_mul_f32_e32 v10, v33, v10
.LBB30_536:
	s_or_b32 exec_lo, exec_lo, s4
	s_delay_alu instid0(SALU_CYCLE_1)
	s_mov_b32 s4, exec_lo
	ds_store_b32 v131, v11
	s_wait_dscnt 0x0
	s_barrier_signal -1
	s_barrier_wait -1
	v_cmpx_gt_u32_e32 9, v0
	s_cbranch_execz .LBB30_558
; %bb.537:
	v_cmp_ne_u32_e32 vcc_lo, 1, v36
	s_cbranch_vccnz .LBB30_539
; %bb.538:
	v_cmp_eq_u32_e32 vcc_lo, 1, v0
	ds_load_b32 v34, v131
	v_cndmask_b32_e32 v33, v2, v3, vcc_lo
	v_cmp_eq_u32_e32 vcc_lo, 2, v0
	s_delay_alu instid0(VALU_DEP_2) | instskip(SKIP_1) | instid1(VALU_DEP_2)
	v_cndmask_b32_e32 v33, v33, v4, vcc_lo
	v_cmp_eq_u32_e32 vcc_lo, 3, v0
	v_cndmask_b32_e32 v33, v33, v5, vcc_lo
	v_cmp_eq_u32_e32 vcc_lo, 4, v0
	s_delay_alu instid0(VALU_DEP_2) | instskip(SKIP_1) | instid1(VALU_DEP_2)
	v_cndmask_b32_e32 v33, v33, v6, vcc_lo
	v_cmp_eq_u32_e32 vcc_lo, 5, v0
	;; [unrolled: 5-line block ×14, first 2 shown]
	v_cndmask_b32_e32 v33, v33, v31, vcc_lo
	v_cmp_eq_u32_e32 vcc_lo, 30, v0
	s_delay_alu instid0(VALU_DEP_2) | instskip(SKIP_1) | instid1(VALU_DEP_1)
	v_cndmask_b32_e32 v33, v33, v32, vcc_lo
	s_wait_dscnt 0x0
	v_mul_f32_e32 v33, v33, v34
	s_cbranch_execz .LBB30_540
	s_branch .LBB30_541
.LBB30_539:
                                        ; implicit-def: $vgpr33
.LBB30_540:
	ds_load_b32 v33, v131
.LBB30_541:
	s_mov_b32 s5, exec_lo
	v_cmpx_ne_u32_e32 8, v0
	s_cbranch_execz .LBB30_557
; %bb.542:
	v_cmp_eq_u32_e32 vcc_lo, 1, v37
	ds_load_b32 v35, v131 offset:4
	v_cndmask_b32_e32 v34, v2, v3, vcc_lo
	v_cmp_eq_u32_e32 vcc_lo, 2, v37
	s_delay_alu instid0(VALU_DEP_2) | instskip(SKIP_1) | instid1(VALU_DEP_2)
	v_cndmask_b32_e32 v34, v34, v4, vcc_lo
	v_cmp_eq_u32_e32 vcc_lo, 3, v37
	v_cndmask_b32_e32 v34, v34, v5, vcc_lo
	v_cmp_eq_u32_e32 vcc_lo, 4, v37
	s_delay_alu instid0(VALU_DEP_2) | instskip(SKIP_1) | instid1(VALU_DEP_2)
	v_cndmask_b32_e32 v34, v34, v6, vcc_lo
	v_cmp_eq_u32_e32 vcc_lo, 5, v37
	;; [unrolled: 5-line block ×14, first 2 shown]
	v_cndmask_b32_e32 v34, v34, v31, vcc_lo
	v_cmp_eq_u32_e32 vcc_lo, 30, v37
	s_delay_alu instid0(VALU_DEP_2) | instskip(SKIP_1) | instid1(VALU_DEP_1)
	v_cndmask_b32_e32 v34, v34, v32, vcc_lo
	s_wait_dscnt 0x0
	v_fmac_f32_e32 v33, v34, v35
	s_and_saveexec_b32 s6, s3
	s_cbranch_execz .LBB30_556
; %bb.543:
	v_add_nc_u32_e32 v34, 2, v0
	ds_load_b32 v37, v131 offset:8
	s_mov_b32 s3, exec_lo
	v_cmp_eq_u32_e32 vcc_lo, 1, v34
	v_cndmask_b32_e32 v35, v2, v3, vcc_lo
	v_cmp_eq_u32_e32 vcc_lo, 2, v34
	s_delay_alu instid0(VALU_DEP_2) | instskip(SKIP_1) | instid1(VALU_DEP_2)
	v_cndmask_b32_e32 v35, v35, v4, vcc_lo
	v_cmp_eq_u32_e32 vcc_lo, 3, v34
	v_cndmask_b32_e32 v35, v35, v5, vcc_lo
	v_cmp_eq_u32_e32 vcc_lo, 4, v34
	s_delay_alu instid0(VALU_DEP_2) | instskip(SKIP_1) | instid1(VALU_DEP_2)
	v_cndmask_b32_e32 v35, v35, v6, vcc_lo
	;; [unrolled: 5-line block ×14, first 2 shown]
	v_cmp_eq_u32_e32 vcc_lo, 29, v34
	v_cndmask_b32_e32 v35, v35, v31, vcc_lo
	v_cmp_eq_u32_e32 vcc_lo, 30, v34
	s_delay_alu instid0(VALU_DEP_2) | instskip(SKIP_1) | instid1(VALU_DEP_1)
	v_cndmask_b32_e32 v34, v35, v32, vcc_lo
	s_wait_dscnt 0x0
	v_fmac_f32_e32 v33, v34, v37
	v_cmpx_ne_u32_e32 6, v0
	s_cbranch_execz .LBB30_555
; %bb.544:
	v_add_nc_u32_e32 v34, 3, v0
	ds_load_b32 v37, v131 offset:12
	v_cmp_eq_u32_e32 vcc_lo, 1, v34
	v_cndmask_b32_e32 v35, v2, v3, vcc_lo
	v_cmp_eq_u32_e32 vcc_lo, 2, v34
	s_delay_alu instid0(VALU_DEP_2) | instskip(SKIP_1) | instid1(VALU_DEP_2)
	v_cndmask_b32_e32 v35, v35, v4, vcc_lo
	v_cmp_eq_u32_e32 vcc_lo, 3, v34
	v_cndmask_b32_e32 v35, v35, v5, vcc_lo
	v_cmp_eq_u32_e32 vcc_lo, 4, v34
	s_delay_alu instid0(VALU_DEP_2) | instskip(SKIP_1) | instid1(VALU_DEP_2)
	v_cndmask_b32_e32 v35, v35, v6, vcc_lo
	;; [unrolled: 5-line block ×14, first 2 shown]
	v_cmp_eq_u32_e32 vcc_lo, 29, v34
	v_cndmask_b32_e32 v35, v35, v31, vcc_lo
	v_cmp_eq_u32_e32 vcc_lo, 30, v34
	s_delay_alu instid0(VALU_DEP_2) | instskip(SKIP_1) | instid1(VALU_DEP_1)
	v_cndmask_b32_e32 v34, v35, v32, vcc_lo
	s_wait_dscnt 0x0
	v_fmac_f32_e32 v33, v34, v37
	s_and_saveexec_b32 s7, s2
	s_cbranch_execz .LBB30_554
; %bb.545:
	v_add_nc_u32_e32 v34, 4, v0
	ds_load_b32 v37, v131 offset:16
	s_mov_b32 s2, exec_lo
	v_cmp_eq_u32_e32 vcc_lo, 1, v34
	v_cndmask_b32_e32 v35, v2, v3, vcc_lo
	v_cmp_eq_u32_e32 vcc_lo, 2, v34
	s_delay_alu instid0(VALU_DEP_2) | instskip(SKIP_1) | instid1(VALU_DEP_2)
	v_cndmask_b32_e32 v35, v35, v4, vcc_lo
	v_cmp_eq_u32_e32 vcc_lo, 3, v34
	v_cndmask_b32_e32 v35, v35, v5, vcc_lo
	v_cmp_eq_u32_e32 vcc_lo, 4, v34
	s_delay_alu instid0(VALU_DEP_2) | instskip(SKIP_1) | instid1(VALU_DEP_2)
	v_cndmask_b32_e32 v35, v35, v6, vcc_lo
	;; [unrolled: 5-line block ×14, first 2 shown]
	v_cmp_eq_u32_e32 vcc_lo, 29, v34
	v_cndmask_b32_e32 v35, v35, v31, vcc_lo
	v_cmp_eq_u32_e32 vcc_lo, 30, v34
	s_delay_alu instid0(VALU_DEP_2) | instskip(SKIP_1) | instid1(VALU_DEP_1)
	v_cndmask_b32_e32 v34, v35, v32, vcc_lo
	s_wait_dscnt 0x0
	v_fmac_f32_e32 v33, v34, v37
	v_cmpx_ne_u32_e32 4, v0
	s_cbranch_execz .LBB30_553
; %bb.546:
	v_add_nc_u32_e32 v34, 5, v0
	ds_load_b32 v37, v131 offset:20
	v_cmp_eq_u32_e32 vcc_lo, 1, v34
	v_cndmask_b32_e32 v35, v2, v3, vcc_lo
	v_cmp_eq_u32_e32 vcc_lo, 2, v34
	s_delay_alu instid0(VALU_DEP_2) | instskip(SKIP_1) | instid1(VALU_DEP_2)
	v_cndmask_b32_e32 v35, v35, v4, vcc_lo
	v_cmp_eq_u32_e32 vcc_lo, 3, v34
	v_cndmask_b32_e32 v35, v35, v5, vcc_lo
	v_cmp_eq_u32_e32 vcc_lo, 4, v34
	s_delay_alu instid0(VALU_DEP_2) | instskip(SKIP_1) | instid1(VALU_DEP_2)
	v_cndmask_b32_e32 v35, v35, v6, vcc_lo
	;; [unrolled: 5-line block ×14, first 2 shown]
	v_cmp_eq_u32_e32 vcc_lo, 29, v34
	v_cndmask_b32_e32 v35, v35, v31, vcc_lo
	v_cmp_eq_u32_e32 vcc_lo, 30, v34
	s_delay_alu instid0(VALU_DEP_2) | instskip(SKIP_1) | instid1(VALU_DEP_1)
	v_cndmask_b32_e32 v34, v35, v32, vcc_lo
	s_wait_dscnt 0x0
	v_fmac_f32_e32 v33, v34, v37
	s_and_saveexec_b32 s8, s1
	s_cbranch_execz .LBB30_552
; %bb.547:
	v_add_nc_u32_e32 v34, 6, v0
	ds_load_b32 v37, v131 offset:24
	s_mov_b32 s1, exec_lo
	v_cmp_eq_u32_e32 vcc_lo, 1, v34
	v_cndmask_b32_e32 v35, v2, v3, vcc_lo
	v_cmp_eq_u32_e32 vcc_lo, 2, v34
	s_delay_alu instid0(VALU_DEP_2) | instskip(SKIP_1) | instid1(VALU_DEP_2)
	v_cndmask_b32_e32 v35, v35, v4, vcc_lo
	v_cmp_eq_u32_e32 vcc_lo, 3, v34
	v_cndmask_b32_e32 v35, v35, v5, vcc_lo
	v_cmp_eq_u32_e32 vcc_lo, 4, v34
	s_delay_alu instid0(VALU_DEP_2) | instskip(SKIP_1) | instid1(VALU_DEP_2)
	v_cndmask_b32_e32 v35, v35, v6, vcc_lo
	;; [unrolled: 5-line block ×14, first 2 shown]
	v_cmp_eq_u32_e32 vcc_lo, 29, v34
	v_cndmask_b32_e32 v35, v35, v31, vcc_lo
	v_cmp_eq_u32_e32 vcc_lo, 30, v34
	s_delay_alu instid0(VALU_DEP_2) | instskip(SKIP_1) | instid1(VALU_DEP_1)
	v_cndmask_b32_e32 v34, v35, v32, vcc_lo
	s_wait_dscnt 0x0
	v_fmac_f32_e32 v33, v34, v37
	v_cmpx_ne_u32_e32 2, v0
	s_cbranch_execz .LBB30_551
; %bb.548:
	v_add_nc_u32_e32 v34, 7, v0
	s_delay_alu instid0(VALU_DEP_1) | instskip(SKIP_2) | instid1(VALU_DEP_2)
	v_cmp_eq_u32_e32 vcc_lo, 1, v34
	v_cndmask_b32_e32 v35, v2, v3, vcc_lo
	v_cmp_eq_u32_e32 vcc_lo, 2, v34
	v_cndmask_b32_e32 v35, v35, v4, vcc_lo
	v_cmp_eq_u32_e32 vcc_lo, 3, v34
	s_delay_alu instid0(VALU_DEP_2) | instskip(SKIP_1) | instid1(VALU_DEP_2)
	v_cndmask_b32_e32 v35, v35, v5, vcc_lo
	v_cmp_eq_u32_e32 vcc_lo, 4, v34
	v_cndmask_b32_e32 v35, v35, v6, vcc_lo
	v_cmp_eq_u32_e32 vcc_lo, 5, v34
	s_delay_alu instid0(VALU_DEP_2) | instskip(SKIP_1) | instid1(VALU_DEP_2)
	;; [unrolled: 5-line block ×3, first 2 shown]
	v_cndmask_b32_e32 v35, v35, v9, vcc_lo
	v_cmp_eq_u32_e32 vcc_lo, 8, v34
	v_cndmask_b32_e32 v35, v35, v10, vcc_lo
	v_cmp_eq_u32_e32 vcc_lo, 9, v34
	s_delay_alu instid0(VALU_DEP_2) | instskip(SKIP_4) | instid1(VALU_DEP_2)
	v_cndmask_b32_e32 v11, v35, v11, vcc_lo
	v_cmp_eq_u32_e32 vcc_lo, 10, v34
	ds_load_b32 v35, v131 offset:28
	v_cndmask_b32_e32 v11, v11, v12, vcc_lo
	v_cmp_eq_u32_e32 vcc_lo, 11, v34
	v_cndmask_b32_e32 v11, v11, v13, vcc_lo
	v_cmp_eq_u32_e32 vcc_lo, 12, v34
	s_delay_alu instid0(VALU_DEP_2) | instskip(SKIP_1) | instid1(VALU_DEP_2)
	v_cndmask_b32_e32 v11, v11, v14, vcc_lo
	v_cmp_eq_u32_e32 vcc_lo, 13, v34
	v_cndmask_b32_e32 v11, v11, v15, vcc_lo
	v_cmp_eq_u32_e32 vcc_lo, 14, v34
	s_delay_alu instid0(VALU_DEP_2) | instskip(SKIP_1) | instid1(VALU_DEP_2)
	;; [unrolled: 5-line block ×9, first 2 shown]
	v_cndmask_b32_e32 v11, v11, v30, vcc_lo
	v_cmp_eq_u32_e32 vcc_lo, 29, v34
	v_cndmask_b32_e32 v11, v11, v31, vcc_lo
	v_cmp_eq_u32_e32 vcc_lo, 30, v34
	s_delay_alu instid0(VALU_DEP_2) | instskip(SKIP_1) | instid1(VALU_DEP_1)
	v_cndmask_b32_e32 v11, v11, v32, vcc_lo
	s_wait_dscnt 0x0
	v_fmac_f32_e32 v33, v11, v35
	s_and_saveexec_b32 s9, s0
	s_cbranch_execz .LBB30_550
; %bb.549:
	ds_load_b32 v11, v131 offset:32
	s_wait_dscnt 0x0
	v_fmac_f32_e32 v33, v10, v11
.LBB30_550:
	s_or_b32 exec_lo, exec_lo, s9
.LBB30_551:
	s_delay_alu instid0(SALU_CYCLE_1)
	s_or_b32 exec_lo, exec_lo, s1
.LBB30_552:
	s_delay_alu instid0(SALU_CYCLE_1)
	s_or_b32 exec_lo, exec_lo, s8
.LBB30_553:
	s_delay_alu instid0(SALU_CYCLE_1)
	s_or_b32 exec_lo, exec_lo, s2
.LBB30_554:
	s_delay_alu instid0(SALU_CYCLE_1)
	s_or_b32 exec_lo, exec_lo, s7
.LBB30_555:
	s_delay_alu instid0(SALU_CYCLE_1)
	s_or_b32 exec_lo, exec_lo, s3
.LBB30_556:
	s_delay_alu instid0(SALU_CYCLE_1)
	s_or_b32 exec_lo, exec_lo, s6
.LBB30_557:
	s_delay_alu instid0(SALU_CYCLE_1)
	s_or_b32 exec_lo, exec_lo, s5
	v_mov_b32_e32 v11, 0
	ds_load_b32 v11, v11 offset:36
	s_wait_dscnt 0x0
	v_mul_f32_e32 v11, v33, v11
.LBB30_558:
	s_or_b32 exec_lo, exec_lo, s4
	s_delay_alu instid0(SALU_CYCLE_1)
	s_mov_b32 s0, exec_lo
	ds_store_b32 v131, v12
	s_wait_dscnt 0x0
	s_barrier_signal -1
	s_barrier_wait -1
	v_cmpx_gt_u32_e32 10, v0
	s_cbranch_execz .LBB30_568
; %bb.559:
	v_cmp_ne_u32_e32 vcc_lo, 1, v36
	s_cbranch_vccnz .LBB30_561
; %bb.560:
	v_cmp_eq_u32_e32 vcc_lo, 1, v0
	ds_load_b32 v34, v131
	v_cndmask_b32_e32 v33, v2, v3, vcc_lo
	v_cmp_eq_u32_e32 vcc_lo, 2, v0
	s_delay_alu instid0(VALU_DEP_2) | instskip(SKIP_1) | instid1(VALU_DEP_2)
	v_cndmask_b32_e32 v33, v33, v4, vcc_lo
	v_cmp_eq_u32_e32 vcc_lo, 3, v0
	v_cndmask_b32_e32 v33, v33, v5, vcc_lo
	v_cmp_eq_u32_e32 vcc_lo, 4, v0
	s_delay_alu instid0(VALU_DEP_2) | instskip(SKIP_1) | instid1(VALU_DEP_2)
	v_cndmask_b32_e32 v33, v33, v6, vcc_lo
	v_cmp_eq_u32_e32 vcc_lo, 5, v0
	;; [unrolled: 5-line block ×14, first 2 shown]
	v_cndmask_b32_e32 v33, v33, v31, vcc_lo
	v_cmp_eq_u32_e32 vcc_lo, 30, v0
	s_delay_alu instid0(VALU_DEP_2) | instskip(SKIP_1) | instid1(VALU_DEP_1)
	v_cndmask_b32_e32 v33, v33, v32, vcc_lo
	s_wait_dscnt 0x0
	v_mul_f32_e32 v33, v33, v34
	s_cbranch_execz .LBB30_562
	s_branch .LBB30_563
.LBB30_561:
                                        ; implicit-def: $vgpr33
.LBB30_562:
	ds_load_b32 v33, v131
.LBB30_563:
	s_mov_b32 s1, exec_lo
	v_cmpx_ne_u32_e32 9, v0
	s_cbranch_execz .LBB30_567
; %bb.564:
	v_mov_b64_e32 v[34:35], v[0:1]
	v_lshl_add_u32 v37, v0, 2, 0x84
	s_mov_b32 s2, 0
.LBB30_565:                             ; =>This Inner Loop Header: Depth=1
	s_delay_alu instid0(VALU_DEP_2)
	v_add_nc_u64_e32 v[34:35], 1, v[34:35]
	ds_load_b32 v39, v37
	v_add_nc_u32_e32 v37, 4, v37
	v_cmp_eq_u32_e32 vcc_lo, 1, v34
	v_cndmask_b32_e32 v38, v2, v3, vcc_lo
	v_cmp_eq_u32_e32 vcc_lo, 2, v34
	s_delay_alu instid0(VALU_DEP_2) | instskip(SKIP_1) | instid1(VALU_DEP_2)
	v_cndmask_b32_e32 v38, v38, v4, vcc_lo
	v_cmp_eq_u32_e32 vcc_lo, 3, v34
	v_cndmask_b32_e32 v38, v38, v5, vcc_lo
	v_cmp_eq_u32_e32 vcc_lo, 4, v34
	s_delay_alu instid0(VALU_DEP_2) | instskip(SKIP_1) | instid1(VALU_DEP_2)
	v_cndmask_b32_e32 v38, v38, v6, vcc_lo
	;; [unrolled: 5-line block ×14, first 2 shown]
	v_cmp_eq_u32_e32 vcc_lo, 29, v34
	v_cndmask_b32_e32 v38, v38, v31, vcc_lo
	v_cmp_eq_u32_e32 vcc_lo, 30, v34
	s_delay_alu instid0(VALU_DEP_2) | instskip(SKIP_2) | instid1(VALU_DEP_2)
	v_cndmask_b32_e32 v38, v38, v32, vcc_lo
	v_cmp_lt_u32_e32 vcc_lo, 8, v34
	s_wait_dscnt 0x0
	v_fmac_f32_e32 v33, v38, v39
	s_or_b32 s2, vcc_lo, s2
	s_delay_alu instid0(SALU_CYCLE_1)
	s_and_not1_b32 exec_lo, exec_lo, s2
	s_cbranch_execnz .LBB30_565
; %bb.566:
	s_or_b32 exec_lo, exec_lo, s2
.LBB30_567:
	s_delay_alu instid0(SALU_CYCLE_1)
	s_or_b32 exec_lo, exec_lo, s1
	v_mov_b32_e32 v12, 0
	ds_load_b32 v12, v12 offset:40
	s_wait_dscnt 0x0
	v_mul_f32_e32 v12, v33, v12
.LBB30_568:
	s_or_b32 exec_lo, exec_lo, s0
	s_delay_alu instid0(SALU_CYCLE_1)
	s_mov_b32 s0, exec_lo
	ds_store_b32 v131, v13
	s_wait_dscnt 0x0
	s_barrier_signal -1
	s_barrier_wait -1
	v_cmpx_gt_u32_e32 11, v0
	s_cbranch_execz .LBB30_578
; %bb.569:
	v_cmp_ne_u32_e32 vcc_lo, 1, v36
	s_cbranch_vccnz .LBB30_571
; %bb.570:
	v_cmp_eq_u32_e32 vcc_lo, 1, v0
	ds_load_b32 v34, v131
	v_cndmask_b32_e32 v33, v2, v3, vcc_lo
	v_cmp_eq_u32_e32 vcc_lo, 2, v0
	s_delay_alu instid0(VALU_DEP_2) | instskip(SKIP_1) | instid1(VALU_DEP_2)
	v_cndmask_b32_e32 v33, v33, v4, vcc_lo
	v_cmp_eq_u32_e32 vcc_lo, 3, v0
	v_cndmask_b32_e32 v33, v33, v5, vcc_lo
	v_cmp_eq_u32_e32 vcc_lo, 4, v0
	s_delay_alu instid0(VALU_DEP_2) | instskip(SKIP_1) | instid1(VALU_DEP_2)
	v_cndmask_b32_e32 v33, v33, v6, vcc_lo
	v_cmp_eq_u32_e32 vcc_lo, 5, v0
	;; [unrolled: 5-line block ×14, first 2 shown]
	v_cndmask_b32_e32 v33, v33, v31, vcc_lo
	v_cmp_eq_u32_e32 vcc_lo, 30, v0
	s_delay_alu instid0(VALU_DEP_2) | instskip(SKIP_1) | instid1(VALU_DEP_1)
	v_cndmask_b32_e32 v33, v33, v32, vcc_lo
	s_wait_dscnt 0x0
	v_mul_f32_e32 v33, v33, v34
	s_cbranch_execz .LBB30_572
	s_branch .LBB30_573
.LBB30_571:
                                        ; implicit-def: $vgpr33
.LBB30_572:
	ds_load_b32 v33, v131
.LBB30_573:
	s_mov_b32 s1, exec_lo
	v_cmpx_ne_u32_e32 10, v0
	s_cbranch_execz .LBB30_577
; %bb.574:
	v_mov_b64_e32 v[34:35], v[0:1]
	v_lshl_add_u32 v37, v0, 2, 0x84
	s_mov_b32 s2, 0
.LBB30_575:                             ; =>This Inner Loop Header: Depth=1
	s_delay_alu instid0(VALU_DEP_2)
	v_add_nc_u64_e32 v[34:35], 1, v[34:35]
	ds_load_b32 v39, v37
	v_add_nc_u32_e32 v37, 4, v37
	v_cmp_eq_u32_e32 vcc_lo, 1, v34
	v_cndmask_b32_e32 v38, v2, v3, vcc_lo
	v_cmp_eq_u32_e32 vcc_lo, 2, v34
	s_delay_alu instid0(VALU_DEP_2) | instskip(SKIP_1) | instid1(VALU_DEP_2)
	v_cndmask_b32_e32 v38, v38, v4, vcc_lo
	v_cmp_eq_u32_e32 vcc_lo, 3, v34
	v_cndmask_b32_e32 v38, v38, v5, vcc_lo
	v_cmp_eq_u32_e32 vcc_lo, 4, v34
	s_delay_alu instid0(VALU_DEP_2) | instskip(SKIP_1) | instid1(VALU_DEP_2)
	v_cndmask_b32_e32 v38, v38, v6, vcc_lo
	;; [unrolled: 5-line block ×14, first 2 shown]
	v_cmp_eq_u32_e32 vcc_lo, 29, v34
	v_cndmask_b32_e32 v38, v38, v31, vcc_lo
	v_cmp_eq_u32_e32 vcc_lo, 30, v34
	s_delay_alu instid0(VALU_DEP_2) | instskip(SKIP_2) | instid1(VALU_DEP_2)
	v_cndmask_b32_e32 v38, v38, v32, vcc_lo
	v_cmp_lt_u32_e32 vcc_lo, 9, v34
	s_wait_dscnt 0x0
	v_fmac_f32_e32 v33, v38, v39
	s_or_b32 s2, vcc_lo, s2
	s_delay_alu instid0(SALU_CYCLE_1)
	s_and_not1_b32 exec_lo, exec_lo, s2
	s_cbranch_execnz .LBB30_575
; %bb.576:
	s_or_b32 exec_lo, exec_lo, s2
.LBB30_577:
	s_delay_alu instid0(SALU_CYCLE_1)
	s_or_b32 exec_lo, exec_lo, s1
	v_mov_b32_e32 v13, 0
	ds_load_b32 v13, v13 offset:44
	s_wait_dscnt 0x0
	v_mul_f32_e32 v13, v33, v13
.LBB30_578:
	s_or_b32 exec_lo, exec_lo, s0
	s_delay_alu instid0(SALU_CYCLE_1)
	s_mov_b32 s0, exec_lo
	ds_store_b32 v131, v14
	s_wait_dscnt 0x0
	s_barrier_signal -1
	s_barrier_wait -1
	v_cmpx_gt_u32_e32 12, v0
	s_cbranch_execz .LBB30_588
; %bb.579:
	v_cmp_ne_u32_e32 vcc_lo, 1, v36
	s_cbranch_vccnz .LBB30_581
; %bb.580:
	v_cmp_eq_u32_e32 vcc_lo, 1, v0
	ds_load_b32 v34, v131
	v_cndmask_b32_e32 v33, v2, v3, vcc_lo
	v_cmp_eq_u32_e32 vcc_lo, 2, v0
	s_delay_alu instid0(VALU_DEP_2) | instskip(SKIP_1) | instid1(VALU_DEP_2)
	v_cndmask_b32_e32 v33, v33, v4, vcc_lo
	v_cmp_eq_u32_e32 vcc_lo, 3, v0
	v_cndmask_b32_e32 v33, v33, v5, vcc_lo
	v_cmp_eq_u32_e32 vcc_lo, 4, v0
	s_delay_alu instid0(VALU_DEP_2) | instskip(SKIP_1) | instid1(VALU_DEP_2)
	v_cndmask_b32_e32 v33, v33, v6, vcc_lo
	v_cmp_eq_u32_e32 vcc_lo, 5, v0
	;; [unrolled: 5-line block ×14, first 2 shown]
	v_cndmask_b32_e32 v33, v33, v31, vcc_lo
	v_cmp_eq_u32_e32 vcc_lo, 30, v0
	s_delay_alu instid0(VALU_DEP_2) | instskip(SKIP_1) | instid1(VALU_DEP_1)
	v_cndmask_b32_e32 v33, v33, v32, vcc_lo
	s_wait_dscnt 0x0
	v_mul_f32_e32 v33, v33, v34
	s_cbranch_execz .LBB30_582
	s_branch .LBB30_583
.LBB30_581:
                                        ; implicit-def: $vgpr33
.LBB30_582:
	ds_load_b32 v33, v131
.LBB30_583:
	s_mov_b32 s1, exec_lo
	v_cmpx_ne_u32_e32 11, v0
	s_cbranch_execz .LBB30_587
; %bb.584:
	v_mov_b64_e32 v[34:35], v[0:1]
	v_lshl_add_u32 v37, v0, 2, 0x84
	s_mov_b32 s2, 0
.LBB30_585:                             ; =>This Inner Loop Header: Depth=1
	s_delay_alu instid0(VALU_DEP_2)
	v_add_nc_u64_e32 v[34:35], 1, v[34:35]
	ds_load_b32 v39, v37
	v_add_nc_u32_e32 v37, 4, v37
	v_cmp_eq_u32_e32 vcc_lo, 1, v34
	v_cndmask_b32_e32 v38, v2, v3, vcc_lo
	v_cmp_eq_u32_e32 vcc_lo, 2, v34
	s_delay_alu instid0(VALU_DEP_2) | instskip(SKIP_1) | instid1(VALU_DEP_2)
	v_cndmask_b32_e32 v38, v38, v4, vcc_lo
	v_cmp_eq_u32_e32 vcc_lo, 3, v34
	v_cndmask_b32_e32 v38, v38, v5, vcc_lo
	v_cmp_eq_u32_e32 vcc_lo, 4, v34
	s_delay_alu instid0(VALU_DEP_2) | instskip(SKIP_1) | instid1(VALU_DEP_2)
	v_cndmask_b32_e32 v38, v38, v6, vcc_lo
	;; [unrolled: 5-line block ×14, first 2 shown]
	v_cmp_eq_u32_e32 vcc_lo, 29, v34
	v_cndmask_b32_e32 v38, v38, v31, vcc_lo
	v_cmp_eq_u32_e32 vcc_lo, 30, v34
	s_delay_alu instid0(VALU_DEP_2) | instskip(SKIP_2) | instid1(VALU_DEP_2)
	v_cndmask_b32_e32 v38, v38, v32, vcc_lo
	v_cmp_lt_u32_e32 vcc_lo, 10, v34
	s_wait_dscnt 0x0
	v_fmac_f32_e32 v33, v38, v39
	s_or_b32 s2, vcc_lo, s2
	s_delay_alu instid0(SALU_CYCLE_1)
	s_and_not1_b32 exec_lo, exec_lo, s2
	s_cbranch_execnz .LBB30_585
; %bb.586:
	s_or_b32 exec_lo, exec_lo, s2
.LBB30_587:
	s_delay_alu instid0(SALU_CYCLE_1)
	s_or_b32 exec_lo, exec_lo, s1
	v_mov_b32_e32 v14, 0
	ds_load_b32 v14, v14 offset:48
	s_wait_dscnt 0x0
	v_mul_f32_e32 v14, v33, v14
.LBB30_588:
	s_or_b32 exec_lo, exec_lo, s0
	s_delay_alu instid0(SALU_CYCLE_1)
	s_mov_b32 s0, exec_lo
	ds_store_b32 v131, v15
	s_wait_dscnt 0x0
	s_barrier_signal -1
	s_barrier_wait -1
	v_cmpx_gt_u32_e32 13, v0
	s_cbranch_execz .LBB30_598
; %bb.589:
	v_cmp_ne_u32_e32 vcc_lo, 1, v36
	s_cbranch_vccnz .LBB30_591
; %bb.590:
	v_cmp_eq_u32_e32 vcc_lo, 1, v0
	ds_load_b32 v34, v131
	v_cndmask_b32_e32 v33, v2, v3, vcc_lo
	v_cmp_eq_u32_e32 vcc_lo, 2, v0
	s_delay_alu instid0(VALU_DEP_2) | instskip(SKIP_1) | instid1(VALU_DEP_2)
	v_cndmask_b32_e32 v33, v33, v4, vcc_lo
	v_cmp_eq_u32_e32 vcc_lo, 3, v0
	v_cndmask_b32_e32 v33, v33, v5, vcc_lo
	v_cmp_eq_u32_e32 vcc_lo, 4, v0
	s_delay_alu instid0(VALU_DEP_2) | instskip(SKIP_1) | instid1(VALU_DEP_2)
	v_cndmask_b32_e32 v33, v33, v6, vcc_lo
	v_cmp_eq_u32_e32 vcc_lo, 5, v0
	;; [unrolled: 5-line block ×14, first 2 shown]
	v_cndmask_b32_e32 v33, v33, v31, vcc_lo
	v_cmp_eq_u32_e32 vcc_lo, 30, v0
	s_delay_alu instid0(VALU_DEP_2) | instskip(SKIP_1) | instid1(VALU_DEP_1)
	v_cndmask_b32_e32 v33, v33, v32, vcc_lo
	s_wait_dscnt 0x0
	v_mul_f32_e32 v33, v33, v34
	s_cbranch_execz .LBB30_592
	s_branch .LBB30_593
.LBB30_591:
                                        ; implicit-def: $vgpr33
.LBB30_592:
	ds_load_b32 v33, v131
.LBB30_593:
	s_mov_b32 s1, exec_lo
	v_cmpx_ne_u32_e32 12, v0
	s_cbranch_execz .LBB30_597
; %bb.594:
	v_mov_b64_e32 v[34:35], v[0:1]
	v_lshl_add_u32 v37, v0, 2, 0x84
	s_mov_b32 s2, 0
.LBB30_595:                             ; =>This Inner Loop Header: Depth=1
	s_delay_alu instid0(VALU_DEP_2)
	v_add_nc_u64_e32 v[34:35], 1, v[34:35]
	ds_load_b32 v39, v37
	v_add_nc_u32_e32 v37, 4, v37
	v_cmp_eq_u32_e32 vcc_lo, 1, v34
	v_cndmask_b32_e32 v38, v2, v3, vcc_lo
	v_cmp_eq_u32_e32 vcc_lo, 2, v34
	s_delay_alu instid0(VALU_DEP_2) | instskip(SKIP_1) | instid1(VALU_DEP_2)
	v_cndmask_b32_e32 v38, v38, v4, vcc_lo
	v_cmp_eq_u32_e32 vcc_lo, 3, v34
	v_cndmask_b32_e32 v38, v38, v5, vcc_lo
	v_cmp_eq_u32_e32 vcc_lo, 4, v34
	s_delay_alu instid0(VALU_DEP_2) | instskip(SKIP_1) | instid1(VALU_DEP_2)
	v_cndmask_b32_e32 v38, v38, v6, vcc_lo
	;; [unrolled: 5-line block ×14, first 2 shown]
	v_cmp_eq_u32_e32 vcc_lo, 29, v34
	v_cndmask_b32_e32 v38, v38, v31, vcc_lo
	v_cmp_eq_u32_e32 vcc_lo, 30, v34
	s_delay_alu instid0(VALU_DEP_2) | instskip(SKIP_2) | instid1(VALU_DEP_2)
	v_cndmask_b32_e32 v38, v38, v32, vcc_lo
	v_cmp_lt_u32_e32 vcc_lo, 11, v34
	s_wait_dscnt 0x0
	v_fmac_f32_e32 v33, v38, v39
	s_or_b32 s2, vcc_lo, s2
	s_delay_alu instid0(SALU_CYCLE_1)
	s_and_not1_b32 exec_lo, exec_lo, s2
	s_cbranch_execnz .LBB30_595
; %bb.596:
	s_or_b32 exec_lo, exec_lo, s2
.LBB30_597:
	s_delay_alu instid0(SALU_CYCLE_1)
	s_or_b32 exec_lo, exec_lo, s1
	v_mov_b32_e32 v15, 0
	ds_load_b32 v15, v15 offset:52
	s_wait_dscnt 0x0
	v_mul_f32_e32 v15, v33, v15
.LBB30_598:
	s_or_b32 exec_lo, exec_lo, s0
	s_delay_alu instid0(SALU_CYCLE_1)
	s_mov_b32 s0, exec_lo
	ds_store_b32 v131, v16
	s_wait_dscnt 0x0
	s_barrier_signal -1
	s_barrier_wait -1
	v_cmpx_gt_u32_e32 14, v0
	s_cbranch_execz .LBB30_608
; %bb.599:
	v_cmp_ne_u32_e32 vcc_lo, 1, v36
	s_cbranch_vccnz .LBB30_601
; %bb.600:
	v_cmp_eq_u32_e32 vcc_lo, 1, v0
	ds_load_b32 v34, v131
	v_cndmask_b32_e32 v33, v2, v3, vcc_lo
	v_cmp_eq_u32_e32 vcc_lo, 2, v0
	s_delay_alu instid0(VALU_DEP_2) | instskip(SKIP_1) | instid1(VALU_DEP_2)
	v_cndmask_b32_e32 v33, v33, v4, vcc_lo
	v_cmp_eq_u32_e32 vcc_lo, 3, v0
	v_cndmask_b32_e32 v33, v33, v5, vcc_lo
	v_cmp_eq_u32_e32 vcc_lo, 4, v0
	s_delay_alu instid0(VALU_DEP_2) | instskip(SKIP_1) | instid1(VALU_DEP_2)
	v_cndmask_b32_e32 v33, v33, v6, vcc_lo
	v_cmp_eq_u32_e32 vcc_lo, 5, v0
	;; [unrolled: 5-line block ×14, first 2 shown]
	v_cndmask_b32_e32 v33, v33, v31, vcc_lo
	v_cmp_eq_u32_e32 vcc_lo, 30, v0
	s_delay_alu instid0(VALU_DEP_2) | instskip(SKIP_1) | instid1(VALU_DEP_1)
	v_cndmask_b32_e32 v33, v33, v32, vcc_lo
	s_wait_dscnt 0x0
	v_mul_f32_e32 v33, v33, v34
	s_cbranch_execz .LBB30_602
	s_branch .LBB30_603
.LBB30_601:
                                        ; implicit-def: $vgpr33
.LBB30_602:
	ds_load_b32 v33, v131
.LBB30_603:
	s_mov_b32 s1, exec_lo
	v_cmpx_ne_u32_e32 13, v0
	s_cbranch_execz .LBB30_607
; %bb.604:
	v_mov_b64_e32 v[34:35], v[0:1]
	v_lshl_add_u32 v37, v0, 2, 0x84
	s_mov_b32 s2, 0
.LBB30_605:                             ; =>This Inner Loop Header: Depth=1
	s_delay_alu instid0(VALU_DEP_2)
	v_add_nc_u64_e32 v[34:35], 1, v[34:35]
	ds_load_b32 v39, v37
	v_add_nc_u32_e32 v37, 4, v37
	v_cmp_eq_u32_e32 vcc_lo, 1, v34
	v_cndmask_b32_e32 v38, v2, v3, vcc_lo
	v_cmp_eq_u32_e32 vcc_lo, 2, v34
	s_delay_alu instid0(VALU_DEP_2) | instskip(SKIP_1) | instid1(VALU_DEP_2)
	v_cndmask_b32_e32 v38, v38, v4, vcc_lo
	v_cmp_eq_u32_e32 vcc_lo, 3, v34
	v_cndmask_b32_e32 v38, v38, v5, vcc_lo
	v_cmp_eq_u32_e32 vcc_lo, 4, v34
	s_delay_alu instid0(VALU_DEP_2) | instskip(SKIP_1) | instid1(VALU_DEP_2)
	v_cndmask_b32_e32 v38, v38, v6, vcc_lo
	;; [unrolled: 5-line block ×14, first 2 shown]
	v_cmp_eq_u32_e32 vcc_lo, 29, v34
	v_cndmask_b32_e32 v38, v38, v31, vcc_lo
	v_cmp_eq_u32_e32 vcc_lo, 30, v34
	s_delay_alu instid0(VALU_DEP_2) | instskip(SKIP_2) | instid1(VALU_DEP_2)
	v_cndmask_b32_e32 v38, v38, v32, vcc_lo
	v_cmp_lt_u32_e32 vcc_lo, 12, v34
	s_wait_dscnt 0x0
	v_fmac_f32_e32 v33, v38, v39
	s_or_b32 s2, vcc_lo, s2
	s_delay_alu instid0(SALU_CYCLE_1)
	s_and_not1_b32 exec_lo, exec_lo, s2
	s_cbranch_execnz .LBB30_605
; %bb.606:
	s_or_b32 exec_lo, exec_lo, s2
.LBB30_607:
	s_delay_alu instid0(SALU_CYCLE_1)
	s_or_b32 exec_lo, exec_lo, s1
	v_mov_b32_e32 v16, 0
	ds_load_b32 v16, v16 offset:56
	s_wait_dscnt 0x0
	v_mul_f32_e32 v16, v33, v16
.LBB30_608:
	s_or_b32 exec_lo, exec_lo, s0
	s_delay_alu instid0(SALU_CYCLE_1)
	s_mov_b32 s0, exec_lo
	ds_store_b32 v131, v17
	s_wait_dscnt 0x0
	s_barrier_signal -1
	s_barrier_wait -1
	v_cmpx_gt_u32_e32 15, v0
	s_cbranch_execz .LBB30_618
; %bb.609:
	v_cmp_ne_u32_e32 vcc_lo, 1, v36
	s_cbranch_vccnz .LBB30_611
; %bb.610:
	v_cmp_eq_u32_e32 vcc_lo, 1, v0
	ds_load_b32 v34, v131
	v_cndmask_b32_e32 v33, v2, v3, vcc_lo
	v_cmp_eq_u32_e32 vcc_lo, 2, v0
	s_delay_alu instid0(VALU_DEP_2) | instskip(SKIP_1) | instid1(VALU_DEP_2)
	v_cndmask_b32_e32 v33, v33, v4, vcc_lo
	v_cmp_eq_u32_e32 vcc_lo, 3, v0
	v_cndmask_b32_e32 v33, v33, v5, vcc_lo
	v_cmp_eq_u32_e32 vcc_lo, 4, v0
	s_delay_alu instid0(VALU_DEP_2) | instskip(SKIP_1) | instid1(VALU_DEP_2)
	v_cndmask_b32_e32 v33, v33, v6, vcc_lo
	v_cmp_eq_u32_e32 vcc_lo, 5, v0
	;; [unrolled: 5-line block ×14, first 2 shown]
	v_cndmask_b32_e32 v33, v33, v31, vcc_lo
	v_cmp_eq_u32_e32 vcc_lo, 30, v0
	s_delay_alu instid0(VALU_DEP_2) | instskip(SKIP_1) | instid1(VALU_DEP_1)
	v_cndmask_b32_e32 v33, v33, v32, vcc_lo
	s_wait_dscnt 0x0
	v_mul_f32_e32 v33, v33, v34
	s_cbranch_execz .LBB30_612
	s_branch .LBB30_613
.LBB30_611:
                                        ; implicit-def: $vgpr33
.LBB30_612:
	ds_load_b32 v33, v131
.LBB30_613:
	s_mov_b32 s1, exec_lo
	v_cmpx_ne_u32_e32 14, v0
	s_cbranch_execz .LBB30_617
; %bb.614:
	v_mov_b64_e32 v[34:35], v[0:1]
	v_lshl_add_u32 v37, v0, 2, 0x84
	s_mov_b32 s2, 0
.LBB30_615:                             ; =>This Inner Loop Header: Depth=1
	s_delay_alu instid0(VALU_DEP_2)
	v_add_nc_u64_e32 v[34:35], 1, v[34:35]
	ds_load_b32 v39, v37
	v_add_nc_u32_e32 v37, 4, v37
	v_cmp_eq_u32_e32 vcc_lo, 1, v34
	v_cndmask_b32_e32 v38, v2, v3, vcc_lo
	v_cmp_eq_u32_e32 vcc_lo, 2, v34
	s_delay_alu instid0(VALU_DEP_2) | instskip(SKIP_1) | instid1(VALU_DEP_2)
	v_cndmask_b32_e32 v38, v38, v4, vcc_lo
	v_cmp_eq_u32_e32 vcc_lo, 3, v34
	v_cndmask_b32_e32 v38, v38, v5, vcc_lo
	v_cmp_eq_u32_e32 vcc_lo, 4, v34
	s_delay_alu instid0(VALU_DEP_2) | instskip(SKIP_1) | instid1(VALU_DEP_2)
	v_cndmask_b32_e32 v38, v38, v6, vcc_lo
	v_cmp_eq_u32_e32 vcc_lo, 5, v34
	v_cndmask_b32_e32 v38, v38, v7, vcc_lo
	v_cmp_eq_u32_e32 vcc_lo, 6, v34
	s_delay_alu instid0(VALU_DEP_2) | instskip(SKIP_1) | instid1(VALU_DEP_2)
	v_cndmask_b32_e32 v38, v38, v8, vcc_lo
	v_cmp_eq_u32_e32 vcc_lo, 7, v34
	v_cndmask_b32_e32 v38, v38, v9, vcc_lo
	v_cmp_eq_u32_e32 vcc_lo, 8, v34
	s_delay_alu instid0(VALU_DEP_2) | instskip(SKIP_1) | instid1(VALU_DEP_2)
	v_cndmask_b32_e32 v38, v38, v10, vcc_lo
	v_cmp_eq_u32_e32 vcc_lo, 9, v34
	v_cndmask_b32_e32 v38, v38, v11, vcc_lo
	v_cmp_eq_u32_e32 vcc_lo, 10, v34
	s_delay_alu instid0(VALU_DEP_2) | instskip(SKIP_1) | instid1(VALU_DEP_2)
	v_cndmask_b32_e32 v38, v38, v12, vcc_lo
	v_cmp_eq_u32_e32 vcc_lo, 11, v34
	v_cndmask_b32_e32 v38, v38, v13, vcc_lo
	v_cmp_eq_u32_e32 vcc_lo, 12, v34
	s_delay_alu instid0(VALU_DEP_2) | instskip(SKIP_1) | instid1(VALU_DEP_2)
	v_cndmask_b32_e32 v38, v38, v14, vcc_lo
	v_cmp_eq_u32_e32 vcc_lo, 13, v34
	v_cndmask_b32_e32 v38, v38, v15, vcc_lo
	v_cmp_eq_u32_e32 vcc_lo, 14, v34
	s_delay_alu instid0(VALU_DEP_2) | instskip(SKIP_1) | instid1(VALU_DEP_2)
	v_cndmask_b32_e32 v38, v38, v16, vcc_lo
	v_cmp_eq_u32_e32 vcc_lo, 15, v34
	v_cndmask_b32_e32 v38, v38, v17, vcc_lo
	v_cmp_eq_u32_e32 vcc_lo, 16, v34
	s_delay_alu instid0(VALU_DEP_2) | instskip(SKIP_1) | instid1(VALU_DEP_2)
	v_cndmask_b32_e32 v38, v38, v18, vcc_lo
	v_cmp_eq_u32_e32 vcc_lo, 17, v34
	v_cndmask_b32_e32 v38, v38, v19, vcc_lo
	v_cmp_eq_u32_e32 vcc_lo, 18, v34
	s_delay_alu instid0(VALU_DEP_2) | instskip(SKIP_1) | instid1(VALU_DEP_2)
	v_cndmask_b32_e32 v38, v38, v20, vcc_lo
	v_cmp_eq_u32_e32 vcc_lo, 19, v34
	v_cndmask_b32_e32 v38, v38, v21, vcc_lo
	v_cmp_eq_u32_e32 vcc_lo, 20, v34
	s_delay_alu instid0(VALU_DEP_2) | instskip(SKIP_1) | instid1(VALU_DEP_2)
	v_cndmask_b32_e32 v38, v38, v22, vcc_lo
	v_cmp_eq_u32_e32 vcc_lo, 21, v34
	v_cndmask_b32_e32 v38, v38, v23, vcc_lo
	v_cmp_eq_u32_e32 vcc_lo, 22, v34
	s_delay_alu instid0(VALU_DEP_2) | instskip(SKIP_1) | instid1(VALU_DEP_2)
	v_cndmask_b32_e32 v38, v38, v24, vcc_lo
	v_cmp_eq_u32_e32 vcc_lo, 23, v34
	v_cndmask_b32_e32 v38, v38, v25, vcc_lo
	v_cmp_eq_u32_e32 vcc_lo, 24, v34
	s_delay_alu instid0(VALU_DEP_2) | instskip(SKIP_1) | instid1(VALU_DEP_2)
	v_cndmask_b32_e32 v38, v38, v26, vcc_lo
	v_cmp_eq_u32_e32 vcc_lo, 25, v34
	v_cndmask_b32_e32 v38, v38, v27, vcc_lo
	v_cmp_eq_u32_e32 vcc_lo, 26, v34
	s_delay_alu instid0(VALU_DEP_2) | instskip(SKIP_1) | instid1(VALU_DEP_2)
	v_cndmask_b32_e32 v38, v38, v28, vcc_lo
	v_cmp_eq_u32_e32 vcc_lo, 27, v34
	v_cndmask_b32_e32 v38, v38, v29, vcc_lo
	v_cmp_eq_u32_e32 vcc_lo, 28, v34
	s_delay_alu instid0(VALU_DEP_2) | instskip(SKIP_1) | instid1(VALU_DEP_2)
	v_cndmask_b32_e32 v38, v38, v30, vcc_lo
	v_cmp_eq_u32_e32 vcc_lo, 29, v34
	v_cndmask_b32_e32 v38, v38, v31, vcc_lo
	v_cmp_eq_u32_e32 vcc_lo, 30, v34
	s_delay_alu instid0(VALU_DEP_2) | instskip(SKIP_2) | instid1(VALU_DEP_2)
	v_cndmask_b32_e32 v38, v38, v32, vcc_lo
	v_cmp_lt_u32_e32 vcc_lo, 13, v34
	s_wait_dscnt 0x0
	v_fmac_f32_e32 v33, v38, v39
	s_or_b32 s2, vcc_lo, s2
	s_delay_alu instid0(SALU_CYCLE_1)
	s_and_not1_b32 exec_lo, exec_lo, s2
	s_cbranch_execnz .LBB30_615
; %bb.616:
	s_or_b32 exec_lo, exec_lo, s2
.LBB30_617:
	s_delay_alu instid0(SALU_CYCLE_1)
	s_or_b32 exec_lo, exec_lo, s1
	v_mov_b32_e32 v17, 0
	ds_load_b32 v17, v17 offset:60
	s_wait_dscnt 0x0
	v_mul_f32_e32 v17, v33, v17
.LBB30_618:
	s_or_b32 exec_lo, exec_lo, s0
	s_delay_alu instid0(SALU_CYCLE_1)
	s_mov_b32 s0, exec_lo
	ds_store_b32 v131, v18
	s_wait_dscnt 0x0
	s_barrier_signal -1
	s_barrier_wait -1
	v_cmpx_gt_u32_e32 16, v0
	s_cbranch_execz .LBB30_628
; %bb.619:
	v_cmp_ne_u32_e32 vcc_lo, 1, v36
	s_cbranch_vccnz .LBB30_621
; %bb.620:
	v_cmp_eq_u32_e32 vcc_lo, 1, v0
	ds_load_b32 v34, v131
	v_cndmask_b32_e32 v33, v2, v3, vcc_lo
	v_cmp_eq_u32_e32 vcc_lo, 2, v0
	s_delay_alu instid0(VALU_DEP_2) | instskip(SKIP_1) | instid1(VALU_DEP_2)
	v_cndmask_b32_e32 v33, v33, v4, vcc_lo
	v_cmp_eq_u32_e32 vcc_lo, 3, v0
	v_cndmask_b32_e32 v33, v33, v5, vcc_lo
	v_cmp_eq_u32_e32 vcc_lo, 4, v0
	s_delay_alu instid0(VALU_DEP_2) | instskip(SKIP_1) | instid1(VALU_DEP_2)
	v_cndmask_b32_e32 v33, v33, v6, vcc_lo
	v_cmp_eq_u32_e32 vcc_lo, 5, v0
	;; [unrolled: 5-line block ×14, first 2 shown]
	v_cndmask_b32_e32 v33, v33, v31, vcc_lo
	v_cmp_eq_u32_e32 vcc_lo, 30, v0
	s_delay_alu instid0(VALU_DEP_2) | instskip(SKIP_1) | instid1(VALU_DEP_1)
	v_cndmask_b32_e32 v33, v33, v32, vcc_lo
	s_wait_dscnt 0x0
	v_mul_f32_e32 v33, v33, v34
	s_cbranch_execz .LBB30_622
	s_branch .LBB30_623
.LBB30_621:
                                        ; implicit-def: $vgpr33
.LBB30_622:
	ds_load_b32 v33, v131
.LBB30_623:
	s_mov_b32 s1, exec_lo
	v_cmpx_ne_u32_e32 15, v0
	s_cbranch_execz .LBB30_627
; %bb.624:
	v_mov_b64_e32 v[34:35], v[0:1]
	v_lshl_add_u32 v37, v0, 2, 0x84
	s_mov_b32 s2, 0
.LBB30_625:                             ; =>This Inner Loop Header: Depth=1
	s_delay_alu instid0(VALU_DEP_2)
	v_add_nc_u64_e32 v[34:35], 1, v[34:35]
	ds_load_b32 v39, v37
	v_add_nc_u32_e32 v37, 4, v37
	v_cmp_eq_u32_e32 vcc_lo, 1, v34
	v_cndmask_b32_e32 v38, v2, v3, vcc_lo
	v_cmp_eq_u32_e32 vcc_lo, 2, v34
	s_delay_alu instid0(VALU_DEP_2) | instskip(SKIP_1) | instid1(VALU_DEP_2)
	v_cndmask_b32_e32 v38, v38, v4, vcc_lo
	v_cmp_eq_u32_e32 vcc_lo, 3, v34
	v_cndmask_b32_e32 v38, v38, v5, vcc_lo
	v_cmp_eq_u32_e32 vcc_lo, 4, v34
	s_delay_alu instid0(VALU_DEP_2) | instskip(SKIP_1) | instid1(VALU_DEP_2)
	v_cndmask_b32_e32 v38, v38, v6, vcc_lo
	;; [unrolled: 5-line block ×14, first 2 shown]
	v_cmp_eq_u32_e32 vcc_lo, 29, v34
	v_cndmask_b32_e32 v38, v38, v31, vcc_lo
	v_cmp_eq_u32_e32 vcc_lo, 30, v34
	s_delay_alu instid0(VALU_DEP_2) | instskip(SKIP_2) | instid1(VALU_DEP_2)
	v_cndmask_b32_e32 v38, v38, v32, vcc_lo
	v_cmp_lt_u32_e32 vcc_lo, 14, v34
	s_wait_dscnt 0x0
	v_fmac_f32_e32 v33, v38, v39
	s_or_b32 s2, vcc_lo, s2
	s_delay_alu instid0(SALU_CYCLE_1)
	s_and_not1_b32 exec_lo, exec_lo, s2
	s_cbranch_execnz .LBB30_625
; %bb.626:
	s_or_b32 exec_lo, exec_lo, s2
.LBB30_627:
	s_delay_alu instid0(SALU_CYCLE_1)
	s_or_b32 exec_lo, exec_lo, s1
	v_mov_b32_e32 v18, 0
	ds_load_b32 v18, v18 offset:64
	s_wait_dscnt 0x0
	v_mul_f32_e32 v18, v33, v18
.LBB30_628:
	s_or_b32 exec_lo, exec_lo, s0
	s_delay_alu instid0(SALU_CYCLE_1)
	s_mov_b32 s0, exec_lo
	ds_store_b32 v131, v19
	s_wait_dscnt 0x0
	s_barrier_signal -1
	s_barrier_wait -1
	v_cmpx_gt_u32_e32 17, v0
	s_cbranch_execz .LBB30_638
; %bb.629:
	v_cmp_ne_u32_e32 vcc_lo, 1, v36
	s_cbranch_vccnz .LBB30_631
; %bb.630:
	v_cmp_eq_u32_e32 vcc_lo, 1, v0
	ds_load_b32 v34, v131
	v_cndmask_b32_e32 v33, v2, v3, vcc_lo
	v_cmp_eq_u32_e32 vcc_lo, 2, v0
	s_delay_alu instid0(VALU_DEP_2) | instskip(SKIP_1) | instid1(VALU_DEP_2)
	v_cndmask_b32_e32 v33, v33, v4, vcc_lo
	v_cmp_eq_u32_e32 vcc_lo, 3, v0
	v_cndmask_b32_e32 v33, v33, v5, vcc_lo
	v_cmp_eq_u32_e32 vcc_lo, 4, v0
	s_delay_alu instid0(VALU_DEP_2) | instskip(SKIP_1) | instid1(VALU_DEP_2)
	v_cndmask_b32_e32 v33, v33, v6, vcc_lo
	v_cmp_eq_u32_e32 vcc_lo, 5, v0
	;; [unrolled: 5-line block ×14, first 2 shown]
	v_cndmask_b32_e32 v33, v33, v31, vcc_lo
	v_cmp_eq_u32_e32 vcc_lo, 30, v0
	s_delay_alu instid0(VALU_DEP_2) | instskip(SKIP_1) | instid1(VALU_DEP_1)
	v_cndmask_b32_e32 v33, v33, v32, vcc_lo
	s_wait_dscnt 0x0
	v_mul_f32_e32 v33, v33, v34
	s_cbranch_execz .LBB30_632
	s_branch .LBB30_633
.LBB30_631:
                                        ; implicit-def: $vgpr33
.LBB30_632:
	ds_load_b32 v33, v131
.LBB30_633:
	s_mov_b32 s1, exec_lo
	v_cmpx_ne_u32_e32 16, v0
	s_cbranch_execz .LBB30_637
; %bb.634:
	v_mov_b64_e32 v[34:35], v[0:1]
	v_lshl_add_u32 v37, v0, 2, 0x84
	s_mov_b32 s2, 0
.LBB30_635:                             ; =>This Inner Loop Header: Depth=1
	s_delay_alu instid0(VALU_DEP_2)
	v_add_nc_u64_e32 v[34:35], 1, v[34:35]
	ds_load_b32 v39, v37
	v_add_nc_u32_e32 v37, 4, v37
	v_cmp_eq_u32_e32 vcc_lo, 1, v34
	v_cndmask_b32_e32 v38, v2, v3, vcc_lo
	v_cmp_eq_u32_e32 vcc_lo, 2, v34
	s_delay_alu instid0(VALU_DEP_2) | instskip(SKIP_1) | instid1(VALU_DEP_2)
	v_cndmask_b32_e32 v38, v38, v4, vcc_lo
	v_cmp_eq_u32_e32 vcc_lo, 3, v34
	v_cndmask_b32_e32 v38, v38, v5, vcc_lo
	v_cmp_eq_u32_e32 vcc_lo, 4, v34
	s_delay_alu instid0(VALU_DEP_2) | instskip(SKIP_1) | instid1(VALU_DEP_2)
	v_cndmask_b32_e32 v38, v38, v6, vcc_lo
	;; [unrolled: 5-line block ×14, first 2 shown]
	v_cmp_eq_u32_e32 vcc_lo, 29, v34
	v_cndmask_b32_e32 v38, v38, v31, vcc_lo
	v_cmp_eq_u32_e32 vcc_lo, 30, v34
	s_delay_alu instid0(VALU_DEP_2) | instskip(SKIP_2) | instid1(VALU_DEP_2)
	v_cndmask_b32_e32 v38, v38, v32, vcc_lo
	v_cmp_lt_u32_e32 vcc_lo, 15, v34
	s_wait_dscnt 0x0
	v_fmac_f32_e32 v33, v38, v39
	s_or_b32 s2, vcc_lo, s2
	s_delay_alu instid0(SALU_CYCLE_1)
	s_and_not1_b32 exec_lo, exec_lo, s2
	s_cbranch_execnz .LBB30_635
; %bb.636:
	s_or_b32 exec_lo, exec_lo, s2
.LBB30_637:
	s_delay_alu instid0(SALU_CYCLE_1)
	s_or_b32 exec_lo, exec_lo, s1
	v_mov_b32_e32 v19, 0
	ds_load_b32 v19, v19 offset:68
	s_wait_dscnt 0x0
	v_mul_f32_e32 v19, v33, v19
.LBB30_638:
	s_or_b32 exec_lo, exec_lo, s0
	s_delay_alu instid0(SALU_CYCLE_1)
	s_mov_b32 s0, exec_lo
	ds_store_b32 v131, v20
	s_wait_dscnt 0x0
	s_barrier_signal -1
	s_barrier_wait -1
	v_cmpx_gt_u32_e32 18, v0
	s_cbranch_execz .LBB30_648
; %bb.639:
	v_cmp_ne_u32_e32 vcc_lo, 1, v36
	s_cbranch_vccnz .LBB30_641
; %bb.640:
	v_cmp_eq_u32_e32 vcc_lo, 1, v0
	ds_load_b32 v34, v131
	v_cndmask_b32_e32 v33, v2, v3, vcc_lo
	v_cmp_eq_u32_e32 vcc_lo, 2, v0
	s_delay_alu instid0(VALU_DEP_2) | instskip(SKIP_1) | instid1(VALU_DEP_2)
	v_cndmask_b32_e32 v33, v33, v4, vcc_lo
	v_cmp_eq_u32_e32 vcc_lo, 3, v0
	v_cndmask_b32_e32 v33, v33, v5, vcc_lo
	v_cmp_eq_u32_e32 vcc_lo, 4, v0
	s_delay_alu instid0(VALU_DEP_2) | instskip(SKIP_1) | instid1(VALU_DEP_2)
	v_cndmask_b32_e32 v33, v33, v6, vcc_lo
	v_cmp_eq_u32_e32 vcc_lo, 5, v0
	;; [unrolled: 5-line block ×14, first 2 shown]
	v_cndmask_b32_e32 v33, v33, v31, vcc_lo
	v_cmp_eq_u32_e32 vcc_lo, 30, v0
	s_delay_alu instid0(VALU_DEP_2) | instskip(SKIP_1) | instid1(VALU_DEP_1)
	v_cndmask_b32_e32 v33, v33, v32, vcc_lo
	s_wait_dscnt 0x0
	v_mul_f32_e32 v33, v33, v34
	s_cbranch_execz .LBB30_642
	s_branch .LBB30_643
.LBB30_641:
                                        ; implicit-def: $vgpr33
.LBB30_642:
	ds_load_b32 v33, v131
.LBB30_643:
	s_mov_b32 s1, exec_lo
	v_cmpx_ne_u32_e32 17, v0
	s_cbranch_execz .LBB30_647
; %bb.644:
	v_mov_b64_e32 v[34:35], v[0:1]
	v_lshl_add_u32 v37, v0, 2, 0x84
	s_mov_b32 s2, 0
.LBB30_645:                             ; =>This Inner Loop Header: Depth=1
	s_delay_alu instid0(VALU_DEP_2)
	v_add_nc_u64_e32 v[34:35], 1, v[34:35]
	ds_load_b32 v39, v37
	v_add_nc_u32_e32 v37, 4, v37
	v_cmp_eq_u32_e32 vcc_lo, 1, v34
	v_cndmask_b32_e32 v38, v2, v3, vcc_lo
	v_cmp_eq_u32_e32 vcc_lo, 2, v34
	s_delay_alu instid0(VALU_DEP_2) | instskip(SKIP_1) | instid1(VALU_DEP_2)
	v_cndmask_b32_e32 v38, v38, v4, vcc_lo
	v_cmp_eq_u32_e32 vcc_lo, 3, v34
	v_cndmask_b32_e32 v38, v38, v5, vcc_lo
	v_cmp_eq_u32_e32 vcc_lo, 4, v34
	s_delay_alu instid0(VALU_DEP_2) | instskip(SKIP_1) | instid1(VALU_DEP_2)
	v_cndmask_b32_e32 v38, v38, v6, vcc_lo
	;; [unrolled: 5-line block ×14, first 2 shown]
	v_cmp_eq_u32_e32 vcc_lo, 29, v34
	v_cndmask_b32_e32 v38, v38, v31, vcc_lo
	v_cmp_eq_u32_e32 vcc_lo, 30, v34
	s_delay_alu instid0(VALU_DEP_2) | instskip(SKIP_2) | instid1(VALU_DEP_2)
	v_cndmask_b32_e32 v38, v38, v32, vcc_lo
	v_cmp_lt_u32_e32 vcc_lo, 16, v34
	s_wait_dscnt 0x0
	v_fmac_f32_e32 v33, v38, v39
	s_or_b32 s2, vcc_lo, s2
	s_delay_alu instid0(SALU_CYCLE_1)
	s_and_not1_b32 exec_lo, exec_lo, s2
	s_cbranch_execnz .LBB30_645
; %bb.646:
	s_or_b32 exec_lo, exec_lo, s2
.LBB30_647:
	s_delay_alu instid0(SALU_CYCLE_1)
	s_or_b32 exec_lo, exec_lo, s1
	v_mov_b32_e32 v20, 0
	ds_load_b32 v20, v20 offset:72
	s_wait_dscnt 0x0
	v_mul_f32_e32 v20, v33, v20
.LBB30_648:
	s_or_b32 exec_lo, exec_lo, s0
	s_delay_alu instid0(SALU_CYCLE_1)
	s_mov_b32 s0, exec_lo
	ds_store_b32 v131, v21
	s_wait_dscnt 0x0
	s_barrier_signal -1
	s_barrier_wait -1
	v_cmpx_gt_u32_e32 19, v0
	s_cbranch_execz .LBB30_658
; %bb.649:
	v_cmp_ne_u32_e32 vcc_lo, 1, v36
	s_cbranch_vccnz .LBB30_651
; %bb.650:
	v_cmp_eq_u32_e32 vcc_lo, 1, v0
	ds_load_b32 v34, v131
	v_cndmask_b32_e32 v33, v2, v3, vcc_lo
	v_cmp_eq_u32_e32 vcc_lo, 2, v0
	s_delay_alu instid0(VALU_DEP_2) | instskip(SKIP_1) | instid1(VALU_DEP_2)
	v_cndmask_b32_e32 v33, v33, v4, vcc_lo
	v_cmp_eq_u32_e32 vcc_lo, 3, v0
	v_cndmask_b32_e32 v33, v33, v5, vcc_lo
	v_cmp_eq_u32_e32 vcc_lo, 4, v0
	s_delay_alu instid0(VALU_DEP_2) | instskip(SKIP_1) | instid1(VALU_DEP_2)
	v_cndmask_b32_e32 v33, v33, v6, vcc_lo
	v_cmp_eq_u32_e32 vcc_lo, 5, v0
	v_cndmask_b32_e32 v33, v33, v7, vcc_lo
	v_cmp_eq_u32_e32 vcc_lo, 6, v0
	s_delay_alu instid0(VALU_DEP_2) | instskip(SKIP_1) | instid1(VALU_DEP_2)
	v_cndmask_b32_e32 v33, v33, v8, vcc_lo
	v_cmp_eq_u32_e32 vcc_lo, 7, v0
	v_cndmask_b32_e32 v33, v33, v9, vcc_lo
	v_cmp_eq_u32_e32 vcc_lo, 8, v0
	s_delay_alu instid0(VALU_DEP_2) | instskip(SKIP_1) | instid1(VALU_DEP_2)
	v_cndmask_b32_e32 v33, v33, v10, vcc_lo
	v_cmp_eq_u32_e32 vcc_lo, 9, v0
	v_cndmask_b32_e32 v33, v33, v11, vcc_lo
	v_cmp_eq_u32_e32 vcc_lo, 10, v0
	s_delay_alu instid0(VALU_DEP_2) | instskip(SKIP_1) | instid1(VALU_DEP_2)
	v_cndmask_b32_e32 v33, v33, v12, vcc_lo
	v_cmp_eq_u32_e32 vcc_lo, 11, v0
	v_cndmask_b32_e32 v33, v33, v13, vcc_lo
	v_cmp_eq_u32_e32 vcc_lo, 12, v0
	s_delay_alu instid0(VALU_DEP_2) | instskip(SKIP_1) | instid1(VALU_DEP_2)
	v_cndmask_b32_e32 v33, v33, v14, vcc_lo
	v_cmp_eq_u32_e32 vcc_lo, 13, v0
	v_cndmask_b32_e32 v33, v33, v15, vcc_lo
	v_cmp_eq_u32_e32 vcc_lo, 14, v0
	s_delay_alu instid0(VALU_DEP_2) | instskip(SKIP_1) | instid1(VALU_DEP_2)
	v_cndmask_b32_e32 v33, v33, v16, vcc_lo
	v_cmp_eq_u32_e32 vcc_lo, 15, v0
	v_cndmask_b32_e32 v33, v33, v17, vcc_lo
	v_cmp_eq_u32_e32 vcc_lo, 16, v0
	s_delay_alu instid0(VALU_DEP_2) | instskip(SKIP_1) | instid1(VALU_DEP_2)
	v_cndmask_b32_e32 v33, v33, v18, vcc_lo
	v_cmp_eq_u32_e32 vcc_lo, 17, v0
	v_cndmask_b32_e32 v33, v33, v19, vcc_lo
	v_cmp_eq_u32_e32 vcc_lo, 18, v0
	s_delay_alu instid0(VALU_DEP_2) | instskip(SKIP_1) | instid1(VALU_DEP_2)
	v_cndmask_b32_e32 v33, v33, v20, vcc_lo
	v_cmp_eq_u32_e32 vcc_lo, 19, v0
	v_cndmask_b32_e32 v33, v33, v21, vcc_lo
	v_cmp_eq_u32_e32 vcc_lo, 20, v0
	s_delay_alu instid0(VALU_DEP_2) | instskip(SKIP_1) | instid1(VALU_DEP_2)
	v_cndmask_b32_e32 v33, v33, v22, vcc_lo
	v_cmp_eq_u32_e32 vcc_lo, 21, v0
	v_cndmask_b32_e32 v33, v33, v23, vcc_lo
	v_cmp_eq_u32_e32 vcc_lo, 22, v0
	s_delay_alu instid0(VALU_DEP_2) | instskip(SKIP_1) | instid1(VALU_DEP_2)
	v_cndmask_b32_e32 v33, v33, v24, vcc_lo
	v_cmp_eq_u32_e32 vcc_lo, 23, v0
	v_cndmask_b32_e32 v33, v33, v25, vcc_lo
	v_cmp_eq_u32_e32 vcc_lo, 24, v0
	s_delay_alu instid0(VALU_DEP_2) | instskip(SKIP_1) | instid1(VALU_DEP_2)
	v_cndmask_b32_e32 v33, v33, v26, vcc_lo
	v_cmp_eq_u32_e32 vcc_lo, 25, v0
	v_cndmask_b32_e32 v33, v33, v27, vcc_lo
	v_cmp_eq_u32_e32 vcc_lo, 26, v0
	s_delay_alu instid0(VALU_DEP_2) | instskip(SKIP_1) | instid1(VALU_DEP_2)
	v_cndmask_b32_e32 v33, v33, v28, vcc_lo
	v_cmp_eq_u32_e32 vcc_lo, 27, v0
	v_cndmask_b32_e32 v33, v33, v29, vcc_lo
	v_cmp_eq_u32_e32 vcc_lo, 28, v0
	s_delay_alu instid0(VALU_DEP_2) | instskip(SKIP_1) | instid1(VALU_DEP_2)
	v_cndmask_b32_e32 v33, v33, v30, vcc_lo
	v_cmp_eq_u32_e32 vcc_lo, 29, v0
	v_cndmask_b32_e32 v33, v33, v31, vcc_lo
	v_cmp_eq_u32_e32 vcc_lo, 30, v0
	s_delay_alu instid0(VALU_DEP_2) | instskip(SKIP_1) | instid1(VALU_DEP_1)
	v_cndmask_b32_e32 v33, v33, v32, vcc_lo
	s_wait_dscnt 0x0
	v_mul_f32_e32 v33, v33, v34
	s_cbranch_execz .LBB30_652
	s_branch .LBB30_653
.LBB30_651:
                                        ; implicit-def: $vgpr33
.LBB30_652:
	ds_load_b32 v33, v131
.LBB30_653:
	s_mov_b32 s1, exec_lo
	v_cmpx_ne_u32_e32 18, v0
	s_cbranch_execz .LBB30_657
; %bb.654:
	v_mov_b64_e32 v[34:35], v[0:1]
	v_lshl_add_u32 v37, v0, 2, 0x84
	s_mov_b32 s2, 0
.LBB30_655:                             ; =>This Inner Loop Header: Depth=1
	s_delay_alu instid0(VALU_DEP_2)
	v_add_nc_u64_e32 v[34:35], 1, v[34:35]
	ds_load_b32 v39, v37
	v_add_nc_u32_e32 v37, 4, v37
	v_cmp_eq_u32_e32 vcc_lo, 1, v34
	v_cndmask_b32_e32 v38, v2, v3, vcc_lo
	v_cmp_eq_u32_e32 vcc_lo, 2, v34
	s_delay_alu instid0(VALU_DEP_2) | instskip(SKIP_1) | instid1(VALU_DEP_2)
	v_cndmask_b32_e32 v38, v38, v4, vcc_lo
	v_cmp_eq_u32_e32 vcc_lo, 3, v34
	v_cndmask_b32_e32 v38, v38, v5, vcc_lo
	v_cmp_eq_u32_e32 vcc_lo, 4, v34
	s_delay_alu instid0(VALU_DEP_2) | instskip(SKIP_1) | instid1(VALU_DEP_2)
	v_cndmask_b32_e32 v38, v38, v6, vcc_lo
	;; [unrolled: 5-line block ×14, first 2 shown]
	v_cmp_eq_u32_e32 vcc_lo, 29, v34
	v_cndmask_b32_e32 v38, v38, v31, vcc_lo
	v_cmp_eq_u32_e32 vcc_lo, 30, v34
	s_delay_alu instid0(VALU_DEP_2) | instskip(SKIP_2) | instid1(VALU_DEP_2)
	v_cndmask_b32_e32 v38, v38, v32, vcc_lo
	v_cmp_lt_u32_e32 vcc_lo, 17, v34
	s_wait_dscnt 0x0
	v_fmac_f32_e32 v33, v38, v39
	s_or_b32 s2, vcc_lo, s2
	s_delay_alu instid0(SALU_CYCLE_1)
	s_and_not1_b32 exec_lo, exec_lo, s2
	s_cbranch_execnz .LBB30_655
; %bb.656:
	s_or_b32 exec_lo, exec_lo, s2
.LBB30_657:
	s_delay_alu instid0(SALU_CYCLE_1)
	s_or_b32 exec_lo, exec_lo, s1
	v_mov_b32_e32 v21, 0
	ds_load_b32 v21, v21 offset:76
	s_wait_dscnt 0x0
	v_mul_f32_e32 v21, v33, v21
.LBB30_658:
	s_or_b32 exec_lo, exec_lo, s0
	s_delay_alu instid0(SALU_CYCLE_1)
	s_mov_b32 s0, exec_lo
	ds_store_b32 v131, v22
	s_wait_dscnt 0x0
	s_barrier_signal -1
	s_barrier_wait -1
	v_cmpx_gt_u32_e32 20, v0
	s_cbranch_execz .LBB30_668
; %bb.659:
	v_cmp_ne_u32_e32 vcc_lo, 1, v36
	s_cbranch_vccnz .LBB30_661
; %bb.660:
	v_cmp_eq_u32_e32 vcc_lo, 1, v0
	ds_load_b32 v34, v131
	v_cndmask_b32_e32 v33, v2, v3, vcc_lo
	v_cmp_eq_u32_e32 vcc_lo, 2, v0
	s_delay_alu instid0(VALU_DEP_2) | instskip(SKIP_1) | instid1(VALU_DEP_2)
	v_cndmask_b32_e32 v33, v33, v4, vcc_lo
	v_cmp_eq_u32_e32 vcc_lo, 3, v0
	v_cndmask_b32_e32 v33, v33, v5, vcc_lo
	v_cmp_eq_u32_e32 vcc_lo, 4, v0
	s_delay_alu instid0(VALU_DEP_2) | instskip(SKIP_1) | instid1(VALU_DEP_2)
	v_cndmask_b32_e32 v33, v33, v6, vcc_lo
	v_cmp_eq_u32_e32 vcc_lo, 5, v0
	;; [unrolled: 5-line block ×14, first 2 shown]
	v_cndmask_b32_e32 v33, v33, v31, vcc_lo
	v_cmp_eq_u32_e32 vcc_lo, 30, v0
	s_delay_alu instid0(VALU_DEP_2) | instskip(SKIP_1) | instid1(VALU_DEP_1)
	v_cndmask_b32_e32 v33, v33, v32, vcc_lo
	s_wait_dscnt 0x0
	v_mul_f32_e32 v33, v33, v34
	s_cbranch_execz .LBB30_662
	s_branch .LBB30_663
.LBB30_661:
                                        ; implicit-def: $vgpr33
.LBB30_662:
	ds_load_b32 v33, v131
.LBB30_663:
	s_mov_b32 s1, exec_lo
	v_cmpx_ne_u32_e32 19, v0
	s_cbranch_execz .LBB30_667
; %bb.664:
	v_mov_b64_e32 v[34:35], v[0:1]
	v_lshl_add_u32 v37, v0, 2, 0x84
	s_mov_b32 s2, 0
.LBB30_665:                             ; =>This Inner Loop Header: Depth=1
	s_delay_alu instid0(VALU_DEP_2)
	v_add_nc_u64_e32 v[34:35], 1, v[34:35]
	ds_load_b32 v39, v37
	v_add_nc_u32_e32 v37, 4, v37
	v_cmp_eq_u32_e32 vcc_lo, 1, v34
	v_cndmask_b32_e32 v38, v2, v3, vcc_lo
	v_cmp_eq_u32_e32 vcc_lo, 2, v34
	s_delay_alu instid0(VALU_DEP_2) | instskip(SKIP_1) | instid1(VALU_DEP_2)
	v_cndmask_b32_e32 v38, v38, v4, vcc_lo
	v_cmp_eq_u32_e32 vcc_lo, 3, v34
	v_cndmask_b32_e32 v38, v38, v5, vcc_lo
	v_cmp_eq_u32_e32 vcc_lo, 4, v34
	s_delay_alu instid0(VALU_DEP_2) | instskip(SKIP_1) | instid1(VALU_DEP_2)
	v_cndmask_b32_e32 v38, v38, v6, vcc_lo
	;; [unrolled: 5-line block ×14, first 2 shown]
	v_cmp_eq_u32_e32 vcc_lo, 29, v34
	v_cndmask_b32_e32 v38, v38, v31, vcc_lo
	v_cmp_eq_u32_e32 vcc_lo, 30, v34
	s_delay_alu instid0(VALU_DEP_2) | instskip(SKIP_2) | instid1(VALU_DEP_2)
	v_cndmask_b32_e32 v38, v38, v32, vcc_lo
	v_cmp_lt_u32_e32 vcc_lo, 18, v34
	s_wait_dscnt 0x0
	v_fmac_f32_e32 v33, v38, v39
	s_or_b32 s2, vcc_lo, s2
	s_delay_alu instid0(SALU_CYCLE_1)
	s_and_not1_b32 exec_lo, exec_lo, s2
	s_cbranch_execnz .LBB30_665
; %bb.666:
	s_or_b32 exec_lo, exec_lo, s2
.LBB30_667:
	s_delay_alu instid0(SALU_CYCLE_1)
	s_or_b32 exec_lo, exec_lo, s1
	v_mov_b32_e32 v22, 0
	ds_load_b32 v22, v22 offset:80
	s_wait_dscnt 0x0
	v_mul_f32_e32 v22, v33, v22
.LBB30_668:
	s_or_b32 exec_lo, exec_lo, s0
	s_delay_alu instid0(SALU_CYCLE_1)
	s_mov_b32 s0, exec_lo
	ds_store_b32 v131, v23
	s_wait_dscnt 0x0
	s_barrier_signal -1
	s_barrier_wait -1
	v_cmpx_gt_u32_e32 21, v0
	s_cbranch_execz .LBB30_678
; %bb.669:
	v_cmp_ne_u32_e32 vcc_lo, 1, v36
	s_cbranch_vccnz .LBB30_671
; %bb.670:
	v_cmp_eq_u32_e32 vcc_lo, 1, v0
	ds_load_b32 v34, v131
	v_cndmask_b32_e32 v33, v2, v3, vcc_lo
	v_cmp_eq_u32_e32 vcc_lo, 2, v0
	s_delay_alu instid0(VALU_DEP_2) | instskip(SKIP_1) | instid1(VALU_DEP_2)
	v_cndmask_b32_e32 v33, v33, v4, vcc_lo
	v_cmp_eq_u32_e32 vcc_lo, 3, v0
	v_cndmask_b32_e32 v33, v33, v5, vcc_lo
	v_cmp_eq_u32_e32 vcc_lo, 4, v0
	s_delay_alu instid0(VALU_DEP_2) | instskip(SKIP_1) | instid1(VALU_DEP_2)
	v_cndmask_b32_e32 v33, v33, v6, vcc_lo
	v_cmp_eq_u32_e32 vcc_lo, 5, v0
	;; [unrolled: 5-line block ×14, first 2 shown]
	v_cndmask_b32_e32 v33, v33, v31, vcc_lo
	v_cmp_eq_u32_e32 vcc_lo, 30, v0
	s_delay_alu instid0(VALU_DEP_2) | instskip(SKIP_1) | instid1(VALU_DEP_1)
	v_cndmask_b32_e32 v33, v33, v32, vcc_lo
	s_wait_dscnt 0x0
	v_mul_f32_e32 v33, v33, v34
	s_cbranch_execz .LBB30_672
	s_branch .LBB30_673
.LBB30_671:
                                        ; implicit-def: $vgpr33
.LBB30_672:
	ds_load_b32 v33, v131
.LBB30_673:
	s_mov_b32 s1, exec_lo
	v_cmpx_ne_u32_e32 20, v0
	s_cbranch_execz .LBB30_677
; %bb.674:
	v_mov_b64_e32 v[34:35], v[0:1]
	v_lshl_add_u32 v37, v0, 2, 0x84
	s_mov_b32 s2, 0
.LBB30_675:                             ; =>This Inner Loop Header: Depth=1
	s_delay_alu instid0(VALU_DEP_2)
	v_add_nc_u64_e32 v[34:35], 1, v[34:35]
	ds_load_b32 v39, v37
	v_add_nc_u32_e32 v37, 4, v37
	v_cmp_eq_u32_e32 vcc_lo, 1, v34
	v_cndmask_b32_e32 v38, v2, v3, vcc_lo
	v_cmp_eq_u32_e32 vcc_lo, 2, v34
	s_delay_alu instid0(VALU_DEP_2) | instskip(SKIP_1) | instid1(VALU_DEP_2)
	v_cndmask_b32_e32 v38, v38, v4, vcc_lo
	v_cmp_eq_u32_e32 vcc_lo, 3, v34
	v_cndmask_b32_e32 v38, v38, v5, vcc_lo
	v_cmp_eq_u32_e32 vcc_lo, 4, v34
	s_delay_alu instid0(VALU_DEP_2) | instskip(SKIP_1) | instid1(VALU_DEP_2)
	v_cndmask_b32_e32 v38, v38, v6, vcc_lo
	;; [unrolled: 5-line block ×14, first 2 shown]
	v_cmp_eq_u32_e32 vcc_lo, 29, v34
	v_cndmask_b32_e32 v38, v38, v31, vcc_lo
	v_cmp_eq_u32_e32 vcc_lo, 30, v34
	s_delay_alu instid0(VALU_DEP_2) | instskip(SKIP_2) | instid1(VALU_DEP_2)
	v_cndmask_b32_e32 v38, v38, v32, vcc_lo
	v_cmp_lt_u32_e32 vcc_lo, 19, v34
	s_wait_dscnt 0x0
	v_fmac_f32_e32 v33, v38, v39
	s_or_b32 s2, vcc_lo, s2
	s_delay_alu instid0(SALU_CYCLE_1)
	s_and_not1_b32 exec_lo, exec_lo, s2
	s_cbranch_execnz .LBB30_675
; %bb.676:
	s_or_b32 exec_lo, exec_lo, s2
.LBB30_677:
	s_delay_alu instid0(SALU_CYCLE_1)
	s_or_b32 exec_lo, exec_lo, s1
	v_mov_b32_e32 v23, 0
	ds_load_b32 v23, v23 offset:84
	s_wait_dscnt 0x0
	v_mul_f32_e32 v23, v33, v23
.LBB30_678:
	s_or_b32 exec_lo, exec_lo, s0
	s_delay_alu instid0(SALU_CYCLE_1)
	s_mov_b32 s0, exec_lo
	ds_store_b32 v131, v24
	s_wait_dscnt 0x0
	s_barrier_signal -1
	s_barrier_wait -1
	v_cmpx_gt_u32_e32 22, v0
	s_cbranch_execz .LBB30_688
; %bb.679:
	v_cmp_ne_u32_e32 vcc_lo, 1, v36
	s_cbranch_vccnz .LBB30_681
; %bb.680:
	v_cmp_eq_u32_e32 vcc_lo, 1, v0
	ds_load_b32 v34, v131
	v_cndmask_b32_e32 v33, v2, v3, vcc_lo
	v_cmp_eq_u32_e32 vcc_lo, 2, v0
	s_delay_alu instid0(VALU_DEP_2) | instskip(SKIP_1) | instid1(VALU_DEP_2)
	v_cndmask_b32_e32 v33, v33, v4, vcc_lo
	v_cmp_eq_u32_e32 vcc_lo, 3, v0
	v_cndmask_b32_e32 v33, v33, v5, vcc_lo
	v_cmp_eq_u32_e32 vcc_lo, 4, v0
	s_delay_alu instid0(VALU_DEP_2) | instskip(SKIP_1) | instid1(VALU_DEP_2)
	v_cndmask_b32_e32 v33, v33, v6, vcc_lo
	v_cmp_eq_u32_e32 vcc_lo, 5, v0
	;; [unrolled: 5-line block ×14, first 2 shown]
	v_cndmask_b32_e32 v33, v33, v31, vcc_lo
	v_cmp_eq_u32_e32 vcc_lo, 30, v0
	s_delay_alu instid0(VALU_DEP_2) | instskip(SKIP_1) | instid1(VALU_DEP_1)
	v_cndmask_b32_e32 v33, v33, v32, vcc_lo
	s_wait_dscnt 0x0
	v_mul_f32_e32 v33, v33, v34
	s_cbranch_execz .LBB30_682
	s_branch .LBB30_683
.LBB30_681:
                                        ; implicit-def: $vgpr33
.LBB30_682:
	ds_load_b32 v33, v131
.LBB30_683:
	s_mov_b32 s1, exec_lo
	v_cmpx_ne_u32_e32 21, v0
	s_cbranch_execz .LBB30_687
; %bb.684:
	v_mov_b64_e32 v[34:35], v[0:1]
	v_lshl_add_u32 v37, v0, 2, 0x84
	s_mov_b32 s2, 0
.LBB30_685:                             ; =>This Inner Loop Header: Depth=1
	s_delay_alu instid0(VALU_DEP_2)
	v_add_nc_u64_e32 v[34:35], 1, v[34:35]
	ds_load_b32 v39, v37
	v_add_nc_u32_e32 v37, 4, v37
	v_cmp_eq_u32_e32 vcc_lo, 1, v34
	v_cndmask_b32_e32 v38, v2, v3, vcc_lo
	v_cmp_eq_u32_e32 vcc_lo, 2, v34
	s_delay_alu instid0(VALU_DEP_2) | instskip(SKIP_1) | instid1(VALU_DEP_2)
	v_cndmask_b32_e32 v38, v38, v4, vcc_lo
	v_cmp_eq_u32_e32 vcc_lo, 3, v34
	v_cndmask_b32_e32 v38, v38, v5, vcc_lo
	v_cmp_eq_u32_e32 vcc_lo, 4, v34
	s_delay_alu instid0(VALU_DEP_2) | instskip(SKIP_1) | instid1(VALU_DEP_2)
	v_cndmask_b32_e32 v38, v38, v6, vcc_lo
	;; [unrolled: 5-line block ×14, first 2 shown]
	v_cmp_eq_u32_e32 vcc_lo, 29, v34
	v_cndmask_b32_e32 v38, v38, v31, vcc_lo
	v_cmp_eq_u32_e32 vcc_lo, 30, v34
	s_delay_alu instid0(VALU_DEP_2) | instskip(SKIP_2) | instid1(VALU_DEP_2)
	v_cndmask_b32_e32 v38, v38, v32, vcc_lo
	v_cmp_lt_u32_e32 vcc_lo, 20, v34
	s_wait_dscnt 0x0
	v_fmac_f32_e32 v33, v38, v39
	s_or_b32 s2, vcc_lo, s2
	s_delay_alu instid0(SALU_CYCLE_1)
	s_and_not1_b32 exec_lo, exec_lo, s2
	s_cbranch_execnz .LBB30_685
; %bb.686:
	s_or_b32 exec_lo, exec_lo, s2
.LBB30_687:
	s_delay_alu instid0(SALU_CYCLE_1)
	s_or_b32 exec_lo, exec_lo, s1
	v_mov_b32_e32 v24, 0
	ds_load_b32 v24, v24 offset:88
	s_wait_dscnt 0x0
	v_mul_f32_e32 v24, v33, v24
.LBB30_688:
	s_or_b32 exec_lo, exec_lo, s0
	s_delay_alu instid0(SALU_CYCLE_1)
	s_mov_b32 s0, exec_lo
	ds_store_b32 v131, v25
	s_wait_dscnt 0x0
	s_barrier_signal -1
	s_barrier_wait -1
	v_cmpx_gt_u32_e32 23, v0
	s_cbranch_execz .LBB30_698
; %bb.689:
	v_cmp_ne_u32_e32 vcc_lo, 1, v36
	s_cbranch_vccnz .LBB30_691
; %bb.690:
	v_cmp_eq_u32_e32 vcc_lo, 1, v0
	ds_load_b32 v34, v131
	v_cndmask_b32_e32 v33, v2, v3, vcc_lo
	v_cmp_eq_u32_e32 vcc_lo, 2, v0
	s_delay_alu instid0(VALU_DEP_2) | instskip(SKIP_1) | instid1(VALU_DEP_2)
	v_cndmask_b32_e32 v33, v33, v4, vcc_lo
	v_cmp_eq_u32_e32 vcc_lo, 3, v0
	v_cndmask_b32_e32 v33, v33, v5, vcc_lo
	v_cmp_eq_u32_e32 vcc_lo, 4, v0
	s_delay_alu instid0(VALU_DEP_2) | instskip(SKIP_1) | instid1(VALU_DEP_2)
	v_cndmask_b32_e32 v33, v33, v6, vcc_lo
	v_cmp_eq_u32_e32 vcc_lo, 5, v0
	;; [unrolled: 5-line block ×14, first 2 shown]
	v_cndmask_b32_e32 v33, v33, v31, vcc_lo
	v_cmp_eq_u32_e32 vcc_lo, 30, v0
	s_delay_alu instid0(VALU_DEP_2) | instskip(SKIP_1) | instid1(VALU_DEP_1)
	v_cndmask_b32_e32 v33, v33, v32, vcc_lo
	s_wait_dscnt 0x0
	v_mul_f32_e32 v33, v33, v34
	s_cbranch_execz .LBB30_692
	s_branch .LBB30_693
.LBB30_691:
                                        ; implicit-def: $vgpr33
.LBB30_692:
	ds_load_b32 v33, v131
.LBB30_693:
	s_mov_b32 s1, exec_lo
	v_cmpx_ne_u32_e32 22, v0
	s_cbranch_execz .LBB30_697
; %bb.694:
	v_mov_b64_e32 v[34:35], v[0:1]
	v_lshl_add_u32 v37, v0, 2, 0x84
	s_mov_b32 s2, 0
.LBB30_695:                             ; =>This Inner Loop Header: Depth=1
	s_delay_alu instid0(VALU_DEP_2)
	v_add_nc_u64_e32 v[34:35], 1, v[34:35]
	ds_load_b32 v39, v37
	v_add_nc_u32_e32 v37, 4, v37
	v_cmp_eq_u32_e32 vcc_lo, 1, v34
	v_cndmask_b32_e32 v38, v2, v3, vcc_lo
	v_cmp_eq_u32_e32 vcc_lo, 2, v34
	s_delay_alu instid0(VALU_DEP_2) | instskip(SKIP_1) | instid1(VALU_DEP_2)
	v_cndmask_b32_e32 v38, v38, v4, vcc_lo
	v_cmp_eq_u32_e32 vcc_lo, 3, v34
	v_cndmask_b32_e32 v38, v38, v5, vcc_lo
	v_cmp_eq_u32_e32 vcc_lo, 4, v34
	s_delay_alu instid0(VALU_DEP_2) | instskip(SKIP_1) | instid1(VALU_DEP_2)
	v_cndmask_b32_e32 v38, v38, v6, vcc_lo
	;; [unrolled: 5-line block ×14, first 2 shown]
	v_cmp_eq_u32_e32 vcc_lo, 29, v34
	v_cndmask_b32_e32 v38, v38, v31, vcc_lo
	v_cmp_eq_u32_e32 vcc_lo, 30, v34
	s_delay_alu instid0(VALU_DEP_2) | instskip(SKIP_2) | instid1(VALU_DEP_2)
	v_cndmask_b32_e32 v38, v38, v32, vcc_lo
	v_cmp_lt_u32_e32 vcc_lo, 21, v34
	s_wait_dscnt 0x0
	v_fmac_f32_e32 v33, v38, v39
	s_or_b32 s2, vcc_lo, s2
	s_delay_alu instid0(SALU_CYCLE_1)
	s_and_not1_b32 exec_lo, exec_lo, s2
	s_cbranch_execnz .LBB30_695
; %bb.696:
	s_or_b32 exec_lo, exec_lo, s2
.LBB30_697:
	s_delay_alu instid0(SALU_CYCLE_1)
	s_or_b32 exec_lo, exec_lo, s1
	v_mov_b32_e32 v25, 0
	ds_load_b32 v25, v25 offset:92
	s_wait_dscnt 0x0
	v_mul_f32_e32 v25, v33, v25
.LBB30_698:
	s_or_b32 exec_lo, exec_lo, s0
	s_delay_alu instid0(SALU_CYCLE_1)
	s_mov_b32 s0, exec_lo
	ds_store_b32 v131, v26
	s_wait_dscnt 0x0
	s_barrier_signal -1
	s_barrier_wait -1
	v_cmpx_gt_u32_e32 24, v0
	s_cbranch_execz .LBB30_708
; %bb.699:
	v_cmp_ne_u32_e32 vcc_lo, 1, v36
	s_cbranch_vccnz .LBB30_701
; %bb.700:
	v_cmp_eq_u32_e32 vcc_lo, 1, v0
	ds_load_b32 v34, v131
	v_cndmask_b32_e32 v33, v2, v3, vcc_lo
	v_cmp_eq_u32_e32 vcc_lo, 2, v0
	s_delay_alu instid0(VALU_DEP_2) | instskip(SKIP_1) | instid1(VALU_DEP_2)
	v_cndmask_b32_e32 v33, v33, v4, vcc_lo
	v_cmp_eq_u32_e32 vcc_lo, 3, v0
	v_cndmask_b32_e32 v33, v33, v5, vcc_lo
	v_cmp_eq_u32_e32 vcc_lo, 4, v0
	s_delay_alu instid0(VALU_DEP_2) | instskip(SKIP_1) | instid1(VALU_DEP_2)
	v_cndmask_b32_e32 v33, v33, v6, vcc_lo
	v_cmp_eq_u32_e32 vcc_lo, 5, v0
	v_cndmask_b32_e32 v33, v33, v7, vcc_lo
	v_cmp_eq_u32_e32 vcc_lo, 6, v0
	s_delay_alu instid0(VALU_DEP_2) | instskip(SKIP_1) | instid1(VALU_DEP_2)
	v_cndmask_b32_e32 v33, v33, v8, vcc_lo
	v_cmp_eq_u32_e32 vcc_lo, 7, v0
	v_cndmask_b32_e32 v33, v33, v9, vcc_lo
	v_cmp_eq_u32_e32 vcc_lo, 8, v0
	s_delay_alu instid0(VALU_DEP_2) | instskip(SKIP_1) | instid1(VALU_DEP_2)
	v_cndmask_b32_e32 v33, v33, v10, vcc_lo
	v_cmp_eq_u32_e32 vcc_lo, 9, v0
	v_cndmask_b32_e32 v33, v33, v11, vcc_lo
	v_cmp_eq_u32_e32 vcc_lo, 10, v0
	s_delay_alu instid0(VALU_DEP_2) | instskip(SKIP_1) | instid1(VALU_DEP_2)
	v_cndmask_b32_e32 v33, v33, v12, vcc_lo
	v_cmp_eq_u32_e32 vcc_lo, 11, v0
	v_cndmask_b32_e32 v33, v33, v13, vcc_lo
	v_cmp_eq_u32_e32 vcc_lo, 12, v0
	s_delay_alu instid0(VALU_DEP_2) | instskip(SKIP_1) | instid1(VALU_DEP_2)
	v_cndmask_b32_e32 v33, v33, v14, vcc_lo
	v_cmp_eq_u32_e32 vcc_lo, 13, v0
	v_cndmask_b32_e32 v33, v33, v15, vcc_lo
	v_cmp_eq_u32_e32 vcc_lo, 14, v0
	s_delay_alu instid0(VALU_DEP_2) | instskip(SKIP_1) | instid1(VALU_DEP_2)
	v_cndmask_b32_e32 v33, v33, v16, vcc_lo
	v_cmp_eq_u32_e32 vcc_lo, 15, v0
	v_cndmask_b32_e32 v33, v33, v17, vcc_lo
	v_cmp_eq_u32_e32 vcc_lo, 16, v0
	s_delay_alu instid0(VALU_DEP_2) | instskip(SKIP_1) | instid1(VALU_DEP_2)
	v_cndmask_b32_e32 v33, v33, v18, vcc_lo
	v_cmp_eq_u32_e32 vcc_lo, 17, v0
	v_cndmask_b32_e32 v33, v33, v19, vcc_lo
	v_cmp_eq_u32_e32 vcc_lo, 18, v0
	s_delay_alu instid0(VALU_DEP_2) | instskip(SKIP_1) | instid1(VALU_DEP_2)
	v_cndmask_b32_e32 v33, v33, v20, vcc_lo
	v_cmp_eq_u32_e32 vcc_lo, 19, v0
	v_cndmask_b32_e32 v33, v33, v21, vcc_lo
	v_cmp_eq_u32_e32 vcc_lo, 20, v0
	s_delay_alu instid0(VALU_DEP_2) | instskip(SKIP_1) | instid1(VALU_DEP_2)
	v_cndmask_b32_e32 v33, v33, v22, vcc_lo
	v_cmp_eq_u32_e32 vcc_lo, 21, v0
	v_cndmask_b32_e32 v33, v33, v23, vcc_lo
	v_cmp_eq_u32_e32 vcc_lo, 22, v0
	s_delay_alu instid0(VALU_DEP_2) | instskip(SKIP_1) | instid1(VALU_DEP_2)
	v_cndmask_b32_e32 v33, v33, v24, vcc_lo
	v_cmp_eq_u32_e32 vcc_lo, 23, v0
	v_cndmask_b32_e32 v33, v33, v25, vcc_lo
	v_cmp_eq_u32_e32 vcc_lo, 24, v0
	s_delay_alu instid0(VALU_DEP_2) | instskip(SKIP_1) | instid1(VALU_DEP_2)
	v_cndmask_b32_e32 v33, v33, v26, vcc_lo
	v_cmp_eq_u32_e32 vcc_lo, 25, v0
	v_cndmask_b32_e32 v33, v33, v27, vcc_lo
	v_cmp_eq_u32_e32 vcc_lo, 26, v0
	s_delay_alu instid0(VALU_DEP_2) | instskip(SKIP_1) | instid1(VALU_DEP_2)
	v_cndmask_b32_e32 v33, v33, v28, vcc_lo
	v_cmp_eq_u32_e32 vcc_lo, 27, v0
	v_cndmask_b32_e32 v33, v33, v29, vcc_lo
	v_cmp_eq_u32_e32 vcc_lo, 28, v0
	s_delay_alu instid0(VALU_DEP_2) | instskip(SKIP_1) | instid1(VALU_DEP_2)
	v_cndmask_b32_e32 v33, v33, v30, vcc_lo
	v_cmp_eq_u32_e32 vcc_lo, 29, v0
	v_cndmask_b32_e32 v33, v33, v31, vcc_lo
	v_cmp_eq_u32_e32 vcc_lo, 30, v0
	s_delay_alu instid0(VALU_DEP_2) | instskip(SKIP_1) | instid1(VALU_DEP_1)
	v_cndmask_b32_e32 v33, v33, v32, vcc_lo
	s_wait_dscnt 0x0
	v_mul_f32_e32 v33, v33, v34
	s_cbranch_execz .LBB30_702
	s_branch .LBB30_703
.LBB30_701:
                                        ; implicit-def: $vgpr33
.LBB30_702:
	ds_load_b32 v33, v131
.LBB30_703:
	s_mov_b32 s1, exec_lo
	v_cmpx_ne_u32_e32 23, v0
	s_cbranch_execz .LBB30_707
; %bb.704:
	v_mov_b64_e32 v[34:35], v[0:1]
	v_lshl_add_u32 v37, v0, 2, 0x84
	s_mov_b32 s2, 0
.LBB30_705:                             ; =>This Inner Loop Header: Depth=1
	s_delay_alu instid0(VALU_DEP_2)
	v_add_nc_u64_e32 v[34:35], 1, v[34:35]
	ds_load_b32 v39, v37
	v_add_nc_u32_e32 v37, 4, v37
	v_cmp_eq_u32_e32 vcc_lo, 1, v34
	v_cndmask_b32_e32 v38, v2, v3, vcc_lo
	v_cmp_eq_u32_e32 vcc_lo, 2, v34
	s_delay_alu instid0(VALU_DEP_2) | instskip(SKIP_1) | instid1(VALU_DEP_2)
	v_cndmask_b32_e32 v38, v38, v4, vcc_lo
	v_cmp_eq_u32_e32 vcc_lo, 3, v34
	v_cndmask_b32_e32 v38, v38, v5, vcc_lo
	v_cmp_eq_u32_e32 vcc_lo, 4, v34
	s_delay_alu instid0(VALU_DEP_2) | instskip(SKIP_1) | instid1(VALU_DEP_2)
	v_cndmask_b32_e32 v38, v38, v6, vcc_lo
	;; [unrolled: 5-line block ×14, first 2 shown]
	v_cmp_eq_u32_e32 vcc_lo, 29, v34
	v_cndmask_b32_e32 v38, v38, v31, vcc_lo
	v_cmp_eq_u32_e32 vcc_lo, 30, v34
	s_delay_alu instid0(VALU_DEP_2) | instskip(SKIP_2) | instid1(VALU_DEP_2)
	v_cndmask_b32_e32 v38, v38, v32, vcc_lo
	v_cmp_lt_u32_e32 vcc_lo, 22, v34
	s_wait_dscnt 0x0
	v_fmac_f32_e32 v33, v38, v39
	s_or_b32 s2, vcc_lo, s2
	s_delay_alu instid0(SALU_CYCLE_1)
	s_and_not1_b32 exec_lo, exec_lo, s2
	s_cbranch_execnz .LBB30_705
; %bb.706:
	s_or_b32 exec_lo, exec_lo, s2
.LBB30_707:
	s_delay_alu instid0(SALU_CYCLE_1)
	s_or_b32 exec_lo, exec_lo, s1
	v_mov_b32_e32 v26, 0
	ds_load_b32 v26, v26 offset:96
	s_wait_dscnt 0x0
	v_mul_f32_e32 v26, v33, v26
.LBB30_708:
	s_or_b32 exec_lo, exec_lo, s0
	s_delay_alu instid0(SALU_CYCLE_1)
	s_mov_b32 s0, exec_lo
	ds_store_b32 v131, v27
	s_wait_dscnt 0x0
	s_barrier_signal -1
	s_barrier_wait -1
	v_cmpx_gt_u32_e32 25, v0
	s_cbranch_execz .LBB30_718
; %bb.709:
	v_cmp_ne_u32_e32 vcc_lo, 1, v36
	s_cbranch_vccnz .LBB30_711
; %bb.710:
	v_cmp_eq_u32_e32 vcc_lo, 1, v0
	ds_load_b32 v34, v131
	v_cndmask_b32_e32 v33, v2, v3, vcc_lo
	v_cmp_eq_u32_e32 vcc_lo, 2, v0
	s_delay_alu instid0(VALU_DEP_2) | instskip(SKIP_1) | instid1(VALU_DEP_2)
	v_cndmask_b32_e32 v33, v33, v4, vcc_lo
	v_cmp_eq_u32_e32 vcc_lo, 3, v0
	v_cndmask_b32_e32 v33, v33, v5, vcc_lo
	v_cmp_eq_u32_e32 vcc_lo, 4, v0
	s_delay_alu instid0(VALU_DEP_2) | instskip(SKIP_1) | instid1(VALU_DEP_2)
	v_cndmask_b32_e32 v33, v33, v6, vcc_lo
	v_cmp_eq_u32_e32 vcc_lo, 5, v0
	;; [unrolled: 5-line block ×14, first 2 shown]
	v_cndmask_b32_e32 v33, v33, v31, vcc_lo
	v_cmp_eq_u32_e32 vcc_lo, 30, v0
	s_delay_alu instid0(VALU_DEP_2) | instskip(SKIP_1) | instid1(VALU_DEP_1)
	v_cndmask_b32_e32 v33, v33, v32, vcc_lo
	s_wait_dscnt 0x0
	v_mul_f32_e32 v33, v33, v34
	s_cbranch_execz .LBB30_712
	s_branch .LBB30_713
.LBB30_711:
                                        ; implicit-def: $vgpr33
.LBB30_712:
	ds_load_b32 v33, v131
.LBB30_713:
	s_mov_b32 s1, exec_lo
	v_cmpx_ne_u32_e32 24, v0
	s_cbranch_execz .LBB30_717
; %bb.714:
	v_mov_b64_e32 v[34:35], v[0:1]
	v_lshl_add_u32 v37, v0, 2, 0x84
	s_mov_b32 s2, 0
.LBB30_715:                             ; =>This Inner Loop Header: Depth=1
	s_delay_alu instid0(VALU_DEP_2)
	v_add_nc_u64_e32 v[34:35], 1, v[34:35]
	ds_load_b32 v39, v37
	v_add_nc_u32_e32 v37, 4, v37
	v_cmp_eq_u32_e32 vcc_lo, 1, v34
	v_cndmask_b32_e32 v38, v2, v3, vcc_lo
	v_cmp_eq_u32_e32 vcc_lo, 2, v34
	s_delay_alu instid0(VALU_DEP_2) | instskip(SKIP_1) | instid1(VALU_DEP_2)
	v_cndmask_b32_e32 v38, v38, v4, vcc_lo
	v_cmp_eq_u32_e32 vcc_lo, 3, v34
	v_cndmask_b32_e32 v38, v38, v5, vcc_lo
	v_cmp_eq_u32_e32 vcc_lo, 4, v34
	s_delay_alu instid0(VALU_DEP_2) | instskip(SKIP_1) | instid1(VALU_DEP_2)
	v_cndmask_b32_e32 v38, v38, v6, vcc_lo
	;; [unrolled: 5-line block ×14, first 2 shown]
	v_cmp_eq_u32_e32 vcc_lo, 29, v34
	v_cndmask_b32_e32 v38, v38, v31, vcc_lo
	v_cmp_eq_u32_e32 vcc_lo, 30, v34
	s_delay_alu instid0(VALU_DEP_2) | instskip(SKIP_2) | instid1(VALU_DEP_2)
	v_cndmask_b32_e32 v38, v38, v32, vcc_lo
	v_cmp_lt_u32_e32 vcc_lo, 23, v34
	s_wait_dscnt 0x0
	v_fmac_f32_e32 v33, v38, v39
	s_or_b32 s2, vcc_lo, s2
	s_delay_alu instid0(SALU_CYCLE_1)
	s_and_not1_b32 exec_lo, exec_lo, s2
	s_cbranch_execnz .LBB30_715
; %bb.716:
	s_or_b32 exec_lo, exec_lo, s2
.LBB30_717:
	s_delay_alu instid0(SALU_CYCLE_1)
	s_or_b32 exec_lo, exec_lo, s1
	v_mov_b32_e32 v27, 0
	ds_load_b32 v27, v27 offset:100
	s_wait_dscnt 0x0
	v_mul_f32_e32 v27, v33, v27
.LBB30_718:
	s_or_b32 exec_lo, exec_lo, s0
	s_delay_alu instid0(SALU_CYCLE_1)
	s_mov_b32 s0, exec_lo
	ds_store_b32 v131, v28
	s_wait_dscnt 0x0
	s_barrier_signal -1
	s_barrier_wait -1
	v_cmpx_gt_u32_e32 26, v0
	s_cbranch_execz .LBB30_728
; %bb.719:
	v_cmp_ne_u32_e32 vcc_lo, 1, v36
	s_cbranch_vccnz .LBB30_721
; %bb.720:
	v_cmp_eq_u32_e32 vcc_lo, 1, v0
	ds_load_b32 v34, v131
	v_cndmask_b32_e32 v33, v2, v3, vcc_lo
	v_cmp_eq_u32_e32 vcc_lo, 2, v0
	s_delay_alu instid0(VALU_DEP_2) | instskip(SKIP_1) | instid1(VALU_DEP_2)
	v_cndmask_b32_e32 v33, v33, v4, vcc_lo
	v_cmp_eq_u32_e32 vcc_lo, 3, v0
	v_cndmask_b32_e32 v33, v33, v5, vcc_lo
	v_cmp_eq_u32_e32 vcc_lo, 4, v0
	s_delay_alu instid0(VALU_DEP_2) | instskip(SKIP_1) | instid1(VALU_DEP_2)
	v_cndmask_b32_e32 v33, v33, v6, vcc_lo
	v_cmp_eq_u32_e32 vcc_lo, 5, v0
	;; [unrolled: 5-line block ×14, first 2 shown]
	v_cndmask_b32_e32 v33, v33, v31, vcc_lo
	v_cmp_eq_u32_e32 vcc_lo, 30, v0
	s_delay_alu instid0(VALU_DEP_2) | instskip(SKIP_1) | instid1(VALU_DEP_1)
	v_cndmask_b32_e32 v33, v33, v32, vcc_lo
	s_wait_dscnt 0x0
	v_mul_f32_e32 v33, v33, v34
	s_cbranch_execz .LBB30_722
	s_branch .LBB30_723
.LBB30_721:
                                        ; implicit-def: $vgpr33
.LBB30_722:
	ds_load_b32 v33, v131
.LBB30_723:
	s_mov_b32 s1, exec_lo
	v_cmpx_ne_u32_e32 25, v0
	s_cbranch_execz .LBB30_727
; %bb.724:
	v_mov_b64_e32 v[34:35], v[0:1]
	v_lshl_add_u32 v37, v0, 2, 0x84
	s_mov_b32 s2, 0
.LBB30_725:                             ; =>This Inner Loop Header: Depth=1
	s_delay_alu instid0(VALU_DEP_2)
	v_add_nc_u64_e32 v[34:35], 1, v[34:35]
	ds_load_b32 v39, v37
	v_add_nc_u32_e32 v37, 4, v37
	v_cmp_eq_u32_e32 vcc_lo, 1, v34
	v_cndmask_b32_e32 v38, v2, v3, vcc_lo
	v_cmp_eq_u32_e32 vcc_lo, 2, v34
	s_delay_alu instid0(VALU_DEP_2) | instskip(SKIP_1) | instid1(VALU_DEP_2)
	v_cndmask_b32_e32 v38, v38, v4, vcc_lo
	v_cmp_eq_u32_e32 vcc_lo, 3, v34
	v_cndmask_b32_e32 v38, v38, v5, vcc_lo
	v_cmp_eq_u32_e32 vcc_lo, 4, v34
	s_delay_alu instid0(VALU_DEP_2) | instskip(SKIP_1) | instid1(VALU_DEP_2)
	v_cndmask_b32_e32 v38, v38, v6, vcc_lo
	;; [unrolled: 5-line block ×14, first 2 shown]
	v_cmp_eq_u32_e32 vcc_lo, 29, v34
	v_cndmask_b32_e32 v38, v38, v31, vcc_lo
	v_cmp_eq_u32_e32 vcc_lo, 30, v34
	s_delay_alu instid0(VALU_DEP_2) | instskip(SKIP_2) | instid1(VALU_DEP_2)
	v_cndmask_b32_e32 v38, v38, v32, vcc_lo
	v_cmp_lt_u32_e32 vcc_lo, 24, v34
	s_wait_dscnt 0x0
	v_fmac_f32_e32 v33, v38, v39
	s_or_b32 s2, vcc_lo, s2
	s_delay_alu instid0(SALU_CYCLE_1)
	s_and_not1_b32 exec_lo, exec_lo, s2
	s_cbranch_execnz .LBB30_725
; %bb.726:
	s_or_b32 exec_lo, exec_lo, s2
.LBB30_727:
	s_delay_alu instid0(SALU_CYCLE_1)
	s_or_b32 exec_lo, exec_lo, s1
	v_mov_b32_e32 v28, 0
	ds_load_b32 v28, v28 offset:104
	s_wait_dscnt 0x0
	v_mul_f32_e32 v28, v33, v28
.LBB30_728:
	s_or_b32 exec_lo, exec_lo, s0
	s_delay_alu instid0(SALU_CYCLE_1)
	s_mov_b32 s0, exec_lo
	ds_store_b32 v131, v29
	s_wait_dscnt 0x0
	s_barrier_signal -1
	s_barrier_wait -1
	v_cmpx_gt_u32_e32 27, v0
	s_cbranch_execz .LBB30_738
; %bb.729:
	v_cmp_ne_u32_e32 vcc_lo, 1, v36
	s_cbranch_vccnz .LBB30_731
; %bb.730:
	v_cmp_eq_u32_e32 vcc_lo, 1, v0
	ds_load_b32 v34, v131
	v_cndmask_b32_e32 v33, v2, v3, vcc_lo
	v_cmp_eq_u32_e32 vcc_lo, 2, v0
	s_delay_alu instid0(VALU_DEP_2) | instskip(SKIP_1) | instid1(VALU_DEP_2)
	v_cndmask_b32_e32 v33, v33, v4, vcc_lo
	v_cmp_eq_u32_e32 vcc_lo, 3, v0
	v_cndmask_b32_e32 v33, v33, v5, vcc_lo
	v_cmp_eq_u32_e32 vcc_lo, 4, v0
	s_delay_alu instid0(VALU_DEP_2) | instskip(SKIP_1) | instid1(VALU_DEP_2)
	v_cndmask_b32_e32 v33, v33, v6, vcc_lo
	v_cmp_eq_u32_e32 vcc_lo, 5, v0
	;; [unrolled: 5-line block ×14, first 2 shown]
	v_cndmask_b32_e32 v33, v33, v31, vcc_lo
	v_cmp_eq_u32_e32 vcc_lo, 30, v0
	s_delay_alu instid0(VALU_DEP_2) | instskip(SKIP_1) | instid1(VALU_DEP_1)
	v_cndmask_b32_e32 v33, v33, v32, vcc_lo
	s_wait_dscnt 0x0
	v_mul_f32_e32 v33, v33, v34
	s_cbranch_execz .LBB30_732
	s_branch .LBB30_733
.LBB30_731:
                                        ; implicit-def: $vgpr33
.LBB30_732:
	ds_load_b32 v33, v131
.LBB30_733:
	s_mov_b32 s1, exec_lo
	v_cmpx_ne_u32_e32 26, v0
	s_cbranch_execz .LBB30_737
; %bb.734:
	v_mov_b64_e32 v[34:35], v[0:1]
	v_lshl_add_u32 v37, v0, 2, 0x84
	s_mov_b32 s2, 0
.LBB30_735:                             ; =>This Inner Loop Header: Depth=1
	s_delay_alu instid0(VALU_DEP_2)
	v_add_nc_u64_e32 v[34:35], 1, v[34:35]
	ds_load_b32 v39, v37
	v_add_nc_u32_e32 v37, 4, v37
	v_cmp_eq_u32_e32 vcc_lo, 1, v34
	v_cndmask_b32_e32 v38, v2, v3, vcc_lo
	v_cmp_eq_u32_e32 vcc_lo, 2, v34
	s_delay_alu instid0(VALU_DEP_2) | instskip(SKIP_1) | instid1(VALU_DEP_2)
	v_cndmask_b32_e32 v38, v38, v4, vcc_lo
	v_cmp_eq_u32_e32 vcc_lo, 3, v34
	v_cndmask_b32_e32 v38, v38, v5, vcc_lo
	v_cmp_eq_u32_e32 vcc_lo, 4, v34
	s_delay_alu instid0(VALU_DEP_2) | instskip(SKIP_1) | instid1(VALU_DEP_2)
	v_cndmask_b32_e32 v38, v38, v6, vcc_lo
	;; [unrolled: 5-line block ×14, first 2 shown]
	v_cmp_eq_u32_e32 vcc_lo, 29, v34
	v_cndmask_b32_e32 v38, v38, v31, vcc_lo
	v_cmp_eq_u32_e32 vcc_lo, 30, v34
	s_delay_alu instid0(VALU_DEP_2) | instskip(SKIP_2) | instid1(VALU_DEP_2)
	v_cndmask_b32_e32 v38, v38, v32, vcc_lo
	v_cmp_lt_u32_e32 vcc_lo, 25, v34
	s_wait_dscnt 0x0
	v_fmac_f32_e32 v33, v38, v39
	s_or_b32 s2, vcc_lo, s2
	s_delay_alu instid0(SALU_CYCLE_1)
	s_and_not1_b32 exec_lo, exec_lo, s2
	s_cbranch_execnz .LBB30_735
; %bb.736:
	s_or_b32 exec_lo, exec_lo, s2
.LBB30_737:
	s_delay_alu instid0(SALU_CYCLE_1)
	s_or_b32 exec_lo, exec_lo, s1
	v_mov_b32_e32 v29, 0
	ds_load_b32 v29, v29 offset:108
	s_wait_dscnt 0x0
	v_mul_f32_e32 v29, v33, v29
.LBB30_738:
	s_or_b32 exec_lo, exec_lo, s0
	s_delay_alu instid0(SALU_CYCLE_1)
	s_mov_b32 s0, exec_lo
	ds_store_b32 v131, v30
	s_wait_dscnt 0x0
	s_barrier_signal -1
	s_barrier_wait -1
	v_cmpx_gt_u32_e32 28, v0
	s_cbranch_execz .LBB30_748
; %bb.739:
	v_cmp_ne_u32_e32 vcc_lo, 1, v36
	s_cbranch_vccnz .LBB30_741
; %bb.740:
	v_cmp_eq_u32_e32 vcc_lo, 1, v0
	ds_load_b32 v34, v131
	v_cndmask_b32_e32 v33, v2, v3, vcc_lo
	v_cmp_eq_u32_e32 vcc_lo, 2, v0
	s_delay_alu instid0(VALU_DEP_2) | instskip(SKIP_1) | instid1(VALU_DEP_2)
	v_cndmask_b32_e32 v33, v33, v4, vcc_lo
	v_cmp_eq_u32_e32 vcc_lo, 3, v0
	v_cndmask_b32_e32 v33, v33, v5, vcc_lo
	v_cmp_eq_u32_e32 vcc_lo, 4, v0
	s_delay_alu instid0(VALU_DEP_2) | instskip(SKIP_1) | instid1(VALU_DEP_2)
	v_cndmask_b32_e32 v33, v33, v6, vcc_lo
	v_cmp_eq_u32_e32 vcc_lo, 5, v0
	;; [unrolled: 5-line block ×14, first 2 shown]
	v_cndmask_b32_e32 v33, v33, v31, vcc_lo
	v_cmp_eq_u32_e32 vcc_lo, 30, v0
	s_delay_alu instid0(VALU_DEP_2) | instskip(SKIP_1) | instid1(VALU_DEP_1)
	v_cndmask_b32_e32 v33, v33, v32, vcc_lo
	s_wait_dscnt 0x0
	v_mul_f32_e32 v33, v33, v34
	s_cbranch_execz .LBB30_742
	s_branch .LBB30_743
.LBB30_741:
                                        ; implicit-def: $vgpr33
.LBB30_742:
	ds_load_b32 v33, v131
.LBB30_743:
	s_mov_b32 s1, exec_lo
	v_cmpx_ne_u32_e32 27, v0
	s_cbranch_execz .LBB30_747
; %bb.744:
	v_mov_b64_e32 v[34:35], v[0:1]
	v_lshl_add_u32 v37, v0, 2, 0x84
	s_mov_b32 s2, 0
.LBB30_745:                             ; =>This Inner Loop Header: Depth=1
	s_delay_alu instid0(VALU_DEP_2)
	v_add_nc_u64_e32 v[34:35], 1, v[34:35]
	ds_load_b32 v39, v37
	v_add_nc_u32_e32 v37, 4, v37
	v_cmp_eq_u32_e32 vcc_lo, 1, v34
	v_cndmask_b32_e32 v38, v2, v3, vcc_lo
	v_cmp_eq_u32_e32 vcc_lo, 2, v34
	s_delay_alu instid0(VALU_DEP_2) | instskip(SKIP_1) | instid1(VALU_DEP_2)
	v_cndmask_b32_e32 v38, v38, v4, vcc_lo
	v_cmp_eq_u32_e32 vcc_lo, 3, v34
	v_cndmask_b32_e32 v38, v38, v5, vcc_lo
	v_cmp_eq_u32_e32 vcc_lo, 4, v34
	s_delay_alu instid0(VALU_DEP_2) | instskip(SKIP_1) | instid1(VALU_DEP_2)
	v_cndmask_b32_e32 v38, v38, v6, vcc_lo
	;; [unrolled: 5-line block ×14, first 2 shown]
	v_cmp_eq_u32_e32 vcc_lo, 29, v34
	v_cndmask_b32_e32 v38, v38, v31, vcc_lo
	v_cmp_eq_u32_e32 vcc_lo, 30, v34
	s_delay_alu instid0(VALU_DEP_2) | instskip(SKIP_2) | instid1(VALU_DEP_2)
	v_cndmask_b32_e32 v38, v38, v32, vcc_lo
	v_cmp_lt_u32_e32 vcc_lo, 26, v34
	s_wait_dscnt 0x0
	v_fmac_f32_e32 v33, v38, v39
	s_or_b32 s2, vcc_lo, s2
	s_delay_alu instid0(SALU_CYCLE_1)
	s_and_not1_b32 exec_lo, exec_lo, s2
	s_cbranch_execnz .LBB30_745
; %bb.746:
	s_or_b32 exec_lo, exec_lo, s2
.LBB30_747:
	s_delay_alu instid0(SALU_CYCLE_1)
	s_or_b32 exec_lo, exec_lo, s1
	v_mov_b32_e32 v30, 0
	ds_load_b32 v30, v30 offset:112
	s_wait_dscnt 0x0
	v_mul_f32_e32 v30, v33, v30
.LBB30_748:
	s_or_b32 exec_lo, exec_lo, s0
	v_cmp_gt_u32_e64 s0, 29, v0
	ds_store_b32 v131, v31
	s_wait_dscnt 0x0
	s_barrier_signal -1
	s_barrier_wait -1
	s_and_saveexec_b32 s1, s0
	s_cbranch_execz .LBB30_758
; %bb.749:
	v_cmp_ne_u32_e32 vcc_lo, 1, v36
	s_cbranch_vccnz .LBB30_751
; %bb.750:
	v_cmp_eq_u32_e32 vcc_lo, 1, v0
	ds_load_b32 v34, v131
	v_cndmask_b32_e32 v33, v2, v3, vcc_lo
	v_cmp_eq_u32_e32 vcc_lo, 2, v0
	s_delay_alu instid0(VALU_DEP_2) | instskip(SKIP_1) | instid1(VALU_DEP_2)
	v_cndmask_b32_e32 v33, v33, v4, vcc_lo
	v_cmp_eq_u32_e32 vcc_lo, 3, v0
	v_cndmask_b32_e32 v33, v33, v5, vcc_lo
	v_cmp_eq_u32_e32 vcc_lo, 4, v0
	s_delay_alu instid0(VALU_DEP_2) | instskip(SKIP_1) | instid1(VALU_DEP_2)
	v_cndmask_b32_e32 v33, v33, v6, vcc_lo
	v_cmp_eq_u32_e32 vcc_lo, 5, v0
	;; [unrolled: 5-line block ×14, first 2 shown]
	v_cndmask_b32_e32 v33, v33, v31, vcc_lo
	v_cmp_eq_u32_e32 vcc_lo, 30, v0
	s_delay_alu instid0(VALU_DEP_2) | instskip(SKIP_1) | instid1(VALU_DEP_1)
	v_cndmask_b32_e32 v33, v33, v32, vcc_lo
	s_wait_dscnt 0x0
	v_mul_f32_e32 v33, v33, v34
	s_cbranch_execz .LBB30_752
	s_branch .LBB30_753
.LBB30_751:
                                        ; implicit-def: $vgpr33
.LBB30_752:
	ds_load_b32 v33, v131
.LBB30_753:
	s_mov_b32 s2, exec_lo
	v_cmpx_ne_u32_e32 28, v0
	s_cbranch_execz .LBB30_757
; %bb.754:
	v_mov_b64_e32 v[34:35], v[0:1]
	v_lshl_add_u32 v37, v0, 2, 0x84
	s_mov_b32 s3, 0
.LBB30_755:                             ; =>This Inner Loop Header: Depth=1
	s_delay_alu instid0(VALU_DEP_2)
	v_add_nc_u64_e32 v[34:35], 1, v[34:35]
	ds_load_b32 v39, v37
	v_add_nc_u32_e32 v37, 4, v37
	v_cmp_eq_u32_e32 vcc_lo, 1, v34
	v_cndmask_b32_e32 v38, v2, v3, vcc_lo
	v_cmp_eq_u32_e32 vcc_lo, 2, v34
	s_delay_alu instid0(VALU_DEP_2) | instskip(SKIP_1) | instid1(VALU_DEP_2)
	v_cndmask_b32_e32 v38, v38, v4, vcc_lo
	v_cmp_eq_u32_e32 vcc_lo, 3, v34
	v_cndmask_b32_e32 v38, v38, v5, vcc_lo
	v_cmp_eq_u32_e32 vcc_lo, 4, v34
	s_delay_alu instid0(VALU_DEP_2) | instskip(SKIP_1) | instid1(VALU_DEP_2)
	v_cndmask_b32_e32 v38, v38, v6, vcc_lo
	;; [unrolled: 5-line block ×14, first 2 shown]
	v_cmp_eq_u32_e32 vcc_lo, 29, v34
	v_cndmask_b32_e32 v38, v38, v31, vcc_lo
	v_cmp_eq_u32_e32 vcc_lo, 30, v34
	s_delay_alu instid0(VALU_DEP_2) | instskip(SKIP_2) | instid1(VALU_DEP_2)
	v_cndmask_b32_e32 v38, v38, v32, vcc_lo
	v_cmp_lt_u32_e32 vcc_lo, 27, v34
	s_wait_dscnt 0x0
	v_fmac_f32_e32 v33, v38, v39
	s_or_b32 s3, vcc_lo, s3
	s_delay_alu instid0(SALU_CYCLE_1)
	s_and_not1_b32 exec_lo, exec_lo, s3
	s_cbranch_execnz .LBB30_755
; %bb.756:
	s_or_b32 exec_lo, exec_lo, s3
.LBB30_757:
	s_delay_alu instid0(SALU_CYCLE_1)
	s_or_b32 exec_lo, exec_lo, s2
	v_mov_b32_e32 v31, 0
	ds_load_b32 v31, v31 offset:116
	s_wait_dscnt 0x0
	v_mul_f32_e32 v31, v33, v31
.LBB30_758:
	s_or_b32 exec_lo, exec_lo, s1
	s_delay_alu instid0(SALU_CYCLE_1)
	s_mov_b32 s1, exec_lo
	ds_store_b32 v131, v32
	s_wait_dscnt 0x0
	s_barrier_signal -1
	s_barrier_wait -1
	v_cmpx_ne_u32_e32 30, v0
	s_cbranch_execz .LBB30_768
; %bb.759:
	v_cmp_ne_u32_e32 vcc_lo, 1, v36
	s_cbranch_vccnz .LBB30_761
; %bb.760:
	v_cmp_eq_u32_e32 vcc_lo, 1, v0
	ds_load_b32 v34, v131
	v_cndmask_b32_e32 v33, v2, v3, vcc_lo
	v_cmp_eq_u32_e32 vcc_lo, 2, v0
	s_delay_alu instid0(VALU_DEP_2) | instskip(SKIP_1) | instid1(VALU_DEP_2)
	v_cndmask_b32_e32 v33, v33, v4, vcc_lo
	v_cmp_eq_u32_e32 vcc_lo, 3, v0
	v_cndmask_b32_e32 v33, v33, v5, vcc_lo
	v_cmp_eq_u32_e32 vcc_lo, 4, v0
	s_delay_alu instid0(VALU_DEP_2) | instskip(SKIP_1) | instid1(VALU_DEP_2)
	v_cndmask_b32_e32 v33, v33, v6, vcc_lo
	v_cmp_eq_u32_e32 vcc_lo, 5, v0
	;; [unrolled: 5-line block ×14, first 2 shown]
	v_cndmask_b32_e32 v33, v33, v31, vcc_lo
	v_cmp_eq_u32_e32 vcc_lo, 30, v0
	s_delay_alu instid0(VALU_DEP_2) | instskip(SKIP_1) | instid1(VALU_DEP_1)
	v_cndmask_b32_e32 v33, v33, v32, vcc_lo
	s_wait_dscnt 0x0
	v_mul_f32_e32 v33, v33, v34
	s_cbranch_execz .LBB30_762
	s_branch .LBB30_763
.LBB30_761:
                                        ; implicit-def: $vgpr33
.LBB30_762:
	ds_load_b32 v33, v131
.LBB30_763:
	s_and_saveexec_b32 s2, s0
	s_cbranch_execz .LBB30_767
; %bb.764:
	v_lshl_add_u32 v34, v0, 2, 0x84
	s_mov_b32 s0, 0
.LBB30_765:                             ; =>This Inner Loop Header: Depth=1
	v_add_nc_u64_e32 v[0:1], 1, v[0:1]
	ds_load_b32 v36, v34
	v_add_nc_u32_e32 v34, 4, v34
	v_cmp_eq_u32_e32 vcc_lo, 1, v0
	v_cndmask_b32_e32 v35, v2, v3, vcc_lo
	v_cmp_eq_u32_e32 vcc_lo, 2, v0
	s_delay_alu instid0(VALU_DEP_2) | instskip(SKIP_1) | instid1(VALU_DEP_2)
	v_cndmask_b32_e32 v35, v35, v4, vcc_lo
	v_cmp_eq_u32_e32 vcc_lo, 3, v0
	v_cndmask_b32_e32 v35, v35, v5, vcc_lo
	v_cmp_eq_u32_e32 vcc_lo, 4, v0
	s_delay_alu instid0(VALU_DEP_2) | instskip(SKIP_1) | instid1(VALU_DEP_2)
	v_cndmask_b32_e32 v35, v35, v6, vcc_lo
	;; [unrolled: 5-line block ×14, first 2 shown]
	v_cmp_eq_u32_e32 vcc_lo, 29, v0
	v_cndmask_b32_e32 v35, v35, v31, vcc_lo
	v_cmp_eq_u32_e32 vcc_lo, 30, v0
	s_delay_alu instid0(VALU_DEP_2) | instskip(SKIP_2) | instid1(VALU_DEP_2)
	v_cndmask_b32_e32 v35, v35, v32, vcc_lo
	v_cmp_lt_u32_e32 vcc_lo, 28, v0
	s_wait_dscnt 0x0
	v_fmac_f32_e32 v33, v35, v36
	s_or_b32 s0, vcc_lo, s0
	s_delay_alu instid0(SALU_CYCLE_1)
	s_and_not1_b32 exec_lo, exec_lo, s0
	s_cbranch_execnz .LBB30_765
; %bb.766:
	s_or_b32 exec_lo, exec_lo, s0
.LBB30_767:
	s_delay_alu instid0(SALU_CYCLE_1)
	s_or_b32 exec_lo, exec_lo, s2
	v_mov_b32_e32 v0, 0
	ds_load_b32 v0, v0 offset:120
	s_wait_dscnt 0x0
	v_mul_f32_e32 v32, v33, v0
.LBB30_768:
	s_or_b32 exec_lo, exec_lo, s1
	s_delay_alu instid0(VALU_DEP_1)
	v_mov_b64_e32 v[64:65], v[32:33]
	v_mov_b64_e32 v[62:63], v[30:31]
	;; [unrolled: 1-line block ×16, first 2 shown]
.LBB30_769:
	s_wait_xcnt 0x6
	v_lshl_add_u64 v[0:1], v[66:67], 2, s[34:35]
	s_wait_loadcnt 0x6
	v_lshl_add_u64 v[2:3], v[68:69], 2, s[34:35]
	v_lshl_add_u64 v[4:5], v[70:71], 2, s[34:35]
	;; [unrolled: 1-line block ×12, first 2 shown]
	s_wait_loadcnt 0x5
	v_lshl_add_u64 v[26:27], v[92:93], 2, s[34:35]
	s_wait_loadcnt 0x3
	v_lshl_add_u64 v[28:29], v[94:95], 2, s[34:35]
	;; [unrolled: 2-line block ×4, first 2 shown]
	v_lshl_add_u64 v[66:67], v[100:101], 2, s[34:35]
	v_lshl_add_u64 v[68:69], v[102:103], 2, s[34:35]
	;; [unrolled: 1-line block ×12, first 2 shown]
	s_clause 0x1e
	global_store_b32 v[108:109], v34, off
	global_store_b32 v[112:113], v35, off
	;; [unrolled: 1-line block ×31, first 2 shown]
.LBB30_770:
	s_sendmsg sendmsg(MSG_DEALLOC_VGPRS)
	s_endpgm
	.section	.rodata,"a",@progbits
	.p2align	6, 0x0
	.amdhsa_kernel _ZN9rocsolver6v33100L18trti2_kernel_smallILi31EfPfEEv13rocblas_fill_17rocblas_diagonal_T1_iil
		.amdhsa_group_segment_fixed_size 252
		.amdhsa_private_segment_fixed_size 0
		.amdhsa_kernarg_size 32
		.amdhsa_user_sgpr_count 2
		.amdhsa_user_sgpr_dispatch_ptr 0
		.amdhsa_user_sgpr_queue_ptr 0
		.amdhsa_user_sgpr_kernarg_segment_ptr 1
		.amdhsa_user_sgpr_dispatch_id 0
		.amdhsa_user_sgpr_kernarg_preload_length 0
		.amdhsa_user_sgpr_kernarg_preload_offset 0
		.amdhsa_user_sgpr_private_segment_size 0
		.amdhsa_wavefront_size32 1
		.amdhsa_uses_dynamic_stack 0
		.amdhsa_enable_private_segment 0
		.amdhsa_system_sgpr_workgroup_id_x 1
		.amdhsa_system_sgpr_workgroup_id_y 0
		.amdhsa_system_sgpr_workgroup_id_z 0
		.amdhsa_system_sgpr_workgroup_info 0
		.amdhsa_system_vgpr_workitem_id 0
		.amdhsa_next_free_vgpr 143
		.amdhsa_next_free_sgpr 44
		.amdhsa_named_barrier_count 0
		.amdhsa_reserve_vcc 1
		.amdhsa_float_round_mode_32 0
		.amdhsa_float_round_mode_16_64 0
		.amdhsa_float_denorm_mode_32 3
		.amdhsa_float_denorm_mode_16_64 3
		.amdhsa_fp16_overflow 0
		.amdhsa_memory_ordered 1
		.amdhsa_forward_progress 1
		.amdhsa_inst_pref_size 255
		.amdhsa_round_robin_scheduling 0
		.amdhsa_exception_fp_ieee_invalid_op 0
		.amdhsa_exception_fp_denorm_src 0
		.amdhsa_exception_fp_ieee_div_zero 0
		.amdhsa_exception_fp_ieee_overflow 0
		.amdhsa_exception_fp_ieee_underflow 0
		.amdhsa_exception_fp_ieee_inexact 0
		.amdhsa_exception_int_div_zero 0
	.end_amdhsa_kernel
	.section	.text._ZN9rocsolver6v33100L18trti2_kernel_smallILi31EfPfEEv13rocblas_fill_17rocblas_diagonal_T1_iil,"axG",@progbits,_ZN9rocsolver6v33100L18trti2_kernel_smallILi31EfPfEEv13rocblas_fill_17rocblas_diagonal_T1_iil,comdat
.Lfunc_end30:
	.size	_ZN9rocsolver6v33100L18trti2_kernel_smallILi31EfPfEEv13rocblas_fill_17rocblas_diagonal_T1_iil, .Lfunc_end30-_ZN9rocsolver6v33100L18trti2_kernel_smallILi31EfPfEEv13rocblas_fill_17rocblas_diagonal_T1_iil
                                        ; -- End function
	.set _ZN9rocsolver6v33100L18trti2_kernel_smallILi31EfPfEEv13rocblas_fill_17rocblas_diagonal_T1_iil.num_vgpr, 143
	.set _ZN9rocsolver6v33100L18trti2_kernel_smallILi31EfPfEEv13rocblas_fill_17rocblas_diagonal_T1_iil.num_agpr, 0
	.set _ZN9rocsolver6v33100L18trti2_kernel_smallILi31EfPfEEv13rocblas_fill_17rocblas_diagonal_T1_iil.numbered_sgpr, 44
	.set _ZN9rocsolver6v33100L18trti2_kernel_smallILi31EfPfEEv13rocblas_fill_17rocblas_diagonal_T1_iil.num_named_barrier, 0
	.set _ZN9rocsolver6v33100L18trti2_kernel_smallILi31EfPfEEv13rocblas_fill_17rocblas_diagonal_T1_iil.private_seg_size, 0
	.set _ZN9rocsolver6v33100L18trti2_kernel_smallILi31EfPfEEv13rocblas_fill_17rocblas_diagonal_T1_iil.uses_vcc, 1
	.set _ZN9rocsolver6v33100L18trti2_kernel_smallILi31EfPfEEv13rocblas_fill_17rocblas_diagonal_T1_iil.uses_flat_scratch, 0
	.set _ZN9rocsolver6v33100L18trti2_kernel_smallILi31EfPfEEv13rocblas_fill_17rocblas_diagonal_T1_iil.has_dyn_sized_stack, 0
	.set _ZN9rocsolver6v33100L18trti2_kernel_smallILi31EfPfEEv13rocblas_fill_17rocblas_diagonal_T1_iil.has_recursion, 0
	.set _ZN9rocsolver6v33100L18trti2_kernel_smallILi31EfPfEEv13rocblas_fill_17rocblas_diagonal_T1_iil.has_indirect_call, 0
	.section	.AMDGPU.csdata,"",@progbits
; Kernel info:
; codeLenInByte = 58544
; TotalNumSgprs: 46
; NumVgprs: 143
; ScratchSize: 0
; MemoryBound: 0
; FloatMode: 240
; IeeeMode: 1
; LDSByteSize: 252 bytes/workgroup (compile time only)
; SGPRBlocks: 0
; VGPRBlocks: 8
; NumSGPRsForWavesPerEU: 46
; NumVGPRsForWavesPerEU: 143
; NamedBarCnt: 0
; Occupancy: 7
; WaveLimiterHint : 0
; COMPUTE_PGM_RSRC2:SCRATCH_EN: 0
; COMPUTE_PGM_RSRC2:USER_SGPR: 2
; COMPUTE_PGM_RSRC2:TRAP_HANDLER: 0
; COMPUTE_PGM_RSRC2:TGID_X_EN: 1
; COMPUTE_PGM_RSRC2:TGID_Y_EN: 0
; COMPUTE_PGM_RSRC2:TGID_Z_EN: 0
; COMPUTE_PGM_RSRC2:TIDIG_COMP_CNT: 0
	.section	.text._ZN9rocsolver6v33100L18trti2_kernel_smallILi32EfPfEEv13rocblas_fill_17rocblas_diagonal_T1_iil,"axG",@progbits,_ZN9rocsolver6v33100L18trti2_kernel_smallILi32EfPfEEv13rocblas_fill_17rocblas_diagonal_T1_iil,comdat
	.globl	_ZN9rocsolver6v33100L18trti2_kernel_smallILi32EfPfEEv13rocblas_fill_17rocblas_diagonal_T1_iil ; -- Begin function _ZN9rocsolver6v33100L18trti2_kernel_smallILi32EfPfEEv13rocblas_fill_17rocblas_diagonal_T1_iil
	.p2align	8
	.type	_ZN9rocsolver6v33100L18trti2_kernel_smallILi32EfPfEEv13rocblas_fill_17rocblas_diagonal_T1_iil,@function
_ZN9rocsolver6v33100L18trti2_kernel_smallILi32EfPfEEv13rocblas_fill_17rocblas_diagonal_T1_iil: ; @_ZN9rocsolver6v33100L18trti2_kernel_smallILi32EfPfEEv13rocblas_fill_17rocblas_diagonal_T1_iil
; %bb.0:
	s_mov_b32 s2, exec_lo
	v_cmpx_gt_u32_e32 32, v0
	s_cbranch_execz .LBB31_796
; %bb.1:
	s_load_b256 s[36:43], s[0:1], 0x0
	s_wait_xcnt 0x0
	s_bfe_u32 s0, ttmp6, 0x4000c
	s_and_b32 s1, ttmp6, 15
	s_add_co_i32 s0, s0, 1
	s_getreg_b32 s2, hwreg(HW_REG_IB_STS2, 6, 4)
	s_mul_i32 s0, ttmp9, s0
	v_mov_b32_e32 v1, 0
	s_add_co_i32 s0, s1, s0
	s_delay_alu instid0(VALU_DEP_1)
	v_dual_mov_b32 v35, v1 :: v_dual_lshlrev_b32 v34, 2, v0
	s_wait_kmcnt 0x0
	v_add3_u32 v66, s41, s41, v0
	s_ashr_i32 s1, s40, 31
	s_cmp_eq_u32 s2, 0
	s_cselect_b32 s2, ttmp9, s0
	s_delay_alu instid0(VALU_DEP_1)
	v_add_nc_u32_e32 v68, s41, v66
	s_ashr_i32 s3, s2, 31
	s_mov_b32 s0, s40
	s_mul_u64 s[2:3], s[42:43], s[2:3]
	s_lshl_b64 s[0:1], s[0:1], 2
	v_add_nc_u32_e32 v70, s41, v68
	s_lshl_b64 s[2:3], s[2:3], 2
	s_delay_alu instid0(SALU_CYCLE_1) | instskip(NEXT) | instid1(VALU_DEP_1)
	s_add_nc_u64 s[2:3], s[38:39], s[2:3]
	v_add_nc_u32_e32 v72, s41, v70
	s_add_nc_u64 s[34:35], s[2:3], s[0:1]
	s_mov_b32 s0, s41
	s_ashr_i32 s1, s41, 31
	s_cmp_lg_u32 s37, 0x84
	v_add_nc_u32_e32 v74, s41, v72
	s_cselect_b32 s33, -1, 0
	s_cmp_eq_u32 s37, 0x84
	v_add_nc_u64_e32 v[110:111], s[34:35], v[34:35]
	s_delay_alu instid0(VALU_DEP_2) | instskip(NEXT) | instid1(VALU_DEP_1)
	v_dual_mov_b32 v35, -1.0 :: v_dual_add_nc_u32 v76, s41, v74
	v_add_nc_u32_e32 v78, s41, v76
	s_delay_alu instid0(VALU_DEP_3)
	v_lshl_add_u64 v[114:115], s[0:1], 2, v[110:111]
	s_clause 0x7
	global_load_b32 v3, v[114:115], off
	global_load_b32 v4, v66, s[34:35] scale_offset
	global_load_b32 v5, v68, s[34:35] scale_offset
	;; [unrolled: 1-line block ×7, first 2 shown]
	v_add_nc_u32_e32 v80, s41, v78
	v_cmp_eq_u32_e64 s0, 0, v0
	s_delay_alu instid0(VALU_DEP_2) | instskip(NEXT) | instid1(VALU_DEP_1)
	v_add_nc_u32_e32 v82, s41, v80
	v_add_nc_u32_e32 v84, s41, v82
	s_delay_alu instid0(VALU_DEP_1) | instskip(NEXT) | instid1(VALU_DEP_1)
	v_add_nc_u32_e32 v86, s41, v84
	v_add_nc_u32_e32 v88, s41, v86
	s_delay_alu instid0(VALU_DEP_1) | instskip(NEXT) | instid1(VALU_DEP_1)
	;; [unrolled: 3-line block ×4, first 2 shown]
	v_add_nc_u32_e32 v98, s41, v96
	v_add_nc_u32_e32 v100, s41, v98
	s_clause 0x7
	global_load_b32 v11, v80, s[34:35] scale_offset
	global_load_b32 v12, v82, s[34:35] scale_offset
	;; [unrolled: 1-line block ×8, first 2 shown]
	v_add_nc_u32_e32 v102, s41, v100
	s_delay_alu instid0(VALU_DEP_1) | instskip(NEXT) | instid1(VALU_DEP_1)
	v_add_nc_u32_e32 v104, s41, v102
	v_add_nc_u32_e32 v106, s41, v104
	s_delay_alu instid0(VALU_DEP_1) | instskip(NEXT) | instid1(VALU_DEP_1)
	v_add_nc_u32_e32 v108, s41, v106
	;; [unrolled: 3-line block ×3, first 2 shown]
	v_add_nc_u32_e32 v118, s41, v116
	s_delay_alu instid0(VALU_DEP_1)
	v_add_nc_u32_e32 v120, s41, v118
	s_clause 0x7
	global_load_b32 v19, v96, s[34:35] scale_offset
	global_load_b32 v20, v98, s[34:35] scale_offset
	;; [unrolled: 1-line block ×8, first 2 shown]
	v_add_nc_u32_e32 v122, s41, v120
	s_delay_alu instid0(VALU_DEP_1) | instskip(NEXT) | instid1(VALU_DEP_1)
	v_add_nc_u32_e32 v124, s41, v122
	v_add_nc_u32_e32 v126, s41, v124
	s_delay_alu instid0(VALU_DEP_1)
	v_add_nc_u32_e32 v128, s41, v126
	s_clause 0x7
	global_load_b32 v2, v0, s[34:35] scale_offset
	global_load_b32 v27, v116, s[34:35] scale_offset
	;; [unrolled: 1-line block ×8, first 2 shown]
	s_cbranch_scc1 .LBB31_3
; %bb.2:
	v_cmp_eq_u32_e64 s1, 1, v0
	v_cmp_eq_u32_e64 s2, 2, v0
	;; [unrolled: 1-line block ×5, first 2 shown]
	s_wait_loadcnt 0x7
	v_cndmask_b32_e64 v35, v2, v3, s1
	v_cmp_eq_u32_e64 s6, 6, v0
	v_cmp_eq_u32_e64 s7, 7, v0
	v_cmp_eq_u32_e64 s8, 8, v0
	v_cmp_eq_u32_e64 s9, 9, v0
	v_cndmask_b32_e64 v35, v35, v4, s2
	v_cmp_eq_u32_e64 s10, 10, v0
	v_cmp_eq_u32_e64 s11, 11, v0
	v_cmp_eq_u32_e64 s12, 12, v0
	v_cmp_eq_u32_e64 s13, 13, v0
	;; [unrolled: 5-line block ×6, first 2 shown]
	v_cndmask_b32_e64 v35, v35, v9, s7
	v_cmp_eq_u32_e64 s30, 30, v0
	v_cmp_eq_u32_e64 s31, 31, v0
	s_delay_alu instid0(VALU_DEP_3) | instskip(NEXT) | instid1(VALU_DEP_1)
	v_cndmask_b32_e64 v35, v35, v10, s8
	v_cndmask_b32_e64 v35, v35, v11, s9
	s_delay_alu instid0(VALU_DEP_1) | instskip(NEXT) | instid1(VALU_DEP_1)
	v_cndmask_b32_e64 v35, v35, v12, s10
	v_cndmask_b32_e64 v35, v35, v13, s11
	s_delay_alu instid0(VALU_DEP_1) | instskip(NEXT) | instid1(VALU_DEP_1)
	;; [unrolled: 3-line block ×7, first 2 shown]
	v_cndmask_b32_e64 v35, v35, v24, s22
	v_cndmask_b32_e64 v35, v35, v25, s23
	s_delay_alu instid0(VALU_DEP_1) | instskip(SKIP_1) | instid1(VALU_DEP_1)
	v_cndmask_b32_e64 v35, v35, v26, s24
	s_wait_loadcnt 0x6
	v_cndmask_b32_e64 v35, v35, v27, s25
	s_wait_loadcnt 0x5
	s_delay_alu instid0(VALU_DEP_1) | instskip(SKIP_1) | instid1(VALU_DEP_1)
	v_cndmask_b32_e64 v35, v35, v28, s26
	s_wait_loadcnt 0x4
	v_cndmask_b32_e64 v35, v35, v29, s27
	s_wait_loadcnt 0x3
	;; [unrolled: 5-line block ×3, first 2 shown]
	s_delay_alu instid0(VALU_DEP_1) | instskip(SKIP_1) | instid1(VALU_DEP_1)
	v_cndmask_b32_e64 v35, v35, v32, s30
	s_wait_loadcnt 0x0
	v_cndmask_b32_e64 v35, v35, v33, s31
	s_delay_alu instid0(VALU_DEP_1) | instskip(SKIP_1) | instid1(VALU_DEP_2)
	v_div_scale_f32 v36, null, v35, v35, 1.0
	v_div_scale_f32 v39, vcc_lo, 1.0, v35, 1.0
	v_rcp_f32_e32 v37, v36
	v_nop
	s_delay_alu instid0(TRANS32_DEP_1) | instskip(NEXT) | instid1(VALU_DEP_1)
	v_fma_f32 v38, -v36, v37, 1.0
	v_fmac_f32_e32 v37, v38, v37
	s_delay_alu instid0(VALU_DEP_1) | instskip(NEXT) | instid1(VALU_DEP_1)
	v_mul_f32_e32 v38, v39, v37
	v_fma_f32 v40, -v36, v38, v39
	s_delay_alu instid0(VALU_DEP_1) | instskip(NEXT) | instid1(VALU_DEP_1)
	v_fmac_f32_e32 v38, v40, v37
	v_fma_f32 v36, -v36, v38, v39
	s_delay_alu instid0(VALU_DEP_1) | instskip(NEXT) | instid1(VALU_DEP_1)
	v_div_fmas_f32 v36, v36, v37, v38
	v_div_fixup_f32 v35, v36, v35, 1.0
	s_delay_alu instid0(VALU_DEP_1)
	v_dual_cndmask_b32 v33, v33, v35, s31 :: v_dual_cndmask_b32 v32, v32, v35, s30
	v_dual_cndmask_b32 v31, v31, v35, s29 :: v_dual_cndmask_b32 v30, v30, v35, s28
	;; [unrolled: 1-line block ×16, first 2 shown]
	v_xor_b32_e32 v35, 0x80000000, v35
.LBB31_3:
	v_dual_ashrrev_i32 v67, 31, v66 :: v_dual_ashrrev_i32 v69, 31, v68
	v_dual_ashrrev_i32 v71, 31, v70 :: v_dual_ashrrev_i32 v73, 31, v72
	;; [unrolled: 1-line block ×14, first 2 shown]
	v_ashrrev_i32_e32 v125, 31, v124
	v_ashrrev_i32_e32 v129, 31, v128
	v_add_nc_u32_e32 v133, 0x80, v34
	s_cmp_eq_u32 s36, 0x79
	ds_store_b32 v34, v35
	s_cbranch_scc1 .LBB31_7
; %bb.4:
	s_wait_loadcnt 0x0
	v_mov_b64_e32 v[64:65], v[32:33]
	v_mov_b64_e32 v[62:63], v[30:31]
	;; [unrolled: 1-line block ×16, first 2 shown]
	v_cmp_eq_u32_e64 s0, 31, v0
	ds_store_b32 v133, v32
	s_wait_dscnt 0x0
	s_barrier_signal -1
	s_barrier_wait -1
	s_and_saveexec_b32 s1, s0
	s_cbranch_execz .LBB31_11
; %bb.5:
	s_and_b32 vcc_lo, exec_lo, s33
	s_cbranch_vccz .LBB31_8
; %bb.6:
	v_cmp_eq_u32_e32 vcc_lo, 1, v0
	ds_load_b32 v35, v133
	v_cndmask_b32_e32 v34, v2, v3, vcc_lo
	v_cmp_eq_u32_e32 vcc_lo, 2, v0
	s_delay_alu instid0(VALU_DEP_2) | instskip(SKIP_1) | instid1(VALU_DEP_2)
	v_cndmask_b32_e32 v34, v34, v4, vcc_lo
	v_cmp_eq_u32_e32 vcc_lo, 3, v0
	v_cndmask_b32_e32 v34, v34, v5, vcc_lo
	v_cmp_eq_u32_e32 vcc_lo, 4, v0
	s_delay_alu instid0(VALU_DEP_2) | instskip(SKIP_1) | instid1(VALU_DEP_2)
	v_cndmask_b32_e32 v34, v34, v6, vcc_lo
	v_cmp_eq_u32_e32 vcc_lo, 5, v0
	;; [unrolled: 5-line block ×15, first 2 shown]
	v_cndmask_b32_e32 v34, v34, v33, vcc_lo
	s_wait_dscnt 0x0
	s_delay_alu instid0(VALU_DEP_1)
	v_mul_f32_e32 v34, v34, v35
	s_cbranch_execz .LBB31_9
	s_branch .LBB31_10
.LBB31_7:
                                        ; implicit-def: $vgpr34_vgpr35_vgpr36_vgpr37_vgpr38_vgpr39_vgpr40_vgpr41_vgpr42_vgpr43_vgpr44_vgpr45_vgpr46_vgpr47_vgpr48_vgpr49_vgpr50_vgpr51_vgpr52_vgpr53_vgpr54_vgpr55_vgpr56_vgpr57_vgpr58_vgpr59_vgpr60_vgpr61_vgpr62_vgpr63_vgpr64_vgpr65
	s_cbranch_execnz .LBB31_482
	s_branch .LBB31_795
.LBB31_8:
                                        ; implicit-def: $vgpr34
.LBB31_9:
	ds_load_b32 v34, v133
.LBB31_10:
	v_mov_b32_e32 v35, 0
	ds_load_b32 v35, v35 offset:120
	s_wait_dscnt 0x0
	v_mul_f32_e32 v130, v34, v35
	v_mov_b64_e32 v[64:65], v[32:33]
	v_mov_b64_e32 v[62:63], v[30:31]
	;; [unrolled: 1-line block ×16, first 2 shown]
	v_mov_b32_e32 v64, v130
.LBB31_11:
	s_or_b32 exec_lo, exec_lo, s1
	v_cmp_lt_u32_e64 s1, 29, v0
	ds_store_b32 v133, v63
	s_wait_dscnt 0x0
	s_barrier_signal -1
	s_barrier_wait -1
	s_and_saveexec_b32 s2, s1
	s_cbranch_execz .LBB31_17
; %bb.12:
	s_and_not1_b32 vcc_lo, exec_lo, s33
	s_cbranch_vccnz .LBB31_14
; %bb.13:
	v_cmp_eq_u32_e32 vcc_lo, 1, v0
	ds_load_b32 v131, v133
	v_cndmask_b32_e32 v130, v34, v35, vcc_lo
	v_cmp_eq_u32_e32 vcc_lo, 2, v0
	s_delay_alu instid0(VALU_DEP_2) | instskip(SKIP_1) | instid1(VALU_DEP_2)
	v_cndmask_b32_e32 v130, v130, v36, vcc_lo
	v_cmp_eq_u32_e32 vcc_lo, 3, v0
	v_cndmask_b32_e32 v130, v130, v37, vcc_lo
	v_cmp_eq_u32_e32 vcc_lo, 4, v0
	s_delay_alu instid0(VALU_DEP_2) | instskip(SKIP_1) | instid1(VALU_DEP_2)
	v_cndmask_b32_e32 v130, v130, v38, vcc_lo
	v_cmp_eq_u32_e32 vcc_lo, 5, v0
	;; [unrolled: 5-line block ×15, first 2 shown]
	v_cndmask_b32_e32 v63, v63, v65, vcc_lo
	s_wait_dscnt 0x0
	s_delay_alu instid0(VALU_DEP_1)
	v_mul_f32_e32 v63, v63, v131
	s_cbranch_execz .LBB31_15
	s_branch .LBB31_16
.LBB31_14:
                                        ; implicit-def: $vgpr63
.LBB31_15:
	ds_load_b32 v63, v133
.LBB31_16:
	v_mov_b32_e32 v130, 0
	ds_load_2addr_b32 v[130:131], v130 offset0:29 offset1:62
	s_wait_dscnt 0x0
	v_fma_f32 v131, v64, v131, v63
	s_delay_alu instid0(VALU_DEP_1) | instskip(NEXT) | instid1(VALU_DEP_1)
	v_cndmask_b32_e64 v63, v63, v131, s0
	v_mul_f32_e32 v63, v63, v130
.LBB31_17:
	s_or_b32 exec_lo, exec_lo, s2
	v_cmp_lt_u32_e64 s0, 28, v0
	ds_store_b32 v133, v62
	s_wait_dscnt 0x0
	s_barrier_signal -1
	s_barrier_wait -1
	s_and_saveexec_b32 s4, s0
	s_cbranch_execz .LBB31_33
; %bb.18:
	s_and_not1_b32 vcc_lo, exec_lo, s33
	s_cbranch_vccnz .LBB31_20
; %bb.19:
	v_cmp_eq_u32_e32 vcc_lo, 1, v0
	ds_load_b32 v131, v133
	v_cndmask_b32_e32 v130, v34, v35, vcc_lo
	v_cmp_eq_u32_e32 vcc_lo, 2, v0
	s_delay_alu instid0(VALU_DEP_2) | instskip(SKIP_1) | instid1(VALU_DEP_2)
	v_cndmask_b32_e32 v130, v130, v36, vcc_lo
	v_cmp_eq_u32_e32 vcc_lo, 3, v0
	v_cndmask_b32_e32 v130, v130, v37, vcc_lo
	v_cmp_eq_u32_e32 vcc_lo, 4, v0
	s_delay_alu instid0(VALU_DEP_2) | instskip(SKIP_1) | instid1(VALU_DEP_2)
	v_cndmask_b32_e32 v130, v130, v38, vcc_lo
	v_cmp_eq_u32_e32 vcc_lo, 5, v0
	;; [unrolled: 5-line block ×15, first 2 shown]
	v_cndmask_b32_e32 v130, v130, v65, vcc_lo
	s_wait_dscnt 0x0
	s_delay_alu instid0(VALU_DEP_1)
	v_mul_f32_e32 v134, v130, v131
	s_cbranch_execz .LBB31_21
	s_branch .LBB31_22
.LBB31_20:
                                        ; implicit-def: $vgpr134
.LBB31_21:
	ds_load_b32 v134, v133
.LBB31_22:
	s_and_saveexec_b32 s5, s1
	s_cbranch_execz .LBB31_32
; %bb.23:
	v_subrev_nc_u32_e32 v132, 30, v0
	v_mov_b32_e32 v130, 29
	v_subrev_nc_u32_e32 v131, 29, v0
	s_mov_b32 s1, exec_lo
	s_delay_alu instid0(VALU_DEP_3)
	v_cmpx_lt_u32_e32 6, v132
	s_cbranch_execz .LBB31_27
; %bb.24:
	s_delay_alu instid0(VALU_DEP_2) | instskip(SKIP_3) | instid1(VALU_DEP_1)
	v_and_b32_e32 v130, -8, v131
	s_mov_b32 s6, 0
	s_mov_b64 s[2:3], 36
	s_movk_i32 s7, 0xf4
	v_sub_nc_u32_e32 v132, 0, v130
.LBB31_25:                              ; =>This Inner Loop Header: Depth=1
	s_add_co_i32 m0, s2, -7
	v_movrels_b32_e32 v130, v34
	v_mov_b32_e32 v135, s7
	s_add_co_i32 m0, s2, -6
	s_add_co_i32 s7, s7, 32
	ds_load_2addr_b32 v[136:137], v135 offset1:1
	s_wait_dscnt 0x0
	v_fmac_f32_e32 v134, v130, v136
	v_movrels_b32_e32 v130, v34
	s_add_co_i32 m0, s2, -5
	s_delay_alu instid0(VALU_DEP_1) | instskip(SKIP_4) | instid1(VALU_DEP_1)
	v_fmac_f32_e32 v134, v130, v137
	ds_load_2addr_b32 v[136:137], v135 offset0:2 offset1:3
	v_movrels_b32_e32 v130, v34
	s_add_co_i32 m0, s2, -4
	s_wait_dscnt 0x0
	v_fmac_f32_e32 v134, v130, v136
	v_movrels_b32_e32 v130, v34
	s_add_co_i32 m0, s2, -3
	s_delay_alu instid0(VALU_DEP_1) | instskip(SKIP_4) | instid1(VALU_DEP_1)
	v_fmac_f32_e32 v134, v130, v137
	ds_load_2addr_b32 v[136:137], v135 offset0:4 offset1:5
	v_movrels_b32_e32 v130, v34
	s_add_co_i32 m0, s2, -2
	s_wait_dscnt 0x0
	v_fmac_f32_e32 v134, v130, v136
	v_movrels_b32_e32 v130, v34
	s_add_co_i32 m0, s2, -1
	s_delay_alu instid0(VALU_DEP_1) | instskip(SKIP_4) | instid1(SALU_CYCLE_1)
	v_fmac_f32_e32 v134, v130, v137
	ds_load_2addr_b32 v[136:137], v135 offset0:6 offset1:7
	v_movrels_b32_e32 v130, v34
	s_mov_b32 m0, s2
	s_add_nc_u64 s[2:3], s[2:3], 8
	s_add_co_i32 s8, s2, -7
	s_wait_dscnt 0x0
	v_fmac_f32_e32 v134, v130, v136
	v_movrels_b32_e32 v130, v34
	s_delay_alu instid0(VALU_DEP_1) | instskip(NEXT) | instid1(VALU_DEP_1)
	v_dual_fmac_f32 v134, v130, v137 :: v_dual_add_nc_u32 v130, s2, v132
	v_cmp_eq_u32_e32 vcc_lo, 36, v130
	v_mov_b32_e32 v130, s8
	s_or_b32 s6, vcc_lo, s6
	s_delay_alu instid0(SALU_CYCLE_1)
	s_and_not1_b32 exec_lo, exec_lo, s6
	s_cbranch_execnz .LBB31_25
; %bb.26:
	s_or_b32 exec_lo, exec_lo, s6
.LBB31_27:
	s_delay_alu instid0(SALU_CYCLE_1) | instskip(SKIP_3) | instid1(VALU_DEP_1)
	s_or_b32 exec_lo, exec_lo, s1
	v_and_b32_e32 v132, 7, v131
	s_mov_b32 s2, 0
	s_mov_b32 s1, exec_lo
	v_cmpx_ne_u32_e32 0, v132
	s_cbranch_execz .LBB31_31
; %bb.28:
	v_lshl_add_u32 v135, v130, 2, 0x80
	v_mov_b32_e32 v131, 0
.LBB31_29:                              ; =>This Inner Loop Header: Depth=1
	v_cmp_eq_u32_e32 vcc_lo, 1, v130
	ds_load_b32 v137, v135
	v_dual_add_nc_u32 v132, -1, v132 :: v_dual_add_nc_u32 v135, 4, v135
	v_cndmask_b32_e32 v136, v34, v35, vcc_lo
	v_cmp_eq_u32_e32 vcc_lo, 2, v130
	s_delay_alu instid0(VALU_DEP_2) | instskip(SKIP_1) | instid1(VALU_DEP_2)
	v_cndmask_b32_e32 v136, v136, v36, vcc_lo
	v_cmp_eq_u32_e32 vcc_lo, 3, v130
	v_cndmask_b32_e32 v136, v136, v37, vcc_lo
	v_cmp_eq_u32_e32 vcc_lo, 4, v130
	s_delay_alu instid0(VALU_DEP_2) | instskip(SKIP_1) | instid1(VALU_DEP_2)
	v_cndmask_b32_e32 v136, v136, v38, vcc_lo
	v_cmp_eq_u32_e32 vcc_lo, 5, v130
	;; [unrolled: 5-line block ×14, first 2 shown]
	v_cndmask_b32_e32 v136, v136, v63, vcc_lo
	v_cmp_eq_u32_e32 vcc_lo, 30, v130
	s_delay_alu instid0(VALU_DEP_2) | instskip(SKIP_2) | instid1(VALU_DEP_3)
	v_cndmask_b32_e32 v136, v136, v64, vcc_lo
	v_cmp_eq_u32_e32 vcc_lo, 31, v130
	v_add_nc_u64_e32 v[130:131], 1, v[130:131]
	v_cndmask_b32_e32 v136, v136, v65, vcc_lo
	v_cmp_eq_u32_e32 vcc_lo, 0, v132
	s_wait_dscnt 0x0
	s_delay_alu instid0(VALU_DEP_2) | instskip(SKIP_1) | instid1(SALU_CYCLE_1)
	v_fmac_f32_e32 v134, v136, v137
	s_or_b32 s2, vcc_lo, s2
	s_and_not1_b32 exec_lo, exec_lo, s2
	s_cbranch_execnz .LBB31_29
; %bb.30:
	s_or_b32 exec_lo, exec_lo, s2
.LBB31_31:
	s_delay_alu instid0(SALU_CYCLE_1)
	s_or_b32 exec_lo, exec_lo, s1
.LBB31_32:
	s_delay_alu instid0(SALU_CYCLE_1)
	s_or_b32 exec_lo, exec_lo, s5
	v_mov_b32_e32 v62, 0
	ds_load_b32 v62, v62 offset:112
	s_wait_dscnt 0x0
	v_mul_f32_e32 v62, v134, v62
.LBB31_33:
	s_or_b32 exec_lo, exec_lo, s4
	v_cmp_lt_u32_e64 s1, 27, v0
	ds_store_b32 v133, v61
	s_wait_dscnt 0x0
	s_barrier_signal -1
	s_barrier_wait -1
	s_and_saveexec_b32 s4, s1
	s_cbranch_execz .LBB31_49
; %bb.34:
	s_and_not1_b32 vcc_lo, exec_lo, s33
	s_cbranch_vccnz .LBB31_36
; %bb.35:
	v_cmp_eq_u32_e32 vcc_lo, 1, v0
	ds_load_b32 v131, v133
	v_cndmask_b32_e32 v130, v34, v35, vcc_lo
	v_cmp_eq_u32_e32 vcc_lo, 2, v0
	s_delay_alu instid0(VALU_DEP_2) | instskip(SKIP_1) | instid1(VALU_DEP_2)
	v_cndmask_b32_e32 v130, v130, v36, vcc_lo
	v_cmp_eq_u32_e32 vcc_lo, 3, v0
	v_cndmask_b32_e32 v130, v130, v37, vcc_lo
	v_cmp_eq_u32_e32 vcc_lo, 4, v0
	s_delay_alu instid0(VALU_DEP_2) | instskip(SKIP_1) | instid1(VALU_DEP_2)
	v_cndmask_b32_e32 v130, v130, v38, vcc_lo
	v_cmp_eq_u32_e32 vcc_lo, 5, v0
	;; [unrolled: 5-line block ×15, first 2 shown]
	v_cndmask_b32_e32 v130, v130, v65, vcc_lo
	s_wait_dscnt 0x0
	s_delay_alu instid0(VALU_DEP_1)
	v_mul_f32_e32 v134, v130, v131
	s_cbranch_execz .LBB31_37
	s_branch .LBB31_38
.LBB31_36:
                                        ; implicit-def: $vgpr134
.LBB31_37:
	ds_load_b32 v134, v133
.LBB31_38:
	s_and_saveexec_b32 s5, s0
	s_cbranch_execz .LBB31_48
; %bb.39:
	v_subrev_nc_u32_e32 v132, 29, v0
	v_mov_b32_e32 v130, 28
	v_subrev_nc_u32_e32 v131, 28, v0
	s_mov_b32 s0, exec_lo
	s_delay_alu instid0(VALU_DEP_3)
	v_cmpx_lt_u32_e32 6, v132
	s_cbranch_execz .LBB31_43
; %bb.40:
	s_delay_alu instid0(VALU_DEP_2) | instskip(SKIP_3) | instid1(VALU_DEP_1)
	v_and_b32_e32 v130, -8, v131
	s_mov_b32 s6, 0
	s_mov_b64 s[2:3], 35
	s_movk_i32 s7, 0xf0
	v_sub_nc_u32_e32 v132, 0, v130
.LBB31_41:                              ; =>This Inner Loop Header: Depth=1
	s_add_co_i32 m0, s2, -7
	v_movrels_b32_e32 v130, v34
	v_mov_b32_e32 v135, s7
	s_add_co_i32 m0, s2, -6
	s_add_co_i32 s7, s7, 32
	ds_load_b128 v[136:139], v135
	ds_load_b128 v[140:143], v135 offset:16
	s_wait_dscnt 0x1
	v_fmac_f32_e32 v134, v130, v136
	v_movrels_b32_e32 v130, v34
	s_add_co_i32 m0, s2, -5
	s_delay_alu instid0(VALU_DEP_1) | instskip(SKIP_2) | instid1(VALU_DEP_1)
	v_fmac_f32_e32 v134, v130, v137
	v_movrels_b32_e32 v130, v34
	s_add_co_i32 m0, s2, -4
	v_fmac_f32_e32 v134, v130, v138
	v_movrels_b32_e32 v130, v34
	s_add_co_i32 m0, s2, -3
	s_delay_alu instid0(VALU_DEP_1) | instskip(SKIP_3) | instid1(VALU_DEP_1)
	v_fmac_f32_e32 v134, v130, v139
	v_movrels_b32_e32 v130, v34
	s_add_co_i32 m0, s2, -2
	s_wait_dscnt 0x0
	v_fmac_f32_e32 v134, v130, v140
	v_movrels_b32_e32 v130, v34
	s_add_co_i32 m0, s2, -1
	s_delay_alu instid0(VALU_DEP_1) | instskip(SKIP_3) | instid1(SALU_CYCLE_1)
	v_fmac_f32_e32 v134, v130, v141
	v_movrels_b32_e32 v130, v34
	s_mov_b32 m0, s2
	s_add_nc_u64 s[2:3], s[2:3], 8
	s_add_co_i32 s8, s2, -7
	s_delay_alu instid0(VALU_DEP_1) | instskip(SKIP_1) | instid1(VALU_DEP_1)
	v_fmac_f32_e32 v134, v130, v142
	v_movrels_b32_e32 v130, v34
	v_dual_fmac_f32 v134, v130, v143 :: v_dual_add_nc_u32 v130, s2, v132
	s_delay_alu instid0(VALU_DEP_1) | instskip(SKIP_2) | instid1(SALU_CYCLE_1)
	v_cmp_eq_u32_e32 vcc_lo, 35, v130
	v_mov_b32_e32 v130, s8
	s_or_b32 s6, vcc_lo, s6
	s_and_not1_b32 exec_lo, exec_lo, s6
	s_cbranch_execnz .LBB31_41
; %bb.42:
	s_or_b32 exec_lo, exec_lo, s6
.LBB31_43:
	s_delay_alu instid0(SALU_CYCLE_1) | instskip(SKIP_3) | instid1(VALU_DEP_1)
	s_or_b32 exec_lo, exec_lo, s0
	v_and_b32_e32 v132, 7, v131
	s_mov_b32 s2, 0
	s_mov_b32 s0, exec_lo
	v_cmpx_ne_u32_e32 0, v132
	s_cbranch_execz .LBB31_47
; %bb.44:
	v_lshl_add_u32 v135, v130, 2, 0x80
	v_mov_b32_e32 v131, 0
.LBB31_45:                              ; =>This Inner Loop Header: Depth=1
	v_cmp_eq_u32_e32 vcc_lo, 1, v130
	ds_load_b32 v137, v135
	v_dual_add_nc_u32 v132, -1, v132 :: v_dual_add_nc_u32 v135, 4, v135
	v_cndmask_b32_e32 v136, v34, v35, vcc_lo
	v_cmp_eq_u32_e32 vcc_lo, 2, v130
	s_delay_alu instid0(VALU_DEP_2) | instskip(SKIP_1) | instid1(VALU_DEP_2)
	v_cndmask_b32_e32 v136, v136, v36, vcc_lo
	v_cmp_eq_u32_e32 vcc_lo, 3, v130
	v_cndmask_b32_e32 v136, v136, v37, vcc_lo
	v_cmp_eq_u32_e32 vcc_lo, 4, v130
	s_delay_alu instid0(VALU_DEP_2) | instskip(SKIP_1) | instid1(VALU_DEP_2)
	v_cndmask_b32_e32 v136, v136, v38, vcc_lo
	v_cmp_eq_u32_e32 vcc_lo, 5, v130
	;; [unrolled: 5-line block ×14, first 2 shown]
	v_cndmask_b32_e32 v136, v136, v63, vcc_lo
	v_cmp_eq_u32_e32 vcc_lo, 30, v130
	s_delay_alu instid0(VALU_DEP_2) | instskip(SKIP_2) | instid1(VALU_DEP_3)
	v_cndmask_b32_e32 v136, v136, v64, vcc_lo
	v_cmp_eq_u32_e32 vcc_lo, 31, v130
	v_add_nc_u64_e32 v[130:131], 1, v[130:131]
	v_cndmask_b32_e32 v136, v136, v65, vcc_lo
	v_cmp_eq_u32_e32 vcc_lo, 0, v132
	s_wait_dscnt 0x0
	s_delay_alu instid0(VALU_DEP_2) | instskip(SKIP_1) | instid1(SALU_CYCLE_1)
	v_fmac_f32_e32 v134, v136, v137
	s_or_b32 s2, vcc_lo, s2
	s_and_not1_b32 exec_lo, exec_lo, s2
	s_cbranch_execnz .LBB31_45
; %bb.46:
	s_or_b32 exec_lo, exec_lo, s2
.LBB31_47:
	s_delay_alu instid0(SALU_CYCLE_1)
	s_or_b32 exec_lo, exec_lo, s0
.LBB31_48:
	s_delay_alu instid0(SALU_CYCLE_1)
	s_or_b32 exec_lo, exec_lo, s5
	v_mov_b32_e32 v61, 0
	ds_load_b32 v61, v61 offset:108
	s_wait_dscnt 0x0
	v_mul_f32_e32 v61, v134, v61
.LBB31_49:
	s_or_b32 exec_lo, exec_lo, s4
	v_cmp_lt_u32_e64 s0, 26, v0
	ds_store_b32 v133, v60
	s_wait_dscnt 0x0
	s_barrier_signal -1
	s_barrier_wait -1
	s_and_saveexec_b32 s4, s0
	s_cbranch_execz .LBB31_65
; %bb.50:
	s_and_not1_b32 vcc_lo, exec_lo, s33
	s_cbranch_vccnz .LBB31_52
; %bb.51:
	v_cmp_eq_u32_e32 vcc_lo, 1, v0
	ds_load_b32 v131, v133
	v_cndmask_b32_e32 v130, v34, v35, vcc_lo
	v_cmp_eq_u32_e32 vcc_lo, 2, v0
	s_delay_alu instid0(VALU_DEP_2) | instskip(SKIP_1) | instid1(VALU_DEP_2)
	v_cndmask_b32_e32 v130, v130, v36, vcc_lo
	v_cmp_eq_u32_e32 vcc_lo, 3, v0
	v_cndmask_b32_e32 v130, v130, v37, vcc_lo
	v_cmp_eq_u32_e32 vcc_lo, 4, v0
	s_delay_alu instid0(VALU_DEP_2) | instskip(SKIP_1) | instid1(VALU_DEP_2)
	v_cndmask_b32_e32 v130, v130, v38, vcc_lo
	v_cmp_eq_u32_e32 vcc_lo, 5, v0
	;; [unrolled: 5-line block ×15, first 2 shown]
	v_cndmask_b32_e32 v130, v130, v65, vcc_lo
	s_wait_dscnt 0x0
	s_delay_alu instid0(VALU_DEP_1)
	v_mul_f32_e32 v134, v130, v131
	s_cbranch_execz .LBB31_53
	s_branch .LBB31_54
.LBB31_52:
                                        ; implicit-def: $vgpr134
.LBB31_53:
	ds_load_b32 v134, v133
.LBB31_54:
	s_and_saveexec_b32 s5, s1
	s_cbranch_execz .LBB31_64
; %bb.55:
	v_subrev_nc_u32_e32 v132, 28, v0
	v_mov_b32_e32 v130, 27
	v_subrev_nc_u32_e32 v131, 27, v0
	s_mov_b32 s1, exec_lo
	s_delay_alu instid0(VALU_DEP_3)
	v_cmpx_lt_u32_e32 6, v132
	s_cbranch_execz .LBB31_59
; %bb.56:
	s_delay_alu instid0(VALU_DEP_2) | instskip(SKIP_3) | instid1(VALU_DEP_1)
	v_and_b32_e32 v130, -8, v131
	s_mov_b32 s6, 0
	s_mov_b64 s[2:3], 34
	s_movk_i32 s7, 0xec
	v_sub_nc_u32_e32 v132, 0, v130
.LBB31_57:                              ; =>This Inner Loop Header: Depth=1
	s_add_co_i32 m0, s2, -7
	v_movrels_b32_e32 v130, v34
	v_mov_b32_e32 v135, s7
	s_add_co_i32 m0, s2, -6
	s_add_co_i32 s7, s7, 32
	ds_load_2addr_b32 v[136:137], v135 offset1:1
	s_wait_dscnt 0x0
	v_fmac_f32_e32 v134, v130, v136
	v_movrels_b32_e32 v130, v34
	s_add_co_i32 m0, s2, -5
	s_delay_alu instid0(VALU_DEP_1) | instskip(SKIP_4) | instid1(VALU_DEP_1)
	v_fmac_f32_e32 v134, v130, v137
	ds_load_2addr_b32 v[136:137], v135 offset0:2 offset1:3
	v_movrels_b32_e32 v130, v34
	s_add_co_i32 m0, s2, -4
	s_wait_dscnt 0x0
	v_fmac_f32_e32 v134, v130, v136
	v_movrels_b32_e32 v130, v34
	s_add_co_i32 m0, s2, -3
	s_delay_alu instid0(VALU_DEP_1) | instskip(SKIP_4) | instid1(VALU_DEP_1)
	v_fmac_f32_e32 v134, v130, v137
	ds_load_2addr_b32 v[136:137], v135 offset0:4 offset1:5
	v_movrels_b32_e32 v130, v34
	s_add_co_i32 m0, s2, -2
	s_wait_dscnt 0x0
	v_fmac_f32_e32 v134, v130, v136
	v_movrels_b32_e32 v130, v34
	s_add_co_i32 m0, s2, -1
	s_delay_alu instid0(VALU_DEP_1) | instskip(SKIP_4) | instid1(SALU_CYCLE_1)
	v_fmac_f32_e32 v134, v130, v137
	ds_load_2addr_b32 v[136:137], v135 offset0:6 offset1:7
	v_movrels_b32_e32 v130, v34
	s_mov_b32 m0, s2
	s_add_nc_u64 s[2:3], s[2:3], 8
	s_add_co_i32 s8, s2, -7
	s_wait_dscnt 0x0
	v_fmac_f32_e32 v134, v130, v136
	v_movrels_b32_e32 v130, v34
	s_delay_alu instid0(VALU_DEP_1) | instskip(NEXT) | instid1(VALU_DEP_1)
	v_dual_fmac_f32 v134, v130, v137 :: v_dual_add_nc_u32 v130, s2, v132
	v_cmp_eq_u32_e32 vcc_lo, 34, v130
	v_mov_b32_e32 v130, s8
	s_or_b32 s6, vcc_lo, s6
	s_delay_alu instid0(SALU_CYCLE_1)
	s_and_not1_b32 exec_lo, exec_lo, s6
	s_cbranch_execnz .LBB31_57
; %bb.58:
	s_or_b32 exec_lo, exec_lo, s6
.LBB31_59:
	s_delay_alu instid0(SALU_CYCLE_1) | instskip(SKIP_3) | instid1(VALU_DEP_1)
	s_or_b32 exec_lo, exec_lo, s1
	v_and_b32_e32 v132, 7, v131
	s_mov_b32 s2, 0
	s_mov_b32 s1, exec_lo
	v_cmpx_ne_u32_e32 0, v132
	s_cbranch_execz .LBB31_63
; %bb.60:
	v_lshl_add_u32 v135, v130, 2, 0x80
	v_mov_b32_e32 v131, 0
.LBB31_61:                              ; =>This Inner Loop Header: Depth=1
	v_cmp_eq_u32_e32 vcc_lo, 1, v130
	ds_load_b32 v137, v135
	v_dual_add_nc_u32 v132, -1, v132 :: v_dual_add_nc_u32 v135, 4, v135
	v_cndmask_b32_e32 v136, v34, v35, vcc_lo
	v_cmp_eq_u32_e32 vcc_lo, 2, v130
	s_delay_alu instid0(VALU_DEP_2) | instskip(SKIP_1) | instid1(VALU_DEP_2)
	v_cndmask_b32_e32 v136, v136, v36, vcc_lo
	v_cmp_eq_u32_e32 vcc_lo, 3, v130
	v_cndmask_b32_e32 v136, v136, v37, vcc_lo
	v_cmp_eq_u32_e32 vcc_lo, 4, v130
	s_delay_alu instid0(VALU_DEP_2) | instskip(SKIP_1) | instid1(VALU_DEP_2)
	v_cndmask_b32_e32 v136, v136, v38, vcc_lo
	v_cmp_eq_u32_e32 vcc_lo, 5, v130
	;; [unrolled: 5-line block ×14, first 2 shown]
	v_cndmask_b32_e32 v136, v136, v63, vcc_lo
	v_cmp_eq_u32_e32 vcc_lo, 30, v130
	s_delay_alu instid0(VALU_DEP_2) | instskip(SKIP_2) | instid1(VALU_DEP_3)
	v_cndmask_b32_e32 v136, v136, v64, vcc_lo
	v_cmp_eq_u32_e32 vcc_lo, 31, v130
	v_add_nc_u64_e32 v[130:131], 1, v[130:131]
	v_cndmask_b32_e32 v136, v136, v65, vcc_lo
	v_cmp_eq_u32_e32 vcc_lo, 0, v132
	s_wait_dscnt 0x0
	s_delay_alu instid0(VALU_DEP_2) | instskip(SKIP_1) | instid1(SALU_CYCLE_1)
	v_fmac_f32_e32 v134, v136, v137
	s_or_b32 s2, vcc_lo, s2
	s_and_not1_b32 exec_lo, exec_lo, s2
	s_cbranch_execnz .LBB31_61
; %bb.62:
	s_or_b32 exec_lo, exec_lo, s2
.LBB31_63:
	s_delay_alu instid0(SALU_CYCLE_1)
	s_or_b32 exec_lo, exec_lo, s1
.LBB31_64:
	s_delay_alu instid0(SALU_CYCLE_1)
	s_or_b32 exec_lo, exec_lo, s5
	v_mov_b32_e32 v60, 0
	ds_load_b32 v60, v60 offset:104
	s_wait_dscnt 0x0
	v_mul_f32_e32 v60, v134, v60
.LBB31_65:
	s_or_b32 exec_lo, exec_lo, s4
	v_cmp_lt_u32_e64 s1, 25, v0
	ds_store_b32 v133, v59
	s_wait_dscnt 0x0
	s_barrier_signal -1
	s_barrier_wait -1
	s_and_saveexec_b32 s4, s1
	s_cbranch_execz .LBB31_81
; %bb.66:
	s_and_not1_b32 vcc_lo, exec_lo, s33
	s_cbranch_vccnz .LBB31_68
; %bb.67:
	v_cmp_eq_u32_e32 vcc_lo, 1, v0
	ds_load_b32 v131, v133
	v_cndmask_b32_e32 v130, v34, v35, vcc_lo
	v_cmp_eq_u32_e32 vcc_lo, 2, v0
	s_delay_alu instid0(VALU_DEP_2) | instskip(SKIP_1) | instid1(VALU_DEP_2)
	v_cndmask_b32_e32 v130, v130, v36, vcc_lo
	v_cmp_eq_u32_e32 vcc_lo, 3, v0
	v_cndmask_b32_e32 v130, v130, v37, vcc_lo
	v_cmp_eq_u32_e32 vcc_lo, 4, v0
	s_delay_alu instid0(VALU_DEP_2) | instskip(SKIP_1) | instid1(VALU_DEP_2)
	v_cndmask_b32_e32 v130, v130, v38, vcc_lo
	v_cmp_eq_u32_e32 vcc_lo, 5, v0
	;; [unrolled: 5-line block ×15, first 2 shown]
	v_cndmask_b32_e32 v130, v130, v65, vcc_lo
	s_wait_dscnt 0x0
	s_delay_alu instid0(VALU_DEP_1)
	v_mul_f32_e32 v134, v130, v131
	s_cbranch_execz .LBB31_69
	s_branch .LBB31_70
.LBB31_68:
                                        ; implicit-def: $vgpr134
.LBB31_69:
	ds_load_b32 v134, v133
.LBB31_70:
	s_and_saveexec_b32 s5, s0
	s_cbranch_execz .LBB31_80
; %bb.71:
	v_subrev_nc_u32_e32 v132, 27, v0
	v_mov_b32_e32 v130, 26
	v_subrev_nc_u32_e32 v131, 26, v0
	s_mov_b32 s0, exec_lo
	s_delay_alu instid0(VALU_DEP_3)
	v_cmpx_lt_u32_e32 6, v132
	s_cbranch_execz .LBB31_75
; %bb.72:
	s_delay_alu instid0(VALU_DEP_2) | instskip(SKIP_3) | instid1(VALU_DEP_1)
	v_and_b32_e32 v130, -8, v131
	s_mov_b32 s6, 0
	s_mov_b64 s[2:3], 33
	s_movk_i32 s7, 0xe8
	v_sub_nc_u32_e32 v132, 0, v130
.LBB31_73:                              ; =>This Inner Loop Header: Depth=1
	s_add_co_i32 m0, s2, -7
	v_movrels_b32_e32 v130, v34
	v_mov_b32_e32 v135, s7
	s_add_co_i32 m0, s2, -6
	s_add_co_i32 s7, s7, 32
	ds_load_2addr_b64 v[136:139], v135 offset1:1
	s_wait_dscnt 0x0
	v_fmac_f32_e32 v134, v130, v136
	v_movrels_b32_e32 v130, v34
	s_add_co_i32 m0, s2, -5
	s_delay_alu instid0(VALU_DEP_1) | instskip(SKIP_2) | instid1(VALU_DEP_1)
	v_fmac_f32_e32 v134, v130, v137
	v_movrels_b32_e32 v130, v34
	s_add_co_i32 m0, s2, -4
	v_fmac_f32_e32 v134, v130, v138
	v_movrels_b32_e32 v130, v34
	s_add_co_i32 m0, s2, -3
	s_delay_alu instid0(VALU_DEP_1) | instskip(SKIP_4) | instid1(VALU_DEP_1)
	v_fmac_f32_e32 v134, v130, v139
	ds_load_2addr_b64 v[136:139], v135 offset0:2 offset1:3
	v_movrels_b32_e32 v130, v34
	s_add_co_i32 m0, s2, -2
	s_wait_dscnt 0x0
	v_fmac_f32_e32 v134, v130, v136
	v_movrels_b32_e32 v130, v34
	s_add_co_i32 m0, s2, -1
	s_delay_alu instid0(VALU_DEP_1) | instskip(SKIP_3) | instid1(SALU_CYCLE_1)
	v_fmac_f32_e32 v134, v130, v137
	v_movrels_b32_e32 v130, v34
	s_mov_b32 m0, s2
	s_add_nc_u64 s[2:3], s[2:3], 8
	s_add_co_i32 s8, s2, -7
	s_delay_alu instid0(VALU_DEP_1) | instskip(SKIP_1) | instid1(VALU_DEP_1)
	v_fmac_f32_e32 v134, v130, v138
	v_movrels_b32_e32 v130, v34
	v_dual_fmac_f32 v134, v130, v139 :: v_dual_add_nc_u32 v130, s2, v132
	s_delay_alu instid0(VALU_DEP_1) | instskip(SKIP_2) | instid1(SALU_CYCLE_1)
	v_cmp_eq_u32_e32 vcc_lo, 33, v130
	v_mov_b32_e32 v130, s8
	s_or_b32 s6, vcc_lo, s6
	s_and_not1_b32 exec_lo, exec_lo, s6
	s_cbranch_execnz .LBB31_73
; %bb.74:
	s_or_b32 exec_lo, exec_lo, s6
.LBB31_75:
	s_delay_alu instid0(SALU_CYCLE_1) | instskip(SKIP_3) | instid1(VALU_DEP_1)
	s_or_b32 exec_lo, exec_lo, s0
	v_and_b32_e32 v132, 7, v131
	s_mov_b32 s2, 0
	s_mov_b32 s0, exec_lo
	v_cmpx_ne_u32_e32 0, v132
	s_cbranch_execz .LBB31_79
; %bb.76:
	v_lshl_add_u32 v135, v130, 2, 0x80
	v_mov_b32_e32 v131, 0
.LBB31_77:                              ; =>This Inner Loop Header: Depth=1
	v_cmp_eq_u32_e32 vcc_lo, 1, v130
	ds_load_b32 v137, v135
	v_dual_add_nc_u32 v132, -1, v132 :: v_dual_add_nc_u32 v135, 4, v135
	v_cndmask_b32_e32 v136, v34, v35, vcc_lo
	v_cmp_eq_u32_e32 vcc_lo, 2, v130
	s_delay_alu instid0(VALU_DEP_2) | instskip(SKIP_1) | instid1(VALU_DEP_2)
	v_cndmask_b32_e32 v136, v136, v36, vcc_lo
	v_cmp_eq_u32_e32 vcc_lo, 3, v130
	v_cndmask_b32_e32 v136, v136, v37, vcc_lo
	v_cmp_eq_u32_e32 vcc_lo, 4, v130
	s_delay_alu instid0(VALU_DEP_2) | instskip(SKIP_1) | instid1(VALU_DEP_2)
	v_cndmask_b32_e32 v136, v136, v38, vcc_lo
	v_cmp_eq_u32_e32 vcc_lo, 5, v130
	;; [unrolled: 5-line block ×14, first 2 shown]
	v_cndmask_b32_e32 v136, v136, v63, vcc_lo
	v_cmp_eq_u32_e32 vcc_lo, 30, v130
	s_delay_alu instid0(VALU_DEP_2) | instskip(SKIP_2) | instid1(VALU_DEP_3)
	v_cndmask_b32_e32 v136, v136, v64, vcc_lo
	v_cmp_eq_u32_e32 vcc_lo, 31, v130
	v_add_nc_u64_e32 v[130:131], 1, v[130:131]
	v_cndmask_b32_e32 v136, v136, v65, vcc_lo
	v_cmp_eq_u32_e32 vcc_lo, 0, v132
	s_wait_dscnt 0x0
	s_delay_alu instid0(VALU_DEP_2) | instskip(SKIP_1) | instid1(SALU_CYCLE_1)
	v_fmac_f32_e32 v134, v136, v137
	s_or_b32 s2, vcc_lo, s2
	s_and_not1_b32 exec_lo, exec_lo, s2
	s_cbranch_execnz .LBB31_77
; %bb.78:
	s_or_b32 exec_lo, exec_lo, s2
.LBB31_79:
	s_delay_alu instid0(SALU_CYCLE_1)
	s_or_b32 exec_lo, exec_lo, s0
.LBB31_80:
	s_delay_alu instid0(SALU_CYCLE_1)
	s_or_b32 exec_lo, exec_lo, s5
	v_mov_b32_e32 v59, 0
	ds_load_b32 v59, v59 offset:100
	s_wait_dscnt 0x0
	v_mul_f32_e32 v59, v134, v59
.LBB31_81:
	s_or_b32 exec_lo, exec_lo, s4
	v_cmp_lt_u32_e64 s0, 24, v0
	ds_store_b32 v133, v58
	s_wait_dscnt 0x0
	s_barrier_signal -1
	s_barrier_wait -1
	s_and_saveexec_b32 s4, s0
	s_cbranch_execz .LBB31_97
; %bb.82:
	s_and_not1_b32 vcc_lo, exec_lo, s33
	s_cbranch_vccnz .LBB31_84
; %bb.83:
	v_cmp_eq_u32_e32 vcc_lo, 1, v0
	ds_load_b32 v131, v133
	v_cndmask_b32_e32 v130, v34, v35, vcc_lo
	v_cmp_eq_u32_e32 vcc_lo, 2, v0
	s_delay_alu instid0(VALU_DEP_2) | instskip(SKIP_1) | instid1(VALU_DEP_2)
	v_cndmask_b32_e32 v130, v130, v36, vcc_lo
	v_cmp_eq_u32_e32 vcc_lo, 3, v0
	v_cndmask_b32_e32 v130, v130, v37, vcc_lo
	v_cmp_eq_u32_e32 vcc_lo, 4, v0
	s_delay_alu instid0(VALU_DEP_2) | instskip(SKIP_1) | instid1(VALU_DEP_2)
	v_cndmask_b32_e32 v130, v130, v38, vcc_lo
	v_cmp_eq_u32_e32 vcc_lo, 5, v0
	;; [unrolled: 5-line block ×15, first 2 shown]
	v_cndmask_b32_e32 v130, v130, v65, vcc_lo
	s_wait_dscnt 0x0
	s_delay_alu instid0(VALU_DEP_1)
	v_mul_f32_e32 v134, v130, v131
	s_cbranch_execz .LBB31_85
	s_branch .LBB31_86
.LBB31_84:
                                        ; implicit-def: $vgpr134
.LBB31_85:
	ds_load_b32 v134, v133
.LBB31_86:
	s_and_saveexec_b32 s5, s1
	s_cbranch_execz .LBB31_96
; %bb.87:
	v_subrev_nc_u32_e32 v132, 26, v0
	v_mov_b32_e32 v130, 25
	v_subrev_nc_u32_e32 v131, 25, v0
	s_mov_b32 s1, exec_lo
	s_delay_alu instid0(VALU_DEP_3)
	v_cmpx_lt_u32_e32 6, v132
	s_cbranch_execz .LBB31_91
; %bb.88:
	s_delay_alu instid0(VALU_DEP_2) | instskip(SKIP_3) | instid1(VALU_DEP_1)
	v_and_b32_e32 v130, -8, v131
	s_mov_b32 s6, 0
	s_mov_b64 s[2:3], 32
	s_movk_i32 s7, 0xe4
	v_sub_nc_u32_e32 v132, 0, v130
.LBB31_89:                              ; =>This Inner Loop Header: Depth=1
	s_add_co_i32 m0, s2, -7
	v_movrels_b32_e32 v130, v34
	v_mov_b32_e32 v135, s7
	s_add_co_i32 m0, s2, -6
	s_add_co_i32 s7, s7, 32
	ds_load_2addr_b32 v[136:137], v135 offset1:1
	s_wait_dscnt 0x0
	v_fmac_f32_e32 v134, v130, v136
	v_movrels_b32_e32 v130, v34
	s_add_co_i32 m0, s2, -5
	s_delay_alu instid0(VALU_DEP_1) | instskip(SKIP_4) | instid1(VALU_DEP_1)
	v_fmac_f32_e32 v134, v130, v137
	ds_load_2addr_b32 v[136:137], v135 offset0:2 offset1:3
	v_movrels_b32_e32 v130, v34
	s_add_co_i32 m0, s2, -4
	s_wait_dscnt 0x0
	v_fmac_f32_e32 v134, v130, v136
	v_movrels_b32_e32 v130, v34
	s_add_co_i32 m0, s2, -3
	s_delay_alu instid0(VALU_DEP_1) | instskip(SKIP_4) | instid1(VALU_DEP_1)
	v_fmac_f32_e32 v134, v130, v137
	ds_load_2addr_b32 v[136:137], v135 offset0:4 offset1:5
	v_movrels_b32_e32 v130, v34
	s_add_co_i32 m0, s2, -2
	s_wait_dscnt 0x0
	v_fmac_f32_e32 v134, v130, v136
	v_movrels_b32_e32 v130, v34
	s_add_co_i32 m0, s2, -1
	s_delay_alu instid0(VALU_DEP_1) | instskip(SKIP_4) | instid1(SALU_CYCLE_1)
	v_fmac_f32_e32 v134, v130, v137
	ds_load_2addr_b32 v[136:137], v135 offset0:6 offset1:7
	v_movrels_b32_e32 v130, v34
	s_mov_b32 m0, s2
	s_add_nc_u64 s[2:3], s[2:3], 8
	s_add_co_i32 s8, s2, -7
	s_wait_dscnt 0x0
	v_fmac_f32_e32 v134, v130, v136
	v_movrels_b32_e32 v130, v34
	s_delay_alu instid0(VALU_DEP_1) | instskip(NEXT) | instid1(VALU_DEP_1)
	v_dual_fmac_f32 v134, v130, v137 :: v_dual_add_nc_u32 v130, s2, v132
	v_cmp_eq_u32_e32 vcc_lo, 32, v130
	v_mov_b32_e32 v130, s8
	s_or_b32 s6, vcc_lo, s6
	s_delay_alu instid0(SALU_CYCLE_1)
	s_and_not1_b32 exec_lo, exec_lo, s6
	s_cbranch_execnz .LBB31_89
; %bb.90:
	s_or_b32 exec_lo, exec_lo, s6
.LBB31_91:
	s_delay_alu instid0(SALU_CYCLE_1) | instskip(SKIP_3) | instid1(VALU_DEP_1)
	s_or_b32 exec_lo, exec_lo, s1
	v_and_b32_e32 v132, 7, v131
	s_mov_b32 s2, 0
	s_mov_b32 s1, exec_lo
	v_cmpx_ne_u32_e32 0, v132
	s_cbranch_execz .LBB31_95
; %bb.92:
	v_lshl_add_u32 v135, v130, 2, 0x80
	v_mov_b32_e32 v131, 0
.LBB31_93:                              ; =>This Inner Loop Header: Depth=1
	v_cmp_eq_u32_e32 vcc_lo, 1, v130
	ds_load_b32 v137, v135
	v_dual_add_nc_u32 v132, -1, v132 :: v_dual_add_nc_u32 v135, 4, v135
	v_cndmask_b32_e32 v136, v34, v35, vcc_lo
	v_cmp_eq_u32_e32 vcc_lo, 2, v130
	s_delay_alu instid0(VALU_DEP_2) | instskip(SKIP_1) | instid1(VALU_DEP_2)
	v_cndmask_b32_e32 v136, v136, v36, vcc_lo
	v_cmp_eq_u32_e32 vcc_lo, 3, v130
	v_cndmask_b32_e32 v136, v136, v37, vcc_lo
	v_cmp_eq_u32_e32 vcc_lo, 4, v130
	s_delay_alu instid0(VALU_DEP_2) | instskip(SKIP_1) | instid1(VALU_DEP_2)
	v_cndmask_b32_e32 v136, v136, v38, vcc_lo
	v_cmp_eq_u32_e32 vcc_lo, 5, v130
	;; [unrolled: 5-line block ×14, first 2 shown]
	v_cndmask_b32_e32 v136, v136, v63, vcc_lo
	v_cmp_eq_u32_e32 vcc_lo, 30, v130
	s_delay_alu instid0(VALU_DEP_2) | instskip(SKIP_2) | instid1(VALU_DEP_3)
	v_cndmask_b32_e32 v136, v136, v64, vcc_lo
	v_cmp_eq_u32_e32 vcc_lo, 31, v130
	v_add_nc_u64_e32 v[130:131], 1, v[130:131]
	v_cndmask_b32_e32 v136, v136, v65, vcc_lo
	v_cmp_eq_u32_e32 vcc_lo, 0, v132
	s_wait_dscnt 0x0
	s_delay_alu instid0(VALU_DEP_2) | instskip(SKIP_1) | instid1(SALU_CYCLE_1)
	v_fmac_f32_e32 v134, v136, v137
	s_or_b32 s2, vcc_lo, s2
	s_and_not1_b32 exec_lo, exec_lo, s2
	s_cbranch_execnz .LBB31_93
; %bb.94:
	s_or_b32 exec_lo, exec_lo, s2
.LBB31_95:
	s_delay_alu instid0(SALU_CYCLE_1)
	s_or_b32 exec_lo, exec_lo, s1
.LBB31_96:
	s_delay_alu instid0(SALU_CYCLE_1)
	s_or_b32 exec_lo, exec_lo, s5
	v_mov_b32_e32 v58, 0
	ds_load_b32 v58, v58 offset:96
	s_wait_dscnt 0x0
	v_mul_f32_e32 v58, v134, v58
.LBB31_97:
	s_or_b32 exec_lo, exec_lo, s4
	v_cmp_lt_u32_e64 s1, 23, v0
	ds_store_b32 v133, v57
	s_wait_dscnt 0x0
	s_barrier_signal -1
	s_barrier_wait -1
	s_and_saveexec_b32 s4, s1
	s_cbranch_execz .LBB31_113
; %bb.98:
	s_and_not1_b32 vcc_lo, exec_lo, s33
	s_cbranch_vccnz .LBB31_100
; %bb.99:
	v_cmp_eq_u32_e32 vcc_lo, 1, v0
	ds_load_b32 v131, v133
	v_cndmask_b32_e32 v130, v34, v35, vcc_lo
	v_cmp_eq_u32_e32 vcc_lo, 2, v0
	s_delay_alu instid0(VALU_DEP_2) | instskip(SKIP_1) | instid1(VALU_DEP_2)
	v_cndmask_b32_e32 v130, v130, v36, vcc_lo
	v_cmp_eq_u32_e32 vcc_lo, 3, v0
	v_cndmask_b32_e32 v130, v130, v37, vcc_lo
	v_cmp_eq_u32_e32 vcc_lo, 4, v0
	s_delay_alu instid0(VALU_DEP_2) | instskip(SKIP_1) | instid1(VALU_DEP_2)
	v_cndmask_b32_e32 v130, v130, v38, vcc_lo
	v_cmp_eq_u32_e32 vcc_lo, 5, v0
	;; [unrolled: 5-line block ×15, first 2 shown]
	v_cndmask_b32_e32 v130, v130, v65, vcc_lo
	s_wait_dscnt 0x0
	s_delay_alu instid0(VALU_DEP_1)
	v_mul_f32_e32 v134, v130, v131
	s_cbranch_execz .LBB31_101
	s_branch .LBB31_102
.LBB31_100:
                                        ; implicit-def: $vgpr134
.LBB31_101:
	ds_load_b32 v134, v133
.LBB31_102:
	s_and_saveexec_b32 s5, s0
	s_cbranch_execz .LBB31_112
; %bb.103:
	v_subrev_nc_u32_e32 v130, 25, v0
	s_delay_alu instid0(VALU_DEP_1)
	v_cmp_lt_u32_e32 vcc_lo, 6, v130
	v_mov_b32_e32 v130, 24
	s_and_saveexec_b32 s0, vcc_lo
	s_cbranch_execz .LBB31_107
; %bb.104:
	v_and_b32_e32 v130, 24, v0
	s_mov_b32 s6, 0
	s_mov_b64 s[2:3], 31
	s_movk_i32 s7, 0xe0
	s_delay_alu instid0(VALU_DEP_1)
	v_sub_nc_u32_e32 v132, 0, v130
.LBB31_105:                             ; =>This Inner Loop Header: Depth=1
	s_add_co_i32 m0, s2, -7
	v_movrels_b32_e32 v131, v34
	v_mov_b32_e32 v130, s7
	s_add_co_i32 m0, s2, -6
	s_add_co_i32 s7, s7, 32
	v_movrels_b32_e32 v135, v34
	s_add_co_i32 m0, s2, -5
	ds_load_b128 v[136:139], v130
	ds_load_b128 v[140:143], v130 offset:16
	v_movrels_b32_e32 v130, v34
	s_add_co_i32 m0, s2, -4
	s_wait_dscnt 0x1
	v_fmac_f32_e32 v134, v131, v136
	v_movrels_b32_e32 v131, v34
	s_add_co_i32 m0, s2, -3
	s_delay_alu instid0(VALU_DEP_2) | instskip(NEXT) | instid1(VALU_DEP_1)
	v_fmac_f32_e32 v134, v135, v137
	v_fmac_f32_e32 v134, v130, v138
	v_movrels_b32_e32 v130, v34
	s_add_co_i32 m0, s2, -2
	s_delay_alu instid0(VALU_DEP_2) | instskip(SKIP_3) | instid1(VALU_DEP_2)
	v_fmac_f32_e32 v134, v131, v139
	v_movrels_b32_e32 v131, v34
	s_add_co_i32 m0, s2, -1
	s_wait_dscnt 0x0
	v_fmac_f32_e32 v134, v130, v140
	v_movrels_b32_e32 v130, v34
	s_mov_b32 m0, s2
	s_add_nc_u64 s[2:3], s[2:3], 8
	v_movrels_b32_e32 v135, v34
	v_dual_fmac_f32 v134, v131, v141 :: v_dual_add_nc_u32 v131, s2, v132
	s_add_co_i32 s8, s2, -7
	s_delay_alu instid0(VALU_DEP_1) | instskip(NEXT) | instid1(VALU_DEP_2)
	v_fmac_f32_e32 v134, v130, v142
	v_cmp_eq_u32_e32 vcc_lo, 7, v131
	s_delay_alu instid0(VALU_DEP_2) | instskip(SKIP_1) | instid1(SALU_CYCLE_1)
	v_dual_mov_b32 v130, s8 :: v_dual_fmac_f32 v134, v135, v143
	s_or_b32 s6, vcc_lo, s6
	s_and_not1_b32 exec_lo, exec_lo, s6
	s_cbranch_execnz .LBB31_105
; %bb.106:
	s_or_b32 exec_lo, exec_lo, s6
.LBB31_107:
	s_delay_alu instid0(SALU_CYCLE_1) | instskip(SKIP_3) | instid1(VALU_DEP_1)
	s_or_b32 exec_lo, exec_lo, s0
	v_and_b32_e32 v132, 7, v0
	s_mov_b32 s2, 0
	s_mov_b32 s0, exec_lo
	v_cmpx_ne_u32_e32 0, v132
	s_cbranch_execz .LBB31_111
; %bb.108:
	v_lshl_add_u32 v135, v130, 2, 0x80
	v_mov_b32_e32 v131, 0
.LBB31_109:                             ; =>This Inner Loop Header: Depth=1
	v_cmp_eq_u32_e32 vcc_lo, 1, v130
	ds_load_b32 v137, v135
	v_dual_add_nc_u32 v132, -1, v132 :: v_dual_add_nc_u32 v135, 4, v135
	v_cndmask_b32_e32 v136, v34, v35, vcc_lo
	v_cmp_eq_u32_e32 vcc_lo, 2, v130
	s_delay_alu instid0(VALU_DEP_2) | instskip(SKIP_1) | instid1(VALU_DEP_2)
	v_cndmask_b32_e32 v136, v136, v36, vcc_lo
	v_cmp_eq_u32_e32 vcc_lo, 3, v130
	v_cndmask_b32_e32 v136, v136, v37, vcc_lo
	v_cmp_eq_u32_e32 vcc_lo, 4, v130
	s_delay_alu instid0(VALU_DEP_2) | instskip(SKIP_1) | instid1(VALU_DEP_2)
	v_cndmask_b32_e32 v136, v136, v38, vcc_lo
	v_cmp_eq_u32_e32 vcc_lo, 5, v130
	;; [unrolled: 5-line block ×14, first 2 shown]
	v_cndmask_b32_e32 v136, v136, v63, vcc_lo
	v_cmp_eq_u32_e32 vcc_lo, 30, v130
	s_delay_alu instid0(VALU_DEP_2) | instskip(SKIP_2) | instid1(VALU_DEP_3)
	v_cndmask_b32_e32 v136, v136, v64, vcc_lo
	v_cmp_eq_u32_e32 vcc_lo, 31, v130
	v_add_nc_u64_e32 v[130:131], 1, v[130:131]
	v_cndmask_b32_e32 v136, v136, v65, vcc_lo
	v_cmp_eq_u32_e32 vcc_lo, 0, v132
	s_wait_dscnt 0x0
	s_delay_alu instid0(VALU_DEP_2) | instskip(SKIP_1) | instid1(SALU_CYCLE_1)
	v_fmac_f32_e32 v134, v136, v137
	s_or_b32 s2, vcc_lo, s2
	s_and_not1_b32 exec_lo, exec_lo, s2
	s_cbranch_execnz .LBB31_109
; %bb.110:
	s_or_b32 exec_lo, exec_lo, s2
.LBB31_111:
	s_delay_alu instid0(SALU_CYCLE_1)
	s_or_b32 exec_lo, exec_lo, s0
.LBB31_112:
	s_delay_alu instid0(SALU_CYCLE_1)
	s_or_b32 exec_lo, exec_lo, s5
	v_mov_b32_e32 v57, 0
	ds_load_b32 v57, v57 offset:92
	s_wait_dscnt 0x0
	v_mul_f32_e32 v57, v134, v57
.LBB31_113:
	s_or_b32 exec_lo, exec_lo, s4
	v_cmp_lt_u32_e64 s0, 22, v0
	ds_store_b32 v133, v56
	s_wait_dscnt 0x0
	s_barrier_signal -1
	s_barrier_wait -1
	s_and_saveexec_b32 s4, s0
	s_cbranch_execz .LBB31_129
; %bb.114:
	s_and_not1_b32 vcc_lo, exec_lo, s33
	s_cbranch_vccnz .LBB31_116
; %bb.115:
	v_cmp_eq_u32_e32 vcc_lo, 1, v0
	ds_load_b32 v131, v133
	v_cndmask_b32_e32 v130, v34, v35, vcc_lo
	v_cmp_eq_u32_e32 vcc_lo, 2, v0
	s_delay_alu instid0(VALU_DEP_2) | instskip(SKIP_1) | instid1(VALU_DEP_2)
	v_cndmask_b32_e32 v130, v130, v36, vcc_lo
	v_cmp_eq_u32_e32 vcc_lo, 3, v0
	v_cndmask_b32_e32 v130, v130, v37, vcc_lo
	v_cmp_eq_u32_e32 vcc_lo, 4, v0
	s_delay_alu instid0(VALU_DEP_2) | instskip(SKIP_1) | instid1(VALU_DEP_2)
	v_cndmask_b32_e32 v130, v130, v38, vcc_lo
	v_cmp_eq_u32_e32 vcc_lo, 5, v0
	;; [unrolled: 5-line block ×15, first 2 shown]
	v_cndmask_b32_e32 v130, v130, v65, vcc_lo
	s_wait_dscnt 0x0
	s_delay_alu instid0(VALU_DEP_1)
	v_mul_f32_e32 v134, v130, v131
	s_cbranch_execz .LBB31_117
	s_branch .LBB31_118
.LBB31_116:
                                        ; implicit-def: $vgpr134
.LBB31_117:
	ds_load_b32 v134, v133
.LBB31_118:
	s_and_saveexec_b32 s5, s1
	s_cbranch_execz .LBB31_128
; %bb.119:
	v_subrev_nc_u32_e32 v132, 24, v0
	v_mov_b32_e32 v130, 23
	v_subrev_nc_u32_e32 v131, 23, v0
	s_mov_b32 s1, exec_lo
	s_delay_alu instid0(VALU_DEP_3)
	v_cmpx_lt_u32_e32 6, v132
	s_cbranch_execz .LBB31_123
; %bb.120:
	s_delay_alu instid0(VALU_DEP_2) | instskip(SKIP_3) | instid1(VALU_DEP_1)
	v_and_b32_e32 v130, -8, v131
	s_mov_b32 s6, 0
	s_mov_b64 s[2:3], 30
	s_movk_i32 s7, 0xdc
	v_sub_nc_u32_e32 v132, 0, v130
.LBB31_121:                             ; =>This Inner Loop Header: Depth=1
	s_add_co_i32 m0, s2, -7
	v_movrels_b32_e32 v130, v34
	v_mov_b32_e32 v135, s7
	s_add_co_i32 m0, s2, -6
	s_add_co_i32 s7, s7, 32
	ds_load_2addr_b32 v[136:137], v135 offset1:1
	s_wait_dscnt 0x0
	v_fmac_f32_e32 v134, v130, v136
	v_movrels_b32_e32 v130, v34
	s_add_co_i32 m0, s2, -5
	s_delay_alu instid0(VALU_DEP_1) | instskip(SKIP_4) | instid1(VALU_DEP_1)
	v_fmac_f32_e32 v134, v130, v137
	ds_load_2addr_b32 v[136:137], v135 offset0:2 offset1:3
	v_movrels_b32_e32 v130, v34
	s_add_co_i32 m0, s2, -4
	s_wait_dscnt 0x0
	v_fmac_f32_e32 v134, v130, v136
	v_movrels_b32_e32 v130, v34
	s_add_co_i32 m0, s2, -3
	s_delay_alu instid0(VALU_DEP_1) | instskip(SKIP_4) | instid1(VALU_DEP_1)
	v_fmac_f32_e32 v134, v130, v137
	ds_load_2addr_b32 v[136:137], v135 offset0:4 offset1:5
	v_movrels_b32_e32 v130, v34
	s_add_co_i32 m0, s2, -2
	s_wait_dscnt 0x0
	v_fmac_f32_e32 v134, v130, v136
	v_movrels_b32_e32 v130, v34
	s_add_co_i32 m0, s2, -1
	s_delay_alu instid0(VALU_DEP_1) | instskip(SKIP_4) | instid1(SALU_CYCLE_1)
	v_fmac_f32_e32 v134, v130, v137
	ds_load_2addr_b32 v[136:137], v135 offset0:6 offset1:7
	v_movrels_b32_e32 v130, v34
	s_mov_b32 m0, s2
	s_add_nc_u64 s[2:3], s[2:3], 8
	s_add_co_i32 s8, s2, -7
	s_wait_dscnt 0x0
	v_fmac_f32_e32 v134, v130, v136
	v_movrels_b32_e32 v130, v34
	s_delay_alu instid0(VALU_DEP_1) | instskip(NEXT) | instid1(VALU_DEP_1)
	v_dual_fmac_f32 v134, v130, v137 :: v_dual_add_nc_u32 v130, s2, v132
	v_cmp_eq_u32_e32 vcc_lo, 30, v130
	v_mov_b32_e32 v130, s8
	s_or_b32 s6, vcc_lo, s6
	s_delay_alu instid0(SALU_CYCLE_1)
	s_and_not1_b32 exec_lo, exec_lo, s6
	s_cbranch_execnz .LBB31_121
; %bb.122:
	s_or_b32 exec_lo, exec_lo, s6
.LBB31_123:
	s_delay_alu instid0(SALU_CYCLE_1) | instskip(SKIP_3) | instid1(VALU_DEP_1)
	s_or_b32 exec_lo, exec_lo, s1
	v_and_b32_e32 v132, 7, v131
	s_mov_b32 s2, 0
	s_mov_b32 s1, exec_lo
	v_cmpx_ne_u32_e32 0, v132
	s_cbranch_execz .LBB31_127
; %bb.124:
	v_lshl_add_u32 v135, v130, 2, 0x80
	v_mov_b32_e32 v131, 0
.LBB31_125:                             ; =>This Inner Loop Header: Depth=1
	v_cmp_eq_u32_e32 vcc_lo, 1, v130
	ds_load_b32 v137, v135
	v_dual_add_nc_u32 v132, -1, v132 :: v_dual_add_nc_u32 v135, 4, v135
	v_cndmask_b32_e32 v136, v34, v35, vcc_lo
	v_cmp_eq_u32_e32 vcc_lo, 2, v130
	s_delay_alu instid0(VALU_DEP_2) | instskip(SKIP_1) | instid1(VALU_DEP_2)
	v_cndmask_b32_e32 v136, v136, v36, vcc_lo
	v_cmp_eq_u32_e32 vcc_lo, 3, v130
	v_cndmask_b32_e32 v136, v136, v37, vcc_lo
	v_cmp_eq_u32_e32 vcc_lo, 4, v130
	s_delay_alu instid0(VALU_DEP_2) | instskip(SKIP_1) | instid1(VALU_DEP_2)
	v_cndmask_b32_e32 v136, v136, v38, vcc_lo
	v_cmp_eq_u32_e32 vcc_lo, 5, v130
	;; [unrolled: 5-line block ×14, first 2 shown]
	v_cndmask_b32_e32 v136, v136, v63, vcc_lo
	v_cmp_eq_u32_e32 vcc_lo, 30, v130
	s_delay_alu instid0(VALU_DEP_2) | instskip(SKIP_2) | instid1(VALU_DEP_3)
	v_cndmask_b32_e32 v136, v136, v64, vcc_lo
	v_cmp_eq_u32_e32 vcc_lo, 31, v130
	v_add_nc_u64_e32 v[130:131], 1, v[130:131]
	v_cndmask_b32_e32 v136, v136, v65, vcc_lo
	v_cmp_eq_u32_e32 vcc_lo, 0, v132
	s_wait_dscnt 0x0
	s_delay_alu instid0(VALU_DEP_2) | instskip(SKIP_1) | instid1(SALU_CYCLE_1)
	v_fmac_f32_e32 v134, v136, v137
	s_or_b32 s2, vcc_lo, s2
	s_and_not1_b32 exec_lo, exec_lo, s2
	s_cbranch_execnz .LBB31_125
; %bb.126:
	s_or_b32 exec_lo, exec_lo, s2
.LBB31_127:
	s_delay_alu instid0(SALU_CYCLE_1)
	s_or_b32 exec_lo, exec_lo, s1
.LBB31_128:
	s_delay_alu instid0(SALU_CYCLE_1)
	s_or_b32 exec_lo, exec_lo, s5
	v_mov_b32_e32 v56, 0
	ds_load_b32 v56, v56 offset:88
	s_wait_dscnt 0x0
	v_mul_f32_e32 v56, v134, v56
.LBB31_129:
	s_or_b32 exec_lo, exec_lo, s4
	v_cmp_lt_u32_e64 s1, 21, v0
	ds_store_b32 v133, v55
	s_wait_dscnt 0x0
	s_barrier_signal -1
	s_barrier_wait -1
	s_and_saveexec_b32 s4, s1
	s_cbranch_execz .LBB31_145
; %bb.130:
	s_and_not1_b32 vcc_lo, exec_lo, s33
	s_cbranch_vccnz .LBB31_132
; %bb.131:
	v_cmp_eq_u32_e32 vcc_lo, 1, v0
	ds_load_b32 v131, v133
	v_cndmask_b32_e32 v130, v34, v35, vcc_lo
	v_cmp_eq_u32_e32 vcc_lo, 2, v0
	s_delay_alu instid0(VALU_DEP_2) | instskip(SKIP_1) | instid1(VALU_DEP_2)
	v_cndmask_b32_e32 v130, v130, v36, vcc_lo
	v_cmp_eq_u32_e32 vcc_lo, 3, v0
	v_cndmask_b32_e32 v130, v130, v37, vcc_lo
	v_cmp_eq_u32_e32 vcc_lo, 4, v0
	s_delay_alu instid0(VALU_DEP_2) | instskip(SKIP_1) | instid1(VALU_DEP_2)
	v_cndmask_b32_e32 v130, v130, v38, vcc_lo
	v_cmp_eq_u32_e32 vcc_lo, 5, v0
	;; [unrolled: 5-line block ×15, first 2 shown]
	v_cndmask_b32_e32 v130, v130, v65, vcc_lo
	s_wait_dscnt 0x0
	s_delay_alu instid0(VALU_DEP_1)
	v_mul_f32_e32 v134, v130, v131
	s_cbranch_execz .LBB31_133
	s_branch .LBB31_134
.LBB31_132:
                                        ; implicit-def: $vgpr134
.LBB31_133:
	ds_load_b32 v134, v133
.LBB31_134:
	s_and_saveexec_b32 s5, s0
	s_cbranch_execz .LBB31_144
; %bb.135:
	v_subrev_nc_u32_e32 v132, 23, v0
	v_mov_b32_e32 v130, 22
	v_subrev_nc_u32_e32 v131, 22, v0
	s_mov_b32 s0, exec_lo
	s_delay_alu instid0(VALU_DEP_3)
	v_cmpx_lt_u32_e32 6, v132
	s_cbranch_execz .LBB31_139
; %bb.136:
	s_delay_alu instid0(VALU_DEP_2) | instskip(SKIP_3) | instid1(VALU_DEP_1)
	v_and_b32_e32 v130, -8, v131
	s_mov_b32 s6, 0
	s_mov_b64 s[2:3], 29
	s_movk_i32 s7, 0xd8
	v_sub_nc_u32_e32 v132, 0, v130
.LBB31_137:                             ; =>This Inner Loop Header: Depth=1
	s_add_co_i32 m0, s2, -7
	v_movrels_b32_e32 v130, v34
	v_mov_b32_e32 v135, s7
	s_add_co_i32 m0, s2, -6
	s_add_co_i32 s7, s7, 32
	ds_load_2addr_b64 v[136:139], v135 offset1:1
	s_wait_dscnt 0x0
	v_fmac_f32_e32 v134, v130, v136
	v_movrels_b32_e32 v130, v34
	s_add_co_i32 m0, s2, -5
	s_delay_alu instid0(VALU_DEP_1) | instskip(SKIP_2) | instid1(VALU_DEP_1)
	v_fmac_f32_e32 v134, v130, v137
	v_movrels_b32_e32 v130, v34
	s_add_co_i32 m0, s2, -4
	v_fmac_f32_e32 v134, v130, v138
	v_movrels_b32_e32 v130, v34
	s_add_co_i32 m0, s2, -3
	s_delay_alu instid0(VALU_DEP_1) | instskip(SKIP_4) | instid1(VALU_DEP_1)
	v_fmac_f32_e32 v134, v130, v139
	ds_load_2addr_b64 v[136:139], v135 offset0:2 offset1:3
	v_movrels_b32_e32 v130, v34
	s_add_co_i32 m0, s2, -2
	s_wait_dscnt 0x0
	v_fmac_f32_e32 v134, v130, v136
	v_movrels_b32_e32 v130, v34
	s_add_co_i32 m0, s2, -1
	s_delay_alu instid0(VALU_DEP_1) | instskip(SKIP_3) | instid1(SALU_CYCLE_1)
	v_fmac_f32_e32 v134, v130, v137
	v_movrels_b32_e32 v130, v34
	s_mov_b32 m0, s2
	s_add_nc_u64 s[2:3], s[2:3], 8
	s_add_co_i32 s8, s2, -7
	s_delay_alu instid0(VALU_DEP_1) | instskip(SKIP_1) | instid1(VALU_DEP_1)
	v_fmac_f32_e32 v134, v130, v138
	v_movrels_b32_e32 v130, v34
	v_dual_fmac_f32 v134, v130, v139 :: v_dual_add_nc_u32 v130, s2, v132
	s_delay_alu instid0(VALU_DEP_1) | instskip(SKIP_2) | instid1(SALU_CYCLE_1)
	v_cmp_eq_u32_e32 vcc_lo, 29, v130
	v_mov_b32_e32 v130, s8
	s_or_b32 s6, vcc_lo, s6
	s_and_not1_b32 exec_lo, exec_lo, s6
	s_cbranch_execnz .LBB31_137
; %bb.138:
	s_or_b32 exec_lo, exec_lo, s6
.LBB31_139:
	s_delay_alu instid0(SALU_CYCLE_1) | instskip(SKIP_3) | instid1(VALU_DEP_1)
	s_or_b32 exec_lo, exec_lo, s0
	v_and_b32_e32 v132, 7, v131
	s_mov_b32 s2, 0
	s_mov_b32 s0, exec_lo
	v_cmpx_ne_u32_e32 0, v132
	s_cbranch_execz .LBB31_143
; %bb.140:
	v_lshl_add_u32 v135, v130, 2, 0x80
	v_mov_b32_e32 v131, 0
.LBB31_141:                             ; =>This Inner Loop Header: Depth=1
	v_cmp_eq_u32_e32 vcc_lo, 1, v130
	ds_load_b32 v137, v135
	v_dual_add_nc_u32 v132, -1, v132 :: v_dual_add_nc_u32 v135, 4, v135
	v_cndmask_b32_e32 v136, v34, v35, vcc_lo
	v_cmp_eq_u32_e32 vcc_lo, 2, v130
	s_delay_alu instid0(VALU_DEP_2) | instskip(SKIP_1) | instid1(VALU_DEP_2)
	v_cndmask_b32_e32 v136, v136, v36, vcc_lo
	v_cmp_eq_u32_e32 vcc_lo, 3, v130
	v_cndmask_b32_e32 v136, v136, v37, vcc_lo
	v_cmp_eq_u32_e32 vcc_lo, 4, v130
	s_delay_alu instid0(VALU_DEP_2) | instskip(SKIP_1) | instid1(VALU_DEP_2)
	v_cndmask_b32_e32 v136, v136, v38, vcc_lo
	v_cmp_eq_u32_e32 vcc_lo, 5, v130
	;; [unrolled: 5-line block ×14, first 2 shown]
	v_cndmask_b32_e32 v136, v136, v63, vcc_lo
	v_cmp_eq_u32_e32 vcc_lo, 30, v130
	s_delay_alu instid0(VALU_DEP_2) | instskip(SKIP_2) | instid1(VALU_DEP_3)
	v_cndmask_b32_e32 v136, v136, v64, vcc_lo
	v_cmp_eq_u32_e32 vcc_lo, 31, v130
	v_add_nc_u64_e32 v[130:131], 1, v[130:131]
	v_cndmask_b32_e32 v136, v136, v65, vcc_lo
	v_cmp_eq_u32_e32 vcc_lo, 0, v132
	s_wait_dscnt 0x0
	s_delay_alu instid0(VALU_DEP_2) | instskip(SKIP_1) | instid1(SALU_CYCLE_1)
	v_fmac_f32_e32 v134, v136, v137
	s_or_b32 s2, vcc_lo, s2
	s_and_not1_b32 exec_lo, exec_lo, s2
	s_cbranch_execnz .LBB31_141
; %bb.142:
	s_or_b32 exec_lo, exec_lo, s2
.LBB31_143:
	s_delay_alu instid0(SALU_CYCLE_1)
	s_or_b32 exec_lo, exec_lo, s0
.LBB31_144:
	s_delay_alu instid0(SALU_CYCLE_1)
	s_or_b32 exec_lo, exec_lo, s5
	v_mov_b32_e32 v55, 0
	ds_load_b32 v55, v55 offset:84
	s_wait_dscnt 0x0
	v_mul_f32_e32 v55, v134, v55
.LBB31_145:
	s_or_b32 exec_lo, exec_lo, s4
	v_cmp_lt_u32_e64 s0, 20, v0
	ds_store_b32 v133, v54
	s_wait_dscnt 0x0
	s_barrier_signal -1
	s_barrier_wait -1
	s_and_saveexec_b32 s4, s0
	s_cbranch_execz .LBB31_161
; %bb.146:
	s_and_not1_b32 vcc_lo, exec_lo, s33
	s_cbranch_vccnz .LBB31_148
; %bb.147:
	v_cmp_eq_u32_e32 vcc_lo, 1, v0
	ds_load_b32 v131, v133
	v_cndmask_b32_e32 v130, v34, v35, vcc_lo
	v_cmp_eq_u32_e32 vcc_lo, 2, v0
	s_delay_alu instid0(VALU_DEP_2) | instskip(SKIP_1) | instid1(VALU_DEP_2)
	v_cndmask_b32_e32 v130, v130, v36, vcc_lo
	v_cmp_eq_u32_e32 vcc_lo, 3, v0
	v_cndmask_b32_e32 v130, v130, v37, vcc_lo
	v_cmp_eq_u32_e32 vcc_lo, 4, v0
	s_delay_alu instid0(VALU_DEP_2) | instskip(SKIP_1) | instid1(VALU_DEP_2)
	v_cndmask_b32_e32 v130, v130, v38, vcc_lo
	v_cmp_eq_u32_e32 vcc_lo, 5, v0
	;; [unrolled: 5-line block ×15, first 2 shown]
	v_cndmask_b32_e32 v130, v130, v65, vcc_lo
	s_wait_dscnt 0x0
	s_delay_alu instid0(VALU_DEP_1)
	v_mul_f32_e32 v134, v130, v131
	s_cbranch_execz .LBB31_149
	s_branch .LBB31_150
.LBB31_148:
                                        ; implicit-def: $vgpr134
.LBB31_149:
	ds_load_b32 v134, v133
.LBB31_150:
	s_and_saveexec_b32 s5, s1
	s_cbranch_execz .LBB31_160
; %bb.151:
	v_subrev_nc_u32_e32 v132, 22, v0
	v_mov_b32_e32 v130, 21
	v_subrev_nc_u32_e32 v131, 21, v0
	s_mov_b32 s1, exec_lo
	s_delay_alu instid0(VALU_DEP_3)
	v_cmpx_lt_u32_e32 6, v132
	s_cbranch_execz .LBB31_155
; %bb.152:
	s_delay_alu instid0(VALU_DEP_2) | instskip(SKIP_3) | instid1(VALU_DEP_1)
	v_and_b32_e32 v130, -8, v131
	s_mov_b32 s6, 0
	s_mov_b64 s[2:3], 28
	s_movk_i32 s7, 0xd4
	v_sub_nc_u32_e32 v132, 0, v130
.LBB31_153:                             ; =>This Inner Loop Header: Depth=1
	s_add_co_i32 m0, s2, -7
	v_movrels_b32_e32 v130, v34
	v_mov_b32_e32 v135, s7
	s_add_co_i32 m0, s2, -6
	s_add_co_i32 s7, s7, 32
	ds_load_2addr_b32 v[136:137], v135 offset1:1
	s_wait_dscnt 0x0
	v_fmac_f32_e32 v134, v130, v136
	v_movrels_b32_e32 v130, v34
	s_add_co_i32 m0, s2, -5
	s_delay_alu instid0(VALU_DEP_1) | instskip(SKIP_4) | instid1(VALU_DEP_1)
	v_fmac_f32_e32 v134, v130, v137
	ds_load_2addr_b32 v[136:137], v135 offset0:2 offset1:3
	v_movrels_b32_e32 v130, v34
	s_add_co_i32 m0, s2, -4
	s_wait_dscnt 0x0
	v_fmac_f32_e32 v134, v130, v136
	v_movrels_b32_e32 v130, v34
	s_add_co_i32 m0, s2, -3
	s_delay_alu instid0(VALU_DEP_1) | instskip(SKIP_4) | instid1(VALU_DEP_1)
	v_fmac_f32_e32 v134, v130, v137
	ds_load_2addr_b32 v[136:137], v135 offset0:4 offset1:5
	v_movrels_b32_e32 v130, v34
	s_add_co_i32 m0, s2, -2
	s_wait_dscnt 0x0
	v_fmac_f32_e32 v134, v130, v136
	v_movrels_b32_e32 v130, v34
	s_add_co_i32 m0, s2, -1
	s_delay_alu instid0(VALU_DEP_1) | instskip(SKIP_4) | instid1(SALU_CYCLE_1)
	v_fmac_f32_e32 v134, v130, v137
	ds_load_2addr_b32 v[136:137], v135 offset0:6 offset1:7
	v_movrels_b32_e32 v130, v34
	s_mov_b32 m0, s2
	s_add_nc_u64 s[2:3], s[2:3], 8
	s_add_co_i32 s8, s2, -7
	s_wait_dscnt 0x0
	v_fmac_f32_e32 v134, v130, v136
	v_movrels_b32_e32 v130, v34
	s_delay_alu instid0(VALU_DEP_1) | instskip(NEXT) | instid1(VALU_DEP_1)
	v_dual_fmac_f32 v134, v130, v137 :: v_dual_add_nc_u32 v130, s2, v132
	v_cmp_eq_u32_e32 vcc_lo, 28, v130
	v_mov_b32_e32 v130, s8
	s_or_b32 s6, vcc_lo, s6
	s_delay_alu instid0(SALU_CYCLE_1)
	s_and_not1_b32 exec_lo, exec_lo, s6
	s_cbranch_execnz .LBB31_153
; %bb.154:
	s_or_b32 exec_lo, exec_lo, s6
.LBB31_155:
	s_delay_alu instid0(SALU_CYCLE_1) | instskip(SKIP_3) | instid1(VALU_DEP_1)
	s_or_b32 exec_lo, exec_lo, s1
	v_and_b32_e32 v132, 7, v131
	s_mov_b32 s2, 0
	s_mov_b32 s1, exec_lo
	v_cmpx_ne_u32_e32 0, v132
	s_cbranch_execz .LBB31_159
; %bb.156:
	v_lshl_add_u32 v135, v130, 2, 0x80
	v_mov_b32_e32 v131, 0
.LBB31_157:                             ; =>This Inner Loop Header: Depth=1
	v_cmp_eq_u32_e32 vcc_lo, 1, v130
	ds_load_b32 v137, v135
	v_dual_add_nc_u32 v132, -1, v132 :: v_dual_add_nc_u32 v135, 4, v135
	v_cndmask_b32_e32 v136, v34, v35, vcc_lo
	v_cmp_eq_u32_e32 vcc_lo, 2, v130
	s_delay_alu instid0(VALU_DEP_2) | instskip(SKIP_1) | instid1(VALU_DEP_2)
	v_cndmask_b32_e32 v136, v136, v36, vcc_lo
	v_cmp_eq_u32_e32 vcc_lo, 3, v130
	v_cndmask_b32_e32 v136, v136, v37, vcc_lo
	v_cmp_eq_u32_e32 vcc_lo, 4, v130
	s_delay_alu instid0(VALU_DEP_2) | instskip(SKIP_1) | instid1(VALU_DEP_2)
	v_cndmask_b32_e32 v136, v136, v38, vcc_lo
	v_cmp_eq_u32_e32 vcc_lo, 5, v130
	;; [unrolled: 5-line block ×14, first 2 shown]
	v_cndmask_b32_e32 v136, v136, v63, vcc_lo
	v_cmp_eq_u32_e32 vcc_lo, 30, v130
	s_delay_alu instid0(VALU_DEP_2) | instskip(SKIP_2) | instid1(VALU_DEP_3)
	v_cndmask_b32_e32 v136, v136, v64, vcc_lo
	v_cmp_eq_u32_e32 vcc_lo, 31, v130
	v_add_nc_u64_e32 v[130:131], 1, v[130:131]
	v_cndmask_b32_e32 v136, v136, v65, vcc_lo
	v_cmp_eq_u32_e32 vcc_lo, 0, v132
	s_wait_dscnt 0x0
	s_delay_alu instid0(VALU_DEP_2) | instskip(SKIP_1) | instid1(SALU_CYCLE_1)
	v_fmac_f32_e32 v134, v136, v137
	s_or_b32 s2, vcc_lo, s2
	s_and_not1_b32 exec_lo, exec_lo, s2
	s_cbranch_execnz .LBB31_157
; %bb.158:
	s_or_b32 exec_lo, exec_lo, s2
.LBB31_159:
	s_delay_alu instid0(SALU_CYCLE_1)
	s_or_b32 exec_lo, exec_lo, s1
.LBB31_160:
	s_delay_alu instid0(SALU_CYCLE_1)
	s_or_b32 exec_lo, exec_lo, s5
	v_mov_b32_e32 v54, 0
	ds_load_b32 v54, v54 offset:80
	s_wait_dscnt 0x0
	v_mul_f32_e32 v54, v134, v54
.LBB31_161:
	s_or_b32 exec_lo, exec_lo, s4
	v_cmp_lt_u32_e64 s1, 19, v0
	ds_store_b32 v133, v53
	s_wait_dscnt 0x0
	s_barrier_signal -1
	s_barrier_wait -1
	s_and_saveexec_b32 s4, s1
	s_cbranch_execz .LBB31_177
; %bb.162:
	s_and_not1_b32 vcc_lo, exec_lo, s33
	s_cbranch_vccnz .LBB31_164
; %bb.163:
	v_cmp_eq_u32_e32 vcc_lo, 1, v0
	ds_load_b32 v131, v133
	v_cndmask_b32_e32 v130, v34, v35, vcc_lo
	v_cmp_eq_u32_e32 vcc_lo, 2, v0
	s_delay_alu instid0(VALU_DEP_2) | instskip(SKIP_1) | instid1(VALU_DEP_2)
	v_cndmask_b32_e32 v130, v130, v36, vcc_lo
	v_cmp_eq_u32_e32 vcc_lo, 3, v0
	v_cndmask_b32_e32 v130, v130, v37, vcc_lo
	v_cmp_eq_u32_e32 vcc_lo, 4, v0
	s_delay_alu instid0(VALU_DEP_2) | instskip(SKIP_1) | instid1(VALU_DEP_2)
	v_cndmask_b32_e32 v130, v130, v38, vcc_lo
	v_cmp_eq_u32_e32 vcc_lo, 5, v0
	;; [unrolled: 5-line block ×15, first 2 shown]
	v_cndmask_b32_e32 v130, v130, v65, vcc_lo
	s_wait_dscnt 0x0
	s_delay_alu instid0(VALU_DEP_1)
	v_mul_f32_e32 v134, v130, v131
	s_cbranch_execz .LBB31_165
	s_branch .LBB31_166
.LBB31_164:
                                        ; implicit-def: $vgpr134
.LBB31_165:
	ds_load_b32 v134, v133
.LBB31_166:
	s_and_saveexec_b32 s5, s0
	s_cbranch_execz .LBB31_176
; %bb.167:
	v_subrev_nc_u32_e32 v132, 21, v0
	v_mov_b32_e32 v130, 20
	v_subrev_nc_u32_e32 v131, 20, v0
	s_mov_b32 s0, exec_lo
	s_delay_alu instid0(VALU_DEP_3)
	v_cmpx_lt_u32_e32 6, v132
	s_cbranch_execz .LBB31_171
; %bb.168:
	s_delay_alu instid0(VALU_DEP_2) | instskip(SKIP_3) | instid1(VALU_DEP_1)
	v_and_b32_e32 v130, -8, v131
	s_mov_b32 s6, 0
	s_mov_b64 s[2:3], 27
	s_movk_i32 s7, 0xd0
	v_sub_nc_u32_e32 v132, 0, v130
.LBB31_169:                             ; =>This Inner Loop Header: Depth=1
	s_add_co_i32 m0, s2, -7
	v_movrels_b32_e32 v130, v34
	v_mov_b32_e32 v135, s7
	s_add_co_i32 m0, s2, -6
	s_add_co_i32 s7, s7, 32
	ds_load_b128 v[136:139], v135
	ds_load_b128 v[140:143], v135 offset:16
	s_wait_dscnt 0x1
	v_fmac_f32_e32 v134, v130, v136
	v_movrels_b32_e32 v130, v34
	s_add_co_i32 m0, s2, -5
	s_delay_alu instid0(VALU_DEP_1) | instskip(SKIP_2) | instid1(VALU_DEP_1)
	v_fmac_f32_e32 v134, v130, v137
	v_movrels_b32_e32 v130, v34
	s_add_co_i32 m0, s2, -4
	v_fmac_f32_e32 v134, v130, v138
	v_movrels_b32_e32 v130, v34
	s_add_co_i32 m0, s2, -3
	s_delay_alu instid0(VALU_DEP_1) | instskip(SKIP_3) | instid1(VALU_DEP_1)
	v_fmac_f32_e32 v134, v130, v139
	v_movrels_b32_e32 v130, v34
	s_add_co_i32 m0, s2, -2
	s_wait_dscnt 0x0
	v_fmac_f32_e32 v134, v130, v140
	v_movrels_b32_e32 v130, v34
	s_add_co_i32 m0, s2, -1
	s_delay_alu instid0(VALU_DEP_1) | instskip(SKIP_3) | instid1(SALU_CYCLE_1)
	v_fmac_f32_e32 v134, v130, v141
	v_movrels_b32_e32 v130, v34
	s_mov_b32 m0, s2
	s_add_nc_u64 s[2:3], s[2:3], 8
	s_add_co_i32 s8, s2, -7
	s_delay_alu instid0(VALU_DEP_1) | instskip(SKIP_1) | instid1(VALU_DEP_1)
	v_fmac_f32_e32 v134, v130, v142
	v_movrels_b32_e32 v130, v34
	v_dual_fmac_f32 v134, v130, v143 :: v_dual_add_nc_u32 v130, s2, v132
	s_delay_alu instid0(VALU_DEP_1) | instskip(SKIP_2) | instid1(SALU_CYCLE_1)
	v_cmp_eq_u32_e32 vcc_lo, 27, v130
	v_mov_b32_e32 v130, s8
	s_or_b32 s6, vcc_lo, s6
	s_and_not1_b32 exec_lo, exec_lo, s6
	s_cbranch_execnz .LBB31_169
; %bb.170:
	s_or_b32 exec_lo, exec_lo, s6
.LBB31_171:
	s_delay_alu instid0(SALU_CYCLE_1) | instskip(SKIP_3) | instid1(VALU_DEP_1)
	s_or_b32 exec_lo, exec_lo, s0
	v_and_b32_e32 v132, 7, v131
	s_mov_b32 s2, 0
	s_mov_b32 s0, exec_lo
	v_cmpx_ne_u32_e32 0, v132
	s_cbranch_execz .LBB31_175
; %bb.172:
	v_lshl_add_u32 v135, v130, 2, 0x80
	v_mov_b32_e32 v131, 0
.LBB31_173:                             ; =>This Inner Loop Header: Depth=1
	v_cmp_eq_u32_e32 vcc_lo, 1, v130
	ds_load_b32 v137, v135
	v_dual_add_nc_u32 v132, -1, v132 :: v_dual_add_nc_u32 v135, 4, v135
	v_cndmask_b32_e32 v136, v34, v35, vcc_lo
	v_cmp_eq_u32_e32 vcc_lo, 2, v130
	s_delay_alu instid0(VALU_DEP_2) | instskip(SKIP_1) | instid1(VALU_DEP_2)
	v_cndmask_b32_e32 v136, v136, v36, vcc_lo
	v_cmp_eq_u32_e32 vcc_lo, 3, v130
	v_cndmask_b32_e32 v136, v136, v37, vcc_lo
	v_cmp_eq_u32_e32 vcc_lo, 4, v130
	s_delay_alu instid0(VALU_DEP_2) | instskip(SKIP_1) | instid1(VALU_DEP_2)
	v_cndmask_b32_e32 v136, v136, v38, vcc_lo
	v_cmp_eq_u32_e32 vcc_lo, 5, v130
	;; [unrolled: 5-line block ×14, first 2 shown]
	v_cndmask_b32_e32 v136, v136, v63, vcc_lo
	v_cmp_eq_u32_e32 vcc_lo, 30, v130
	s_delay_alu instid0(VALU_DEP_2) | instskip(SKIP_2) | instid1(VALU_DEP_3)
	v_cndmask_b32_e32 v136, v136, v64, vcc_lo
	v_cmp_eq_u32_e32 vcc_lo, 31, v130
	v_add_nc_u64_e32 v[130:131], 1, v[130:131]
	v_cndmask_b32_e32 v136, v136, v65, vcc_lo
	v_cmp_eq_u32_e32 vcc_lo, 0, v132
	s_wait_dscnt 0x0
	s_delay_alu instid0(VALU_DEP_2) | instskip(SKIP_1) | instid1(SALU_CYCLE_1)
	v_fmac_f32_e32 v134, v136, v137
	s_or_b32 s2, vcc_lo, s2
	s_and_not1_b32 exec_lo, exec_lo, s2
	s_cbranch_execnz .LBB31_173
; %bb.174:
	s_or_b32 exec_lo, exec_lo, s2
.LBB31_175:
	s_delay_alu instid0(SALU_CYCLE_1)
	s_or_b32 exec_lo, exec_lo, s0
.LBB31_176:
	s_delay_alu instid0(SALU_CYCLE_1)
	s_or_b32 exec_lo, exec_lo, s5
	v_mov_b32_e32 v53, 0
	ds_load_b32 v53, v53 offset:76
	s_wait_dscnt 0x0
	v_mul_f32_e32 v53, v134, v53
.LBB31_177:
	s_or_b32 exec_lo, exec_lo, s4
	v_cmp_lt_u32_e64 s0, 18, v0
	ds_store_b32 v133, v52
	s_wait_dscnt 0x0
	s_barrier_signal -1
	s_barrier_wait -1
	s_and_saveexec_b32 s4, s0
	s_cbranch_execz .LBB31_193
; %bb.178:
	s_and_not1_b32 vcc_lo, exec_lo, s33
	s_cbranch_vccnz .LBB31_180
; %bb.179:
	v_cmp_eq_u32_e32 vcc_lo, 1, v0
	ds_load_b32 v131, v133
	v_cndmask_b32_e32 v130, v34, v35, vcc_lo
	v_cmp_eq_u32_e32 vcc_lo, 2, v0
	s_delay_alu instid0(VALU_DEP_2) | instskip(SKIP_1) | instid1(VALU_DEP_2)
	v_cndmask_b32_e32 v130, v130, v36, vcc_lo
	v_cmp_eq_u32_e32 vcc_lo, 3, v0
	v_cndmask_b32_e32 v130, v130, v37, vcc_lo
	v_cmp_eq_u32_e32 vcc_lo, 4, v0
	s_delay_alu instid0(VALU_DEP_2) | instskip(SKIP_1) | instid1(VALU_DEP_2)
	v_cndmask_b32_e32 v130, v130, v38, vcc_lo
	v_cmp_eq_u32_e32 vcc_lo, 5, v0
	;; [unrolled: 5-line block ×15, first 2 shown]
	v_cndmask_b32_e32 v130, v130, v65, vcc_lo
	s_wait_dscnt 0x0
	s_delay_alu instid0(VALU_DEP_1)
	v_mul_f32_e32 v134, v130, v131
	s_cbranch_execz .LBB31_181
	s_branch .LBB31_182
.LBB31_180:
                                        ; implicit-def: $vgpr134
.LBB31_181:
	ds_load_b32 v134, v133
.LBB31_182:
	s_and_saveexec_b32 s5, s1
	s_cbranch_execz .LBB31_192
; %bb.183:
	v_subrev_nc_u32_e32 v132, 20, v0
	v_mov_b32_e32 v130, 19
	v_subrev_nc_u32_e32 v131, 19, v0
	s_mov_b32 s1, exec_lo
	s_delay_alu instid0(VALU_DEP_3)
	v_cmpx_lt_u32_e32 6, v132
	s_cbranch_execz .LBB31_187
; %bb.184:
	s_delay_alu instid0(VALU_DEP_2) | instskip(SKIP_3) | instid1(VALU_DEP_1)
	v_and_b32_e32 v130, -8, v131
	s_mov_b32 s6, 0
	s_mov_b64 s[2:3], 26
	s_movk_i32 s7, 0xcc
	v_sub_nc_u32_e32 v132, 0, v130
.LBB31_185:                             ; =>This Inner Loop Header: Depth=1
	s_add_co_i32 m0, s2, -7
	v_movrels_b32_e32 v130, v34
	v_mov_b32_e32 v135, s7
	s_add_co_i32 m0, s2, -6
	s_add_co_i32 s7, s7, 32
	ds_load_2addr_b32 v[136:137], v135 offset1:1
	s_wait_dscnt 0x0
	v_fmac_f32_e32 v134, v130, v136
	v_movrels_b32_e32 v130, v34
	s_add_co_i32 m0, s2, -5
	s_delay_alu instid0(VALU_DEP_1) | instskip(SKIP_4) | instid1(VALU_DEP_1)
	v_fmac_f32_e32 v134, v130, v137
	ds_load_2addr_b32 v[136:137], v135 offset0:2 offset1:3
	v_movrels_b32_e32 v130, v34
	s_add_co_i32 m0, s2, -4
	s_wait_dscnt 0x0
	v_fmac_f32_e32 v134, v130, v136
	v_movrels_b32_e32 v130, v34
	s_add_co_i32 m0, s2, -3
	s_delay_alu instid0(VALU_DEP_1) | instskip(SKIP_4) | instid1(VALU_DEP_1)
	v_fmac_f32_e32 v134, v130, v137
	ds_load_2addr_b32 v[136:137], v135 offset0:4 offset1:5
	v_movrels_b32_e32 v130, v34
	s_add_co_i32 m0, s2, -2
	s_wait_dscnt 0x0
	v_fmac_f32_e32 v134, v130, v136
	v_movrels_b32_e32 v130, v34
	s_add_co_i32 m0, s2, -1
	s_delay_alu instid0(VALU_DEP_1) | instskip(SKIP_4) | instid1(SALU_CYCLE_1)
	v_fmac_f32_e32 v134, v130, v137
	ds_load_2addr_b32 v[136:137], v135 offset0:6 offset1:7
	v_movrels_b32_e32 v130, v34
	s_mov_b32 m0, s2
	s_add_nc_u64 s[2:3], s[2:3], 8
	s_add_co_i32 s8, s2, -7
	s_wait_dscnt 0x0
	v_fmac_f32_e32 v134, v130, v136
	v_movrels_b32_e32 v130, v34
	s_delay_alu instid0(VALU_DEP_1) | instskip(NEXT) | instid1(VALU_DEP_1)
	v_dual_fmac_f32 v134, v130, v137 :: v_dual_add_nc_u32 v130, s2, v132
	v_cmp_eq_u32_e32 vcc_lo, 26, v130
	v_mov_b32_e32 v130, s8
	s_or_b32 s6, vcc_lo, s6
	s_delay_alu instid0(SALU_CYCLE_1)
	s_and_not1_b32 exec_lo, exec_lo, s6
	s_cbranch_execnz .LBB31_185
; %bb.186:
	s_or_b32 exec_lo, exec_lo, s6
.LBB31_187:
	s_delay_alu instid0(SALU_CYCLE_1) | instskip(SKIP_3) | instid1(VALU_DEP_1)
	s_or_b32 exec_lo, exec_lo, s1
	v_and_b32_e32 v132, 7, v131
	s_mov_b32 s2, 0
	s_mov_b32 s1, exec_lo
	v_cmpx_ne_u32_e32 0, v132
	s_cbranch_execz .LBB31_191
; %bb.188:
	v_lshl_add_u32 v135, v130, 2, 0x80
	v_mov_b32_e32 v131, 0
.LBB31_189:                             ; =>This Inner Loop Header: Depth=1
	v_cmp_eq_u32_e32 vcc_lo, 1, v130
	ds_load_b32 v137, v135
	v_dual_add_nc_u32 v132, -1, v132 :: v_dual_add_nc_u32 v135, 4, v135
	v_cndmask_b32_e32 v136, v34, v35, vcc_lo
	v_cmp_eq_u32_e32 vcc_lo, 2, v130
	s_delay_alu instid0(VALU_DEP_2) | instskip(SKIP_1) | instid1(VALU_DEP_2)
	v_cndmask_b32_e32 v136, v136, v36, vcc_lo
	v_cmp_eq_u32_e32 vcc_lo, 3, v130
	v_cndmask_b32_e32 v136, v136, v37, vcc_lo
	v_cmp_eq_u32_e32 vcc_lo, 4, v130
	s_delay_alu instid0(VALU_DEP_2) | instskip(SKIP_1) | instid1(VALU_DEP_2)
	v_cndmask_b32_e32 v136, v136, v38, vcc_lo
	v_cmp_eq_u32_e32 vcc_lo, 5, v130
	;; [unrolled: 5-line block ×14, first 2 shown]
	v_cndmask_b32_e32 v136, v136, v63, vcc_lo
	v_cmp_eq_u32_e32 vcc_lo, 30, v130
	s_delay_alu instid0(VALU_DEP_2) | instskip(SKIP_2) | instid1(VALU_DEP_3)
	v_cndmask_b32_e32 v136, v136, v64, vcc_lo
	v_cmp_eq_u32_e32 vcc_lo, 31, v130
	v_add_nc_u64_e32 v[130:131], 1, v[130:131]
	v_cndmask_b32_e32 v136, v136, v65, vcc_lo
	v_cmp_eq_u32_e32 vcc_lo, 0, v132
	s_wait_dscnt 0x0
	s_delay_alu instid0(VALU_DEP_2) | instskip(SKIP_1) | instid1(SALU_CYCLE_1)
	v_fmac_f32_e32 v134, v136, v137
	s_or_b32 s2, vcc_lo, s2
	s_and_not1_b32 exec_lo, exec_lo, s2
	s_cbranch_execnz .LBB31_189
; %bb.190:
	s_or_b32 exec_lo, exec_lo, s2
.LBB31_191:
	s_delay_alu instid0(SALU_CYCLE_1)
	s_or_b32 exec_lo, exec_lo, s1
.LBB31_192:
	s_delay_alu instid0(SALU_CYCLE_1)
	s_or_b32 exec_lo, exec_lo, s5
	v_mov_b32_e32 v52, 0
	ds_load_b32 v52, v52 offset:72
	s_wait_dscnt 0x0
	v_mul_f32_e32 v52, v134, v52
.LBB31_193:
	s_or_b32 exec_lo, exec_lo, s4
	v_cmp_lt_u32_e64 s1, 17, v0
	ds_store_b32 v133, v51
	s_wait_dscnt 0x0
	s_barrier_signal -1
	s_barrier_wait -1
	s_and_saveexec_b32 s4, s1
	s_cbranch_execz .LBB31_209
; %bb.194:
	s_and_not1_b32 vcc_lo, exec_lo, s33
	s_cbranch_vccnz .LBB31_196
; %bb.195:
	v_cmp_eq_u32_e32 vcc_lo, 1, v0
	ds_load_b32 v131, v133
	v_cndmask_b32_e32 v130, v34, v35, vcc_lo
	v_cmp_eq_u32_e32 vcc_lo, 2, v0
	s_delay_alu instid0(VALU_DEP_2) | instskip(SKIP_1) | instid1(VALU_DEP_2)
	v_cndmask_b32_e32 v130, v130, v36, vcc_lo
	v_cmp_eq_u32_e32 vcc_lo, 3, v0
	v_cndmask_b32_e32 v130, v130, v37, vcc_lo
	v_cmp_eq_u32_e32 vcc_lo, 4, v0
	s_delay_alu instid0(VALU_DEP_2) | instskip(SKIP_1) | instid1(VALU_DEP_2)
	v_cndmask_b32_e32 v130, v130, v38, vcc_lo
	v_cmp_eq_u32_e32 vcc_lo, 5, v0
	;; [unrolled: 5-line block ×15, first 2 shown]
	v_cndmask_b32_e32 v130, v130, v65, vcc_lo
	s_wait_dscnt 0x0
	s_delay_alu instid0(VALU_DEP_1)
	v_mul_f32_e32 v134, v130, v131
	s_cbranch_execz .LBB31_197
	s_branch .LBB31_198
.LBB31_196:
                                        ; implicit-def: $vgpr134
.LBB31_197:
	ds_load_b32 v134, v133
.LBB31_198:
	s_and_saveexec_b32 s5, s0
	s_cbranch_execz .LBB31_208
; %bb.199:
	v_subrev_nc_u32_e32 v132, 19, v0
	v_mov_b32_e32 v130, 18
	v_subrev_nc_u32_e32 v131, 18, v0
	s_mov_b32 s0, exec_lo
	s_delay_alu instid0(VALU_DEP_3)
	v_cmpx_lt_u32_e32 6, v132
	s_cbranch_execz .LBB31_203
; %bb.200:
	s_delay_alu instid0(VALU_DEP_2) | instskip(SKIP_3) | instid1(VALU_DEP_1)
	v_and_b32_e32 v130, -8, v131
	s_mov_b32 s6, 0
	s_mov_b64 s[2:3], 25
	s_movk_i32 s7, 0xc8
	v_sub_nc_u32_e32 v132, 0, v130
.LBB31_201:                             ; =>This Inner Loop Header: Depth=1
	s_add_co_i32 m0, s2, -7
	v_movrels_b32_e32 v130, v34
	v_mov_b32_e32 v135, s7
	s_add_co_i32 m0, s2, -6
	s_add_co_i32 s7, s7, 32
	ds_load_2addr_b64 v[136:139], v135 offset1:1
	s_wait_dscnt 0x0
	v_fmac_f32_e32 v134, v130, v136
	v_movrels_b32_e32 v130, v34
	s_add_co_i32 m0, s2, -5
	s_delay_alu instid0(VALU_DEP_1) | instskip(SKIP_2) | instid1(VALU_DEP_1)
	v_fmac_f32_e32 v134, v130, v137
	v_movrels_b32_e32 v130, v34
	s_add_co_i32 m0, s2, -4
	v_fmac_f32_e32 v134, v130, v138
	v_movrels_b32_e32 v130, v34
	s_add_co_i32 m0, s2, -3
	s_delay_alu instid0(VALU_DEP_1) | instskip(SKIP_4) | instid1(VALU_DEP_1)
	v_fmac_f32_e32 v134, v130, v139
	ds_load_2addr_b64 v[136:139], v135 offset0:2 offset1:3
	v_movrels_b32_e32 v130, v34
	s_add_co_i32 m0, s2, -2
	s_wait_dscnt 0x0
	v_fmac_f32_e32 v134, v130, v136
	v_movrels_b32_e32 v130, v34
	s_add_co_i32 m0, s2, -1
	s_delay_alu instid0(VALU_DEP_1) | instskip(SKIP_3) | instid1(SALU_CYCLE_1)
	v_fmac_f32_e32 v134, v130, v137
	v_movrels_b32_e32 v130, v34
	s_mov_b32 m0, s2
	s_add_nc_u64 s[2:3], s[2:3], 8
	s_add_co_i32 s8, s2, -7
	s_delay_alu instid0(VALU_DEP_1) | instskip(SKIP_1) | instid1(VALU_DEP_1)
	v_fmac_f32_e32 v134, v130, v138
	v_movrels_b32_e32 v130, v34
	v_dual_fmac_f32 v134, v130, v139 :: v_dual_add_nc_u32 v130, s2, v132
	s_delay_alu instid0(VALU_DEP_1) | instskip(SKIP_2) | instid1(SALU_CYCLE_1)
	v_cmp_eq_u32_e32 vcc_lo, 25, v130
	v_mov_b32_e32 v130, s8
	s_or_b32 s6, vcc_lo, s6
	s_and_not1_b32 exec_lo, exec_lo, s6
	s_cbranch_execnz .LBB31_201
; %bb.202:
	s_or_b32 exec_lo, exec_lo, s6
.LBB31_203:
	s_delay_alu instid0(SALU_CYCLE_1) | instskip(SKIP_3) | instid1(VALU_DEP_1)
	s_or_b32 exec_lo, exec_lo, s0
	v_and_b32_e32 v132, 7, v131
	s_mov_b32 s2, 0
	s_mov_b32 s0, exec_lo
	v_cmpx_ne_u32_e32 0, v132
	s_cbranch_execz .LBB31_207
; %bb.204:
	v_lshl_add_u32 v135, v130, 2, 0x80
	v_mov_b32_e32 v131, 0
.LBB31_205:                             ; =>This Inner Loop Header: Depth=1
	v_cmp_eq_u32_e32 vcc_lo, 1, v130
	ds_load_b32 v137, v135
	v_dual_add_nc_u32 v132, -1, v132 :: v_dual_add_nc_u32 v135, 4, v135
	v_cndmask_b32_e32 v136, v34, v35, vcc_lo
	v_cmp_eq_u32_e32 vcc_lo, 2, v130
	s_delay_alu instid0(VALU_DEP_2) | instskip(SKIP_1) | instid1(VALU_DEP_2)
	v_cndmask_b32_e32 v136, v136, v36, vcc_lo
	v_cmp_eq_u32_e32 vcc_lo, 3, v130
	v_cndmask_b32_e32 v136, v136, v37, vcc_lo
	v_cmp_eq_u32_e32 vcc_lo, 4, v130
	s_delay_alu instid0(VALU_DEP_2) | instskip(SKIP_1) | instid1(VALU_DEP_2)
	v_cndmask_b32_e32 v136, v136, v38, vcc_lo
	v_cmp_eq_u32_e32 vcc_lo, 5, v130
	;; [unrolled: 5-line block ×14, first 2 shown]
	v_cndmask_b32_e32 v136, v136, v63, vcc_lo
	v_cmp_eq_u32_e32 vcc_lo, 30, v130
	s_delay_alu instid0(VALU_DEP_2) | instskip(SKIP_2) | instid1(VALU_DEP_3)
	v_cndmask_b32_e32 v136, v136, v64, vcc_lo
	v_cmp_eq_u32_e32 vcc_lo, 31, v130
	v_add_nc_u64_e32 v[130:131], 1, v[130:131]
	v_cndmask_b32_e32 v136, v136, v65, vcc_lo
	v_cmp_eq_u32_e32 vcc_lo, 0, v132
	s_wait_dscnt 0x0
	s_delay_alu instid0(VALU_DEP_2) | instskip(SKIP_1) | instid1(SALU_CYCLE_1)
	v_fmac_f32_e32 v134, v136, v137
	s_or_b32 s2, vcc_lo, s2
	s_and_not1_b32 exec_lo, exec_lo, s2
	s_cbranch_execnz .LBB31_205
; %bb.206:
	s_or_b32 exec_lo, exec_lo, s2
.LBB31_207:
	s_delay_alu instid0(SALU_CYCLE_1)
	s_or_b32 exec_lo, exec_lo, s0
.LBB31_208:
	s_delay_alu instid0(SALU_CYCLE_1)
	s_or_b32 exec_lo, exec_lo, s5
	v_mov_b32_e32 v51, 0
	ds_load_b32 v51, v51 offset:68
	s_wait_dscnt 0x0
	v_mul_f32_e32 v51, v134, v51
.LBB31_209:
	s_or_b32 exec_lo, exec_lo, s4
	v_cmp_lt_u32_e64 s0, 16, v0
	ds_store_b32 v133, v50
	s_wait_dscnt 0x0
	s_barrier_signal -1
	s_barrier_wait -1
	s_and_saveexec_b32 s4, s0
	s_cbranch_execz .LBB31_225
; %bb.210:
	s_and_not1_b32 vcc_lo, exec_lo, s33
	s_cbranch_vccnz .LBB31_212
; %bb.211:
	v_cmp_eq_u32_e32 vcc_lo, 1, v0
	ds_load_b32 v131, v133
	v_cndmask_b32_e32 v130, v34, v35, vcc_lo
	v_cmp_eq_u32_e32 vcc_lo, 2, v0
	s_delay_alu instid0(VALU_DEP_2) | instskip(SKIP_1) | instid1(VALU_DEP_2)
	v_cndmask_b32_e32 v130, v130, v36, vcc_lo
	v_cmp_eq_u32_e32 vcc_lo, 3, v0
	v_cndmask_b32_e32 v130, v130, v37, vcc_lo
	v_cmp_eq_u32_e32 vcc_lo, 4, v0
	s_delay_alu instid0(VALU_DEP_2) | instskip(SKIP_1) | instid1(VALU_DEP_2)
	v_cndmask_b32_e32 v130, v130, v38, vcc_lo
	v_cmp_eq_u32_e32 vcc_lo, 5, v0
	;; [unrolled: 5-line block ×15, first 2 shown]
	v_cndmask_b32_e32 v130, v130, v65, vcc_lo
	s_wait_dscnt 0x0
	s_delay_alu instid0(VALU_DEP_1)
	v_mul_f32_e32 v134, v130, v131
	s_cbranch_execz .LBB31_213
	s_branch .LBB31_214
.LBB31_212:
                                        ; implicit-def: $vgpr134
.LBB31_213:
	ds_load_b32 v134, v133
.LBB31_214:
	s_and_saveexec_b32 s5, s1
	s_cbranch_execz .LBB31_224
; %bb.215:
	v_subrev_nc_u32_e32 v132, 18, v0
	v_mov_b32_e32 v130, 17
	v_subrev_nc_u32_e32 v131, 17, v0
	s_mov_b32 s1, exec_lo
	s_delay_alu instid0(VALU_DEP_3)
	v_cmpx_lt_u32_e32 6, v132
	s_cbranch_execz .LBB31_219
; %bb.216:
	s_delay_alu instid0(VALU_DEP_2) | instskip(SKIP_3) | instid1(VALU_DEP_1)
	v_and_b32_e32 v130, -8, v131
	s_mov_b32 s6, 0
	s_mov_b64 s[2:3], 24
	s_movk_i32 s7, 0xc4
	v_sub_nc_u32_e32 v132, 0, v130
.LBB31_217:                             ; =>This Inner Loop Header: Depth=1
	s_add_co_i32 m0, s2, -7
	v_movrels_b32_e32 v130, v34
	v_mov_b32_e32 v135, s7
	s_add_co_i32 m0, s2, -6
	s_add_co_i32 s7, s7, 32
	ds_load_2addr_b32 v[136:137], v135 offset1:1
	s_wait_dscnt 0x0
	v_fmac_f32_e32 v134, v130, v136
	v_movrels_b32_e32 v130, v34
	s_add_co_i32 m0, s2, -5
	s_delay_alu instid0(VALU_DEP_1) | instskip(SKIP_4) | instid1(VALU_DEP_1)
	v_fmac_f32_e32 v134, v130, v137
	ds_load_2addr_b32 v[136:137], v135 offset0:2 offset1:3
	v_movrels_b32_e32 v130, v34
	s_add_co_i32 m0, s2, -4
	s_wait_dscnt 0x0
	v_fmac_f32_e32 v134, v130, v136
	v_movrels_b32_e32 v130, v34
	s_add_co_i32 m0, s2, -3
	s_delay_alu instid0(VALU_DEP_1) | instskip(SKIP_4) | instid1(VALU_DEP_1)
	v_fmac_f32_e32 v134, v130, v137
	ds_load_2addr_b32 v[136:137], v135 offset0:4 offset1:5
	v_movrels_b32_e32 v130, v34
	s_add_co_i32 m0, s2, -2
	s_wait_dscnt 0x0
	v_fmac_f32_e32 v134, v130, v136
	v_movrels_b32_e32 v130, v34
	s_add_co_i32 m0, s2, -1
	s_delay_alu instid0(VALU_DEP_1) | instskip(SKIP_4) | instid1(SALU_CYCLE_1)
	v_fmac_f32_e32 v134, v130, v137
	ds_load_2addr_b32 v[136:137], v135 offset0:6 offset1:7
	v_movrels_b32_e32 v130, v34
	s_mov_b32 m0, s2
	s_add_nc_u64 s[2:3], s[2:3], 8
	s_add_co_i32 s8, s2, -7
	s_wait_dscnt 0x0
	v_fmac_f32_e32 v134, v130, v136
	v_movrels_b32_e32 v130, v34
	s_delay_alu instid0(VALU_DEP_1) | instskip(NEXT) | instid1(VALU_DEP_1)
	v_dual_fmac_f32 v134, v130, v137 :: v_dual_add_nc_u32 v130, s2, v132
	v_cmp_eq_u32_e32 vcc_lo, 24, v130
	v_mov_b32_e32 v130, s8
	s_or_b32 s6, vcc_lo, s6
	s_delay_alu instid0(SALU_CYCLE_1)
	s_and_not1_b32 exec_lo, exec_lo, s6
	s_cbranch_execnz .LBB31_217
; %bb.218:
	s_or_b32 exec_lo, exec_lo, s6
.LBB31_219:
	s_delay_alu instid0(SALU_CYCLE_1) | instskip(SKIP_3) | instid1(VALU_DEP_1)
	s_or_b32 exec_lo, exec_lo, s1
	v_and_b32_e32 v132, 7, v131
	s_mov_b32 s2, 0
	s_mov_b32 s1, exec_lo
	v_cmpx_ne_u32_e32 0, v132
	s_cbranch_execz .LBB31_223
; %bb.220:
	v_lshl_add_u32 v135, v130, 2, 0x80
	v_mov_b32_e32 v131, 0
.LBB31_221:                             ; =>This Inner Loop Header: Depth=1
	v_cmp_eq_u32_e32 vcc_lo, 1, v130
	ds_load_b32 v137, v135
	v_dual_add_nc_u32 v132, -1, v132 :: v_dual_add_nc_u32 v135, 4, v135
	v_cndmask_b32_e32 v136, v34, v35, vcc_lo
	v_cmp_eq_u32_e32 vcc_lo, 2, v130
	s_delay_alu instid0(VALU_DEP_2) | instskip(SKIP_1) | instid1(VALU_DEP_2)
	v_cndmask_b32_e32 v136, v136, v36, vcc_lo
	v_cmp_eq_u32_e32 vcc_lo, 3, v130
	v_cndmask_b32_e32 v136, v136, v37, vcc_lo
	v_cmp_eq_u32_e32 vcc_lo, 4, v130
	s_delay_alu instid0(VALU_DEP_2) | instskip(SKIP_1) | instid1(VALU_DEP_2)
	v_cndmask_b32_e32 v136, v136, v38, vcc_lo
	v_cmp_eq_u32_e32 vcc_lo, 5, v130
	;; [unrolled: 5-line block ×14, first 2 shown]
	v_cndmask_b32_e32 v136, v136, v63, vcc_lo
	v_cmp_eq_u32_e32 vcc_lo, 30, v130
	s_delay_alu instid0(VALU_DEP_2) | instskip(SKIP_2) | instid1(VALU_DEP_3)
	v_cndmask_b32_e32 v136, v136, v64, vcc_lo
	v_cmp_eq_u32_e32 vcc_lo, 31, v130
	v_add_nc_u64_e32 v[130:131], 1, v[130:131]
	v_cndmask_b32_e32 v136, v136, v65, vcc_lo
	v_cmp_eq_u32_e32 vcc_lo, 0, v132
	s_wait_dscnt 0x0
	s_delay_alu instid0(VALU_DEP_2) | instskip(SKIP_1) | instid1(SALU_CYCLE_1)
	v_fmac_f32_e32 v134, v136, v137
	s_or_b32 s2, vcc_lo, s2
	s_and_not1_b32 exec_lo, exec_lo, s2
	s_cbranch_execnz .LBB31_221
; %bb.222:
	s_or_b32 exec_lo, exec_lo, s2
.LBB31_223:
	s_delay_alu instid0(SALU_CYCLE_1)
	s_or_b32 exec_lo, exec_lo, s1
.LBB31_224:
	s_delay_alu instid0(SALU_CYCLE_1)
	s_or_b32 exec_lo, exec_lo, s5
	v_mov_b32_e32 v50, 0
	ds_load_b32 v50, v50 offset:64
	s_wait_dscnt 0x0
	v_mul_f32_e32 v50, v134, v50
.LBB31_225:
	s_or_b32 exec_lo, exec_lo, s4
	v_cmp_lt_u32_e64 s1, 15, v0
	ds_store_b32 v133, v49
	s_wait_dscnt 0x0
	s_barrier_signal -1
	s_barrier_wait -1
	s_and_saveexec_b32 s4, s1
	s_cbranch_execz .LBB31_241
; %bb.226:
	s_and_not1_b32 vcc_lo, exec_lo, s33
	s_cbranch_vccnz .LBB31_228
; %bb.227:
	v_cmp_eq_u32_e32 vcc_lo, 1, v0
	ds_load_b32 v131, v133
	v_cndmask_b32_e32 v130, v34, v35, vcc_lo
	v_cmp_eq_u32_e32 vcc_lo, 2, v0
	s_delay_alu instid0(VALU_DEP_2) | instskip(SKIP_1) | instid1(VALU_DEP_2)
	v_cndmask_b32_e32 v130, v130, v36, vcc_lo
	v_cmp_eq_u32_e32 vcc_lo, 3, v0
	v_cndmask_b32_e32 v130, v130, v37, vcc_lo
	v_cmp_eq_u32_e32 vcc_lo, 4, v0
	s_delay_alu instid0(VALU_DEP_2) | instskip(SKIP_1) | instid1(VALU_DEP_2)
	v_cndmask_b32_e32 v130, v130, v38, vcc_lo
	v_cmp_eq_u32_e32 vcc_lo, 5, v0
	;; [unrolled: 5-line block ×15, first 2 shown]
	v_cndmask_b32_e32 v130, v130, v65, vcc_lo
	s_wait_dscnt 0x0
	s_delay_alu instid0(VALU_DEP_1)
	v_mul_f32_e32 v134, v130, v131
	s_cbranch_execz .LBB31_229
	s_branch .LBB31_230
.LBB31_228:
                                        ; implicit-def: $vgpr134
.LBB31_229:
	ds_load_b32 v134, v133
.LBB31_230:
	s_and_saveexec_b32 s5, s0
	s_cbranch_execz .LBB31_240
; %bb.231:
	v_subrev_nc_u32_e32 v130, 17, v0
	s_delay_alu instid0(VALU_DEP_1)
	v_cmp_lt_u32_e32 vcc_lo, 6, v130
	v_mov_b32_e32 v130, 16
	s_and_saveexec_b32 s0, vcc_lo
	s_cbranch_execz .LBB31_235
; %bb.232:
	v_and_b32_e32 v130, 24, v0
	s_mov_b32 s6, 0
	s_mov_b64 s[2:3], 23
	s_movk_i32 s7, 0xc0
	s_delay_alu instid0(VALU_DEP_1)
	v_sub_nc_u32_e32 v132, 0, v130
.LBB31_233:                             ; =>This Inner Loop Header: Depth=1
	s_add_co_i32 m0, s2, -7
	v_movrels_b32_e32 v131, v34
	v_mov_b32_e32 v130, s7
	s_add_co_i32 m0, s2, -6
	s_add_co_i32 s7, s7, 32
	v_movrels_b32_e32 v135, v34
	s_add_co_i32 m0, s2, -5
	ds_load_b128 v[136:139], v130
	ds_load_b128 v[140:143], v130 offset:16
	v_movrels_b32_e32 v130, v34
	s_add_co_i32 m0, s2, -4
	s_wait_dscnt 0x1
	v_fmac_f32_e32 v134, v131, v136
	v_movrels_b32_e32 v131, v34
	s_add_co_i32 m0, s2, -3
	s_delay_alu instid0(VALU_DEP_2) | instskip(NEXT) | instid1(VALU_DEP_1)
	v_fmac_f32_e32 v134, v135, v137
	v_fmac_f32_e32 v134, v130, v138
	v_movrels_b32_e32 v130, v34
	s_add_co_i32 m0, s2, -2
	s_delay_alu instid0(VALU_DEP_2) | instskip(SKIP_3) | instid1(VALU_DEP_2)
	v_fmac_f32_e32 v134, v131, v139
	v_movrels_b32_e32 v131, v34
	s_add_co_i32 m0, s2, -1
	s_wait_dscnt 0x0
	v_fmac_f32_e32 v134, v130, v140
	v_movrels_b32_e32 v130, v34
	s_mov_b32 m0, s2
	s_add_nc_u64 s[2:3], s[2:3], 8
	v_movrels_b32_e32 v135, v34
	v_dual_fmac_f32 v134, v131, v141 :: v_dual_add_nc_u32 v131, s2, v132
	s_add_co_i32 s8, s2, -7
	s_delay_alu instid0(VALU_DEP_1) | instskip(NEXT) | instid1(VALU_DEP_2)
	v_fmac_f32_e32 v134, v130, v142
	v_cmp_eq_u32_e32 vcc_lo, 7, v131
	s_delay_alu instid0(VALU_DEP_2) | instskip(SKIP_1) | instid1(SALU_CYCLE_1)
	v_dual_mov_b32 v130, s8 :: v_dual_fmac_f32 v134, v135, v143
	s_or_b32 s6, vcc_lo, s6
	s_and_not1_b32 exec_lo, exec_lo, s6
	s_cbranch_execnz .LBB31_233
; %bb.234:
	s_or_b32 exec_lo, exec_lo, s6
.LBB31_235:
	s_delay_alu instid0(SALU_CYCLE_1) | instskip(SKIP_3) | instid1(VALU_DEP_1)
	s_or_b32 exec_lo, exec_lo, s0
	v_and_b32_e32 v132, 7, v0
	s_mov_b32 s2, 0
	s_mov_b32 s0, exec_lo
	v_cmpx_ne_u32_e32 0, v132
	s_cbranch_execz .LBB31_239
; %bb.236:
	v_lshl_add_u32 v135, v130, 2, 0x80
	v_mov_b32_e32 v131, 0
.LBB31_237:                             ; =>This Inner Loop Header: Depth=1
	v_cmp_eq_u32_e32 vcc_lo, 1, v130
	ds_load_b32 v137, v135
	v_dual_add_nc_u32 v132, -1, v132 :: v_dual_add_nc_u32 v135, 4, v135
	v_cndmask_b32_e32 v136, v34, v35, vcc_lo
	v_cmp_eq_u32_e32 vcc_lo, 2, v130
	s_delay_alu instid0(VALU_DEP_2) | instskip(SKIP_1) | instid1(VALU_DEP_2)
	v_cndmask_b32_e32 v136, v136, v36, vcc_lo
	v_cmp_eq_u32_e32 vcc_lo, 3, v130
	v_cndmask_b32_e32 v136, v136, v37, vcc_lo
	v_cmp_eq_u32_e32 vcc_lo, 4, v130
	s_delay_alu instid0(VALU_DEP_2) | instskip(SKIP_1) | instid1(VALU_DEP_2)
	v_cndmask_b32_e32 v136, v136, v38, vcc_lo
	v_cmp_eq_u32_e32 vcc_lo, 5, v130
	;; [unrolled: 5-line block ×14, first 2 shown]
	v_cndmask_b32_e32 v136, v136, v63, vcc_lo
	v_cmp_eq_u32_e32 vcc_lo, 30, v130
	s_delay_alu instid0(VALU_DEP_2) | instskip(SKIP_2) | instid1(VALU_DEP_3)
	v_cndmask_b32_e32 v136, v136, v64, vcc_lo
	v_cmp_eq_u32_e32 vcc_lo, 31, v130
	v_add_nc_u64_e32 v[130:131], 1, v[130:131]
	v_cndmask_b32_e32 v136, v136, v65, vcc_lo
	v_cmp_eq_u32_e32 vcc_lo, 0, v132
	s_wait_dscnt 0x0
	s_delay_alu instid0(VALU_DEP_2) | instskip(SKIP_1) | instid1(SALU_CYCLE_1)
	v_fmac_f32_e32 v134, v136, v137
	s_or_b32 s2, vcc_lo, s2
	s_and_not1_b32 exec_lo, exec_lo, s2
	s_cbranch_execnz .LBB31_237
; %bb.238:
	s_or_b32 exec_lo, exec_lo, s2
.LBB31_239:
	s_delay_alu instid0(SALU_CYCLE_1)
	s_or_b32 exec_lo, exec_lo, s0
.LBB31_240:
	s_delay_alu instid0(SALU_CYCLE_1)
	s_or_b32 exec_lo, exec_lo, s5
	v_mov_b32_e32 v49, 0
	ds_load_b32 v49, v49 offset:60
	s_wait_dscnt 0x0
	v_mul_f32_e32 v49, v134, v49
.LBB31_241:
	s_or_b32 exec_lo, exec_lo, s4
	v_cmp_lt_u32_e64 s0, 14, v0
	ds_store_b32 v133, v48
	s_wait_dscnt 0x0
	s_barrier_signal -1
	s_barrier_wait -1
	s_and_saveexec_b32 s4, s0
	s_cbranch_execz .LBB31_257
; %bb.242:
	s_and_not1_b32 vcc_lo, exec_lo, s33
	s_cbranch_vccnz .LBB31_244
; %bb.243:
	v_cmp_eq_u32_e32 vcc_lo, 1, v0
	ds_load_b32 v131, v133
	v_cndmask_b32_e32 v130, v34, v35, vcc_lo
	v_cmp_eq_u32_e32 vcc_lo, 2, v0
	s_delay_alu instid0(VALU_DEP_2) | instskip(SKIP_1) | instid1(VALU_DEP_2)
	v_cndmask_b32_e32 v130, v130, v36, vcc_lo
	v_cmp_eq_u32_e32 vcc_lo, 3, v0
	v_cndmask_b32_e32 v130, v130, v37, vcc_lo
	v_cmp_eq_u32_e32 vcc_lo, 4, v0
	s_delay_alu instid0(VALU_DEP_2) | instskip(SKIP_1) | instid1(VALU_DEP_2)
	v_cndmask_b32_e32 v130, v130, v38, vcc_lo
	v_cmp_eq_u32_e32 vcc_lo, 5, v0
	;; [unrolled: 5-line block ×15, first 2 shown]
	v_cndmask_b32_e32 v130, v130, v65, vcc_lo
	s_wait_dscnt 0x0
	s_delay_alu instid0(VALU_DEP_1)
	v_mul_f32_e32 v134, v130, v131
	s_cbranch_execz .LBB31_245
	s_branch .LBB31_246
.LBB31_244:
                                        ; implicit-def: $vgpr134
.LBB31_245:
	ds_load_b32 v134, v133
.LBB31_246:
	s_and_saveexec_b32 s5, s1
	s_cbranch_execz .LBB31_256
; %bb.247:
	v_dual_add_nc_u32 v130, -16, v0 :: v_dual_add_nc_u32 v131, -15, v0
	s_delay_alu instid0(VALU_DEP_1)
	v_cmp_lt_u32_e32 vcc_lo, 6, v130
	v_mov_b32_e32 v130, 15
	s_and_saveexec_b32 s1, vcc_lo
	s_cbranch_execz .LBB31_251
; %bb.248:
	v_and_b32_e32 v130, -8, v131
	s_mov_b32 s6, 0
	s_mov_b64 s[2:3], 22
	s_movk_i32 s7, 0xbc
	s_delay_alu instid0(VALU_DEP_1)
	v_sub_nc_u32_e32 v132, 0, v130
.LBB31_249:                             ; =>This Inner Loop Header: Depth=1
	s_add_co_i32 m0, s2, -7
	v_movrels_b32_e32 v130, v34
	v_mov_b32_e32 v135, s7
	s_add_co_i32 m0, s2, -6
	s_add_co_i32 s7, s7, 32
	ds_load_2addr_b32 v[136:137], v135 offset1:1
	s_wait_dscnt 0x0
	v_fmac_f32_e32 v134, v130, v136
	v_movrels_b32_e32 v130, v34
	s_add_co_i32 m0, s2, -5
	s_delay_alu instid0(VALU_DEP_1) | instskip(SKIP_4) | instid1(VALU_DEP_1)
	v_fmac_f32_e32 v134, v130, v137
	ds_load_2addr_b32 v[136:137], v135 offset0:2 offset1:3
	v_movrels_b32_e32 v130, v34
	s_add_co_i32 m0, s2, -4
	s_wait_dscnt 0x0
	v_fmac_f32_e32 v134, v130, v136
	v_movrels_b32_e32 v130, v34
	s_add_co_i32 m0, s2, -3
	s_delay_alu instid0(VALU_DEP_1) | instskip(SKIP_4) | instid1(VALU_DEP_1)
	v_fmac_f32_e32 v134, v130, v137
	ds_load_2addr_b32 v[136:137], v135 offset0:4 offset1:5
	v_movrels_b32_e32 v130, v34
	s_add_co_i32 m0, s2, -2
	s_wait_dscnt 0x0
	v_fmac_f32_e32 v134, v130, v136
	v_movrels_b32_e32 v130, v34
	s_add_co_i32 m0, s2, -1
	s_delay_alu instid0(VALU_DEP_1) | instskip(SKIP_4) | instid1(SALU_CYCLE_1)
	v_fmac_f32_e32 v134, v130, v137
	ds_load_2addr_b32 v[136:137], v135 offset0:6 offset1:7
	v_movrels_b32_e32 v130, v34
	s_mov_b32 m0, s2
	s_add_nc_u64 s[2:3], s[2:3], 8
	s_add_co_i32 s8, s2, -7
	s_wait_dscnt 0x0
	v_fmac_f32_e32 v134, v130, v136
	v_movrels_b32_e32 v130, v34
	s_delay_alu instid0(VALU_DEP_1) | instskip(NEXT) | instid1(VALU_DEP_1)
	v_dual_fmac_f32 v134, v130, v137 :: v_dual_add_nc_u32 v130, s2, v132
	v_cmp_eq_u32_e32 vcc_lo, 22, v130
	v_mov_b32_e32 v130, s8
	s_or_b32 s6, vcc_lo, s6
	s_delay_alu instid0(SALU_CYCLE_1)
	s_and_not1_b32 exec_lo, exec_lo, s6
	s_cbranch_execnz .LBB31_249
; %bb.250:
	s_or_b32 exec_lo, exec_lo, s6
.LBB31_251:
	s_delay_alu instid0(SALU_CYCLE_1) | instskip(SKIP_3) | instid1(VALU_DEP_1)
	s_or_b32 exec_lo, exec_lo, s1
	v_and_b32_e32 v132, 7, v131
	s_mov_b32 s2, 0
	s_mov_b32 s1, exec_lo
	v_cmpx_ne_u32_e32 0, v132
	s_cbranch_execz .LBB31_255
; %bb.252:
	v_lshl_add_u32 v135, v130, 2, 0x80
	v_mov_b32_e32 v131, 0
.LBB31_253:                             ; =>This Inner Loop Header: Depth=1
	v_cmp_eq_u32_e32 vcc_lo, 1, v130
	ds_load_b32 v137, v135
	v_dual_add_nc_u32 v132, -1, v132 :: v_dual_add_nc_u32 v135, 4, v135
	v_cndmask_b32_e32 v136, v34, v35, vcc_lo
	v_cmp_eq_u32_e32 vcc_lo, 2, v130
	s_delay_alu instid0(VALU_DEP_2) | instskip(SKIP_1) | instid1(VALU_DEP_2)
	v_cndmask_b32_e32 v136, v136, v36, vcc_lo
	v_cmp_eq_u32_e32 vcc_lo, 3, v130
	v_cndmask_b32_e32 v136, v136, v37, vcc_lo
	v_cmp_eq_u32_e32 vcc_lo, 4, v130
	s_delay_alu instid0(VALU_DEP_2) | instskip(SKIP_1) | instid1(VALU_DEP_2)
	v_cndmask_b32_e32 v136, v136, v38, vcc_lo
	v_cmp_eq_u32_e32 vcc_lo, 5, v130
	;; [unrolled: 5-line block ×14, first 2 shown]
	v_cndmask_b32_e32 v136, v136, v63, vcc_lo
	v_cmp_eq_u32_e32 vcc_lo, 30, v130
	s_delay_alu instid0(VALU_DEP_2) | instskip(SKIP_2) | instid1(VALU_DEP_3)
	v_cndmask_b32_e32 v136, v136, v64, vcc_lo
	v_cmp_eq_u32_e32 vcc_lo, 31, v130
	v_add_nc_u64_e32 v[130:131], 1, v[130:131]
	v_cndmask_b32_e32 v136, v136, v65, vcc_lo
	v_cmp_eq_u32_e32 vcc_lo, 0, v132
	s_wait_dscnt 0x0
	s_delay_alu instid0(VALU_DEP_2) | instskip(SKIP_1) | instid1(SALU_CYCLE_1)
	v_fmac_f32_e32 v134, v136, v137
	s_or_b32 s2, vcc_lo, s2
	s_and_not1_b32 exec_lo, exec_lo, s2
	s_cbranch_execnz .LBB31_253
; %bb.254:
	s_or_b32 exec_lo, exec_lo, s2
.LBB31_255:
	s_delay_alu instid0(SALU_CYCLE_1)
	s_or_b32 exec_lo, exec_lo, s1
.LBB31_256:
	s_delay_alu instid0(SALU_CYCLE_1)
	s_or_b32 exec_lo, exec_lo, s5
	v_mov_b32_e32 v48, 0
	ds_load_b32 v48, v48 offset:56
	s_wait_dscnt 0x0
	v_mul_f32_e32 v48, v134, v48
.LBB31_257:
	s_or_b32 exec_lo, exec_lo, s4
	v_cmp_lt_u32_e64 s1, 13, v0
	ds_store_b32 v133, v47
	s_wait_dscnt 0x0
	s_barrier_signal -1
	s_barrier_wait -1
	s_and_saveexec_b32 s4, s1
	s_cbranch_execz .LBB31_273
; %bb.258:
	s_and_not1_b32 vcc_lo, exec_lo, s33
	s_cbranch_vccnz .LBB31_260
; %bb.259:
	v_cmp_eq_u32_e32 vcc_lo, 1, v0
	ds_load_b32 v131, v133
	v_cndmask_b32_e32 v130, v34, v35, vcc_lo
	v_cmp_eq_u32_e32 vcc_lo, 2, v0
	s_delay_alu instid0(VALU_DEP_2) | instskip(SKIP_1) | instid1(VALU_DEP_2)
	v_cndmask_b32_e32 v130, v130, v36, vcc_lo
	v_cmp_eq_u32_e32 vcc_lo, 3, v0
	v_cndmask_b32_e32 v130, v130, v37, vcc_lo
	v_cmp_eq_u32_e32 vcc_lo, 4, v0
	s_delay_alu instid0(VALU_DEP_2) | instskip(SKIP_1) | instid1(VALU_DEP_2)
	v_cndmask_b32_e32 v130, v130, v38, vcc_lo
	v_cmp_eq_u32_e32 vcc_lo, 5, v0
	;; [unrolled: 5-line block ×15, first 2 shown]
	v_cndmask_b32_e32 v130, v130, v65, vcc_lo
	s_wait_dscnt 0x0
	s_delay_alu instid0(VALU_DEP_1)
	v_mul_f32_e32 v134, v130, v131
	s_cbranch_execz .LBB31_261
	s_branch .LBB31_262
.LBB31_260:
                                        ; implicit-def: $vgpr134
.LBB31_261:
	ds_load_b32 v134, v133
.LBB31_262:
	s_and_saveexec_b32 s5, s0
	s_cbranch_execz .LBB31_272
; %bb.263:
	v_dual_add_nc_u32 v130, -15, v0 :: v_dual_add_nc_u32 v131, -14, v0
	s_delay_alu instid0(VALU_DEP_1)
	v_cmp_lt_u32_e32 vcc_lo, 6, v130
	v_mov_b32_e32 v130, 14
	s_and_saveexec_b32 s0, vcc_lo
	s_cbranch_execz .LBB31_267
; %bb.264:
	v_and_b32_e32 v130, -8, v131
	s_mov_b32 s6, 0
	s_mov_b64 s[2:3], 21
	s_movk_i32 s7, 0xb8
	s_delay_alu instid0(VALU_DEP_1)
	v_sub_nc_u32_e32 v132, 0, v130
.LBB31_265:                             ; =>This Inner Loop Header: Depth=1
	s_add_co_i32 m0, s2, -7
	v_movrels_b32_e32 v130, v34
	v_mov_b32_e32 v135, s7
	s_add_co_i32 m0, s2, -6
	s_add_co_i32 s7, s7, 32
	ds_load_2addr_b64 v[136:139], v135 offset1:1
	s_wait_dscnt 0x0
	v_fmac_f32_e32 v134, v130, v136
	v_movrels_b32_e32 v130, v34
	s_add_co_i32 m0, s2, -5
	s_delay_alu instid0(VALU_DEP_1) | instskip(SKIP_2) | instid1(VALU_DEP_1)
	v_fmac_f32_e32 v134, v130, v137
	v_movrels_b32_e32 v130, v34
	s_add_co_i32 m0, s2, -4
	v_fmac_f32_e32 v134, v130, v138
	v_movrels_b32_e32 v130, v34
	s_add_co_i32 m0, s2, -3
	s_delay_alu instid0(VALU_DEP_1) | instskip(SKIP_4) | instid1(VALU_DEP_1)
	v_fmac_f32_e32 v134, v130, v139
	ds_load_2addr_b64 v[136:139], v135 offset0:2 offset1:3
	v_movrels_b32_e32 v130, v34
	s_add_co_i32 m0, s2, -2
	s_wait_dscnt 0x0
	v_fmac_f32_e32 v134, v130, v136
	v_movrels_b32_e32 v130, v34
	s_add_co_i32 m0, s2, -1
	s_delay_alu instid0(VALU_DEP_1) | instskip(SKIP_3) | instid1(SALU_CYCLE_1)
	v_fmac_f32_e32 v134, v130, v137
	v_movrels_b32_e32 v130, v34
	s_mov_b32 m0, s2
	s_add_nc_u64 s[2:3], s[2:3], 8
	s_add_co_i32 s8, s2, -7
	s_delay_alu instid0(VALU_DEP_1) | instskip(SKIP_1) | instid1(VALU_DEP_1)
	v_fmac_f32_e32 v134, v130, v138
	v_movrels_b32_e32 v130, v34
	v_dual_fmac_f32 v134, v130, v139 :: v_dual_add_nc_u32 v130, s2, v132
	s_delay_alu instid0(VALU_DEP_1) | instskip(SKIP_2) | instid1(SALU_CYCLE_1)
	v_cmp_eq_u32_e32 vcc_lo, 21, v130
	v_mov_b32_e32 v130, s8
	s_or_b32 s6, vcc_lo, s6
	s_and_not1_b32 exec_lo, exec_lo, s6
	s_cbranch_execnz .LBB31_265
; %bb.266:
	s_or_b32 exec_lo, exec_lo, s6
.LBB31_267:
	s_delay_alu instid0(SALU_CYCLE_1) | instskip(SKIP_3) | instid1(VALU_DEP_1)
	s_or_b32 exec_lo, exec_lo, s0
	v_and_b32_e32 v132, 7, v131
	s_mov_b32 s2, 0
	s_mov_b32 s0, exec_lo
	v_cmpx_ne_u32_e32 0, v132
	s_cbranch_execz .LBB31_271
; %bb.268:
	v_lshl_add_u32 v135, v130, 2, 0x80
	v_mov_b32_e32 v131, 0
.LBB31_269:                             ; =>This Inner Loop Header: Depth=1
	v_cmp_eq_u32_e32 vcc_lo, 1, v130
	ds_load_b32 v137, v135
	v_dual_add_nc_u32 v132, -1, v132 :: v_dual_add_nc_u32 v135, 4, v135
	v_cndmask_b32_e32 v136, v34, v35, vcc_lo
	v_cmp_eq_u32_e32 vcc_lo, 2, v130
	s_delay_alu instid0(VALU_DEP_2) | instskip(SKIP_1) | instid1(VALU_DEP_2)
	v_cndmask_b32_e32 v136, v136, v36, vcc_lo
	v_cmp_eq_u32_e32 vcc_lo, 3, v130
	v_cndmask_b32_e32 v136, v136, v37, vcc_lo
	v_cmp_eq_u32_e32 vcc_lo, 4, v130
	s_delay_alu instid0(VALU_DEP_2) | instskip(SKIP_1) | instid1(VALU_DEP_2)
	v_cndmask_b32_e32 v136, v136, v38, vcc_lo
	v_cmp_eq_u32_e32 vcc_lo, 5, v130
	;; [unrolled: 5-line block ×14, first 2 shown]
	v_cndmask_b32_e32 v136, v136, v63, vcc_lo
	v_cmp_eq_u32_e32 vcc_lo, 30, v130
	s_delay_alu instid0(VALU_DEP_2) | instskip(SKIP_2) | instid1(VALU_DEP_3)
	v_cndmask_b32_e32 v136, v136, v64, vcc_lo
	v_cmp_eq_u32_e32 vcc_lo, 31, v130
	v_add_nc_u64_e32 v[130:131], 1, v[130:131]
	v_cndmask_b32_e32 v136, v136, v65, vcc_lo
	v_cmp_eq_u32_e32 vcc_lo, 0, v132
	s_wait_dscnt 0x0
	s_delay_alu instid0(VALU_DEP_2) | instskip(SKIP_1) | instid1(SALU_CYCLE_1)
	v_fmac_f32_e32 v134, v136, v137
	s_or_b32 s2, vcc_lo, s2
	s_and_not1_b32 exec_lo, exec_lo, s2
	s_cbranch_execnz .LBB31_269
; %bb.270:
	s_or_b32 exec_lo, exec_lo, s2
.LBB31_271:
	s_delay_alu instid0(SALU_CYCLE_1)
	s_or_b32 exec_lo, exec_lo, s0
.LBB31_272:
	s_delay_alu instid0(SALU_CYCLE_1)
	s_or_b32 exec_lo, exec_lo, s5
	v_mov_b32_e32 v47, 0
	ds_load_b32 v47, v47 offset:52
	s_wait_dscnt 0x0
	v_mul_f32_e32 v47, v134, v47
.LBB31_273:
	s_or_b32 exec_lo, exec_lo, s4
	v_cmp_lt_u32_e64 s0, 12, v0
	ds_store_b32 v133, v46
	s_wait_dscnt 0x0
	s_barrier_signal -1
	s_barrier_wait -1
	s_and_saveexec_b32 s4, s0
	s_cbranch_execz .LBB31_289
; %bb.274:
	s_and_not1_b32 vcc_lo, exec_lo, s33
	s_cbranch_vccnz .LBB31_276
; %bb.275:
	v_cmp_eq_u32_e32 vcc_lo, 1, v0
	ds_load_b32 v131, v133
	v_cndmask_b32_e32 v130, v34, v35, vcc_lo
	v_cmp_eq_u32_e32 vcc_lo, 2, v0
	s_delay_alu instid0(VALU_DEP_2) | instskip(SKIP_1) | instid1(VALU_DEP_2)
	v_cndmask_b32_e32 v130, v130, v36, vcc_lo
	v_cmp_eq_u32_e32 vcc_lo, 3, v0
	v_cndmask_b32_e32 v130, v130, v37, vcc_lo
	v_cmp_eq_u32_e32 vcc_lo, 4, v0
	s_delay_alu instid0(VALU_DEP_2) | instskip(SKIP_1) | instid1(VALU_DEP_2)
	v_cndmask_b32_e32 v130, v130, v38, vcc_lo
	v_cmp_eq_u32_e32 vcc_lo, 5, v0
	v_cndmask_b32_e32 v130, v130, v39, vcc_lo
	v_cmp_eq_u32_e32 vcc_lo, 6, v0
	s_delay_alu instid0(VALU_DEP_2) | instskip(SKIP_1) | instid1(VALU_DEP_2)
	v_cndmask_b32_e32 v130, v130, v40, vcc_lo
	v_cmp_eq_u32_e32 vcc_lo, 7, v0
	v_cndmask_b32_e32 v130, v130, v41, vcc_lo
	v_cmp_eq_u32_e32 vcc_lo, 8, v0
	s_delay_alu instid0(VALU_DEP_2) | instskip(SKIP_1) | instid1(VALU_DEP_2)
	v_cndmask_b32_e32 v130, v130, v42, vcc_lo
	v_cmp_eq_u32_e32 vcc_lo, 9, v0
	v_cndmask_b32_e32 v130, v130, v43, vcc_lo
	v_cmp_eq_u32_e32 vcc_lo, 10, v0
	s_delay_alu instid0(VALU_DEP_2) | instskip(SKIP_1) | instid1(VALU_DEP_2)
	v_cndmask_b32_e32 v130, v130, v44, vcc_lo
	v_cmp_eq_u32_e32 vcc_lo, 11, v0
	v_cndmask_b32_e32 v130, v130, v45, vcc_lo
	v_cmp_eq_u32_e32 vcc_lo, 12, v0
	s_delay_alu instid0(VALU_DEP_2) | instskip(SKIP_1) | instid1(VALU_DEP_2)
	v_cndmask_b32_e32 v130, v130, v46, vcc_lo
	v_cmp_eq_u32_e32 vcc_lo, 13, v0
	v_cndmask_b32_e32 v130, v130, v47, vcc_lo
	v_cmp_eq_u32_e32 vcc_lo, 14, v0
	s_delay_alu instid0(VALU_DEP_2) | instskip(SKIP_1) | instid1(VALU_DEP_2)
	v_cndmask_b32_e32 v130, v130, v48, vcc_lo
	v_cmp_eq_u32_e32 vcc_lo, 15, v0
	v_cndmask_b32_e32 v130, v130, v49, vcc_lo
	v_cmp_eq_u32_e32 vcc_lo, 16, v0
	s_delay_alu instid0(VALU_DEP_2) | instskip(SKIP_1) | instid1(VALU_DEP_2)
	v_cndmask_b32_e32 v130, v130, v50, vcc_lo
	v_cmp_eq_u32_e32 vcc_lo, 17, v0
	v_cndmask_b32_e32 v130, v130, v51, vcc_lo
	v_cmp_eq_u32_e32 vcc_lo, 18, v0
	s_delay_alu instid0(VALU_DEP_2) | instskip(SKIP_1) | instid1(VALU_DEP_2)
	v_cndmask_b32_e32 v130, v130, v52, vcc_lo
	v_cmp_eq_u32_e32 vcc_lo, 19, v0
	v_cndmask_b32_e32 v130, v130, v53, vcc_lo
	v_cmp_eq_u32_e32 vcc_lo, 20, v0
	s_delay_alu instid0(VALU_DEP_2) | instskip(SKIP_1) | instid1(VALU_DEP_2)
	v_cndmask_b32_e32 v130, v130, v54, vcc_lo
	v_cmp_eq_u32_e32 vcc_lo, 21, v0
	v_cndmask_b32_e32 v130, v130, v55, vcc_lo
	v_cmp_eq_u32_e32 vcc_lo, 22, v0
	s_delay_alu instid0(VALU_DEP_2) | instskip(SKIP_1) | instid1(VALU_DEP_2)
	v_cndmask_b32_e32 v130, v130, v56, vcc_lo
	v_cmp_eq_u32_e32 vcc_lo, 23, v0
	v_cndmask_b32_e32 v130, v130, v57, vcc_lo
	v_cmp_eq_u32_e32 vcc_lo, 24, v0
	s_delay_alu instid0(VALU_DEP_2) | instskip(SKIP_1) | instid1(VALU_DEP_2)
	v_cndmask_b32_e32 v130, v130, v58, vcc_lo
	v_cmp_eq_u32_e32 vcc_lo, 25, v0
	v_cndmask_b32_e32 v130, v130, v59, vcc_lo
	v_cmp_eq_u32_e32 vcc_lo, 26, v0
	s_delay_alu instid0(VALU_DEP_2) | instskip(SKIP_1) | instid1(VALU_DEP_2)
	v_cndmask_b32_e32 v130, v130, v60, vcc_lo
	v_cmp_eq_u32_e32 vcc_lo, 27, v0
	v_cndmask_b32_e32 v130, v130, v61, vcc_lo
	v_cmp_eq_u32_e32 vcc_lo, 28, v0
	s_delay_alu instid0(VALU_DEP_2) | instskip(SKIP_1) | instid1(VALU_DEP_2)
	v_cndmask_b32_e32 v130, v130, v62, vcc_lo
	v_cmp_eq_u32_e32 vcc_lo, 29, v0
	v_cndmask_b32_e32 v130, v130, v63, vcc_lo
	v_cmp_eq_u32_e32 vcc_lo, 30, v0
	s_delay_alu instid0(VALU_DEP_2) | instskip(SKIP_1) | instid1(VALU_DEP_2)
	v_cndmask_b32_e32 v130, v130, v64, vcc_lo
	v_cmp_eq_u32_e32 vcc_lo, 31, v0
	v_cndmask_b32_e32 v130, v130, v65, vcc_lo
	s_wait_dscnt 0x0
	s_delay_alu instid0(VALU_DEP_1)
	v_mul_f32_e32 v134, v130, v131
	s_cbranch_execz .LBB31_277
	s_branch .LBB31_278
.LBB31_276:
                                        ; implicit-def: $vgpr134
.LBB31_277:
	ds_load_b32 v134, v133
.LBB31_278:
	s_and_saveexec_b32 s5, s1
	s_cbranch_execz .LBB31_288
; %bb.279:
	v_dual_add_nc_u32 v130, -14, v0 :: v_dual_add_nc_u32 v131, -13, v0
	s_delay_alu instid0(VALU_DEP_1)
	v_cmp_lt_u32_e32 vcc_lo, 6, v130
	v_mov_b32_e32 v130, 13
	s_and_saveexec_b32 s1, vcc_lo
	s_cbranch_execz .LBB31_283
; %bb.280:
	v_and_b32_e32 v130, -8, v131
	s_mov_b32 s6, 0
	s_mov_b64 s[2:3], 20
	s_movk_i32 s7, 0xb4
	s_delay_alu instid0(VALU_DEP_1)
	v_sub_nc_u32_e32 v132, 0, v130
.LBB31_281:                             ; =>This Inner Loop Header: Depth=1
	s_add_co_i32 m0, s2, -7
	v_movrels_b32_e32 v130, v34
	v_mov_b32_e32 v135, s7
	s_add_co_i32 m0, s2, -6
	s_add_co_i32 s7, s7, 32
	ds_load_2addr_b32 v[136:137], v135 offset1:1
	s_wait_dscnt 0x0
	v_fmac_f32_e32 v134, v130, v136
	v_movrels_b32_e32 v130, v34
	s_add_co_i32 m0, s2, -5
	s_delay_alu instid0(VALU_DEP_1) | instskip(SKIP_4) | instid1(VALU_DEP_1)
	v_fmac_f32_e32 v134, v130, v137
	ds_load_2addr_b32 v[136:137], v135 offset0:2 offset1:3
	v_movrels_b32_e32 v130, v34
	s_add_co_i32 m0, s2, -4
	s_wait_dscnt 0x0
	v_fmac_f32_e32 v134, v130, v136
	v_movrels_b32_e32 v130, v34
	s_add_co_i32 m0, s2, -3
	s_delay_alu instid0(VALU_DEP_1) | instskip(SKIP_4) | instid1(VALU_DEP_1)
	v_fmac_f32_e32 v134, v130, v137
	ds_load_2addr_b32 v[136:137], v135 offset0:4 offset1:5
	v_movrels_b32_e32 v130, v34
	s_add_co_i32 m0, s2, -2
	s_wait_dscnt 0x0
	v_fmac_f32_e32 v134, v130, v136
	v_movrels_b32_e32 v130, v34
	s_add_co_i32 m0, s2, -1
	s_delay_alu instid0(VALU_DEP_1) | instskip(SKIP_4) | instid1(SALU_CYCLE_1)
	v_fmac_f32_e32 v134, v130, v137
	ds_load_2addr_b32 v[136:137], v135 offset0:6 offset1:7
	v_movrels_b32_e32 v130, v34
	s_mov_b32 m0, s2
	s_add_nc_u64 s[2:3], s[2:3], 8
	s_add_co_i32 s8, s2, -7
	s_wait_dscnt 0x0
	v_fmac_f32_e32 v134, v130, v136
	v_movrels_b32_e32 v130, v34
	s_delay_alu instid0(VALU_DEP_1) | instskip(NEXT) | instid1(VALU_DEP_1)
	v_dual_fmac_f32 v134, v130, v137 :: v_dual_add_nc_u32 v130, s2, v132
	v_cmp_eq_u32_e32 vcc_lo, 20, v130
	v_mov_b32_e32 v130, s8
	s_or_b32 s6, vcc_lo, s6
	s_delay_alu instid0(SALU_CYCLE_1)
	s_and_not1_b32 exec_lo, exec_lo, s6
	s_cbranch_execnz .LBB31_281
; %bb.282:
	s_or_b32 exec_lo, exec_lo, s6
.LBB31_283:
	s_delay_alu instid0(SALU_CYCLE_1) | instskip(SKIP_3) | instid1(VALU_DEP_1)
	s_or_b32 exec_lo, exec_lo, s1
	v_and_b32_e32 v132, 7, v131
	s_mov_b32 s2, 0
	s_mov_b32 s1, exec_lo
	v_cmpx_ne_u32_e32 0, v132
	s_cbranch_execz .LBB31_287
; %bb.284:
	v_lshl_add_u32 v135, v130, 2, 0x80
	v_mov_b32_e32 v131, 0
.LBB31_285:                             ; =>This Inner Loop Header: Depth=1
	v_cmp_eq_u32_e32 vcc_lo, 1, v130
	ds_load_b32 v137, v135
	v_dual_add_nc_u32 v132, -1, v132 :: v_dual_add_nc_u32 v135, 4, v135
	v_cndmask_b32_e32 v136, v34, v35, vcc_lo
	v_cmp_eq_u32_e32 vcc_lo, 2, v130
	s_delay_alu instid0(VALU_DEP_2) | instskip(SKIP_1) | instid1(VALU_DEP_2)
	v_cndmask_b32_e32 v136, v136, v36, vcc_lo
	v_cmp_eq_u32_e32 vcc_lo, 3, v130
	v_cndmask_b32_e32 v136, v136, v37, vcc_lo
	v_cmp_eq_u32_e32 vcc_lo, 4, v130
	s_delay_alu instid0(VALU_DEP_2) | instskip(SKIP_1) | instid1(VALU_DEP_2)
	v_cndmask_b32_e32 v136, v136, v38, vcc_lo
	v_cmp_eq_u32_e32 vcc_lo, 5, v130
	;; [unrolled: 5-line block ×14, first 2 shown]
	v_cndmask_b32_e32 v136, v136, v63, vcc_lo
	v_cmp_eq_u32_e32 vcc_lo, 30, v130
	s_delay_alu instid0(VALU_DEP_2) | instskip(SKIP_2) | instid1(VALU_DEP_3)
	v_cndmask_b32_e32 v136, v136, v64, vcc_lo
	v_cmp_eq_u32_e32 vcc_lo, 31, v130
	v_add_nc_u64_e32 v[130:131], 1, v[130:131]
	v_cndmask_b32_e32 v136, v136, v65, vcc_lo
	v_cmp_eq_u32_e32 vcc_lo, 0, v132
	s_wait_dscnt 0x0
	s_delay_alu instid0(VALU_DEP_2) | instskip(SKIP_1) | instid1(SALU_CYCLE_1)
	v_fmac_f32_e32 v134, v136, v137
	s_or_b32 s2, vcc_lo, s2
	s_and_not1_b32 exec_lo, exec_lo, s2
	s_cbranch_execnz .LBB31_285
; %bb.286:
	s_or_b32 exec_lo, exec_lo, s2
.LBB31_287:
	s_delay_alu instid0(SALU_CYCLE_1)
	s_or_b32 exec_lo, exec_lo, s1
.LBB31_288:
	s_delay_alu instid0(SALU_CYCLE_1)
	s_or_b32 exec_lo, exec_lo, s5
	v_mov_b32_e32 v46, 0
	ds_load_b32 v46, v46 offset:48
	s_wait_dscnt 0x0
	v_mul_f32_e32 v46, v134, v46
.LBB31_289:
	s_or_b32 exec_lo, exec_lo, s4
	v_cmp_lt_u32_e64 s1, 11, v0
	ds_store_b32 v133, v45
	s_wait_dscnt 0x0
	s_barrier_signal -1
	s_barrier_wait -1
	s_and_saveexec_b32 s4, s1
	s_cbranch_execz .LBB31_305
; %bb.290:
	s_and_not1_b32 vcc_lo, exec_lo, s33
	s_cbranch_vccnz .LBB31_292
; %bb.291:
	v_cmp_eq_u32_e32 vcc_lo, 1, v0
	ds_load_b32 v131, v133
	v_cndmask_b32_e32 v130, v34, v35, vcc_lo
	v_cmp_eq_u32_e32 vcc_lo, 2, v0
	s_delay_alu instid0(VALU_DEP_2) | instskip(SKIP_1) | instid1(VALU_DEP_2)
	v_cndmask_b32_e32 v130, v130, v36, vcc_lo
	v_cmp_eq_u32_e32 vcc_lo, 3, v0
	v_cndmask_b32_e32 v130, v130, v37, vcc_lo
	v_cmp_eq_u32_e32 vcc_lo, 4, v0
	s_delay_alu instid0(VALU_DEP_2) | instskip(SKIP_1) | instid1(VALU_DEP_2)
	v_cndmask_b32_e32 v130, v130, v38, vcc_lo
	v_cmp_eq_u32_e32 vcc_lo, 5, v0
	;; [unrolled: 5-line block ×15, first 2 shown]
	v_cndmask_b32_e32 v130, v130, v65, vcc_lo
	s_wait_dscnt 0x0
	s_delay_alu instid0(VALU_DEP_1)
	v_mul_f32_e32 v134, v130, v131
	s_cbranch_execz .LBB31_293
	s_branch .LBB31_294
.LBB31_292:
                                        ; implicit-def: $vgpr134
.LBB31_293:
	ds_load_b32 v134, v133
.LBB31_294:
	s_and_saveexec_b32 s5, s0
	s_cbranch_execz .LBB31_304
; %bb.295:
	v_dual_add_nc_u32 v130, -13, v0 :: v_dual_add_nc_u32 v131, -12, v0
	s_delay_alu instid0(VALU_DEP_1)
	v_cmp_lt_u32_e32 vcc_lo, 6, v130
	v_mov_b32_e32 v130, 12
	s_and_saveexec_b32 s0, vcc_lo
	s_cbranch_execz .LBB31_299
; %bb.296:
	v_and_b32_e32 v130, -8, v131
	s_mov_b32 s6, 0
	s_mov_b64 s[2:3], 19
	s_movk_i32 s7, 0xb0
	s_delay_alu instid0(VALU_DEP_1)
	v_sub_nc_u32_e32 v132, 0, v130
.LBB31_297:                             ; =>This Inner Loop Header: Depth=1
	s_add_co_i32 m0, s2, -7
	v_movrels_b32_e32 v130, v34
	v_mov_b32_e32 v135, s7
	s_add_co_i32 m0, s2, -6
	s_add_co_i32 s7, s7, 32
	ds_load_b128 v[136:139], v135
	ds_load_b128 v[140:143], v135 offset:16
	s_wait_dscnt 0x1
	v_fmac_f32_e32 v134, v130, v136
	v_movrels_b32_e32 v130, v34
	s_add_co_i32 m0, s2, -5
	s_delay_alu instid0(VALU_DEP_1) | instskip(SKIP_2) | instid1(VALU_DEP_1)
	v_fmac_f32_e32 v134, v130, v137
	v_movrels_b32_e32 v130, v34
	s_add_co_i32 m0, s2, -4
	v_fmac_f32_e32 v134, v130, v138
	v_movrels_b32_e32 v130, v34
	s_add_co_i32 m0, s2, -3
	s_delay_alu instid0(VALU_DEP_1) | instskip(SKIP_3) | instid1(VALU_DEP_1)
	v_fmac_f32_e32 v134, v130, v139
	v_movrels_b32_e32 v130, v34
	s_add_co_i32 m0, s2, -2
	s_wait_dscnt 0x0
	v_fmac_f32_e32 v134, v130, v140
	v_movrels_b32_e32 v130, v34
	s_add_co_i32 m0, s2, -1
	s_delay_alu instid0(VALU_DEP_1) | instskip(SKIP_3) | instid1(SALU_CYCLE_1)
	v_fmac_f32_e32 v134, v130, v141
	v_movrels_b32_e32 v130, v34
	s_mov_b32 m0, s2
	s_add_nc_u64 s[2:3], s[2:3], 8
	s_add_co_i32 s8, s2, -7
	s_delay_alu instid0(VALU_DEP_1) | instskip(SKIP_1) | instid1(VALU_DEP_1)
	v_fmac_f32_e32 v134, v130, v142
	v_movrels_b32_e32 v130, v34
	v_dual_fmac_f32 v134, v130, v143 :: v_dual_add_nc_u32 v130, s2, v132
	s_delay_alu instid0(VALU_DEP_1) | instskip(SKIP_2) | instid1(SALU_CYCLE_1)
	v_cmp_eq_u32_e32 vcc_lo, 19, v130
	v_mov_b32_e32 v130, s8
	s_or_b32 s6, vcc_lo, s6
	s_and_not1_b32 exec_lo, exec_lo, s6
	s_cbranch_execnz .LBB31_297
; %bb.298:
	s_or_b32 exec_lo, exec_lo, s6
.LBB31_299:
	s_delay_alu instid0(SALU_CYCLE_1) | instskip(SKIP_3) | instid1(VALU_DEP_1)
	s_or_b32 exec_lo, exec_lo, s0
	v_and_b32_e32 v132, 7, v131
	s_mov_b32 s2, 0
	s_mov_b32 s0, exec_lo
	v_cmpx_ne_u32_e32 0, v132
	s_cbranch_execz .LBB31_303
; %bb.300:
	v_lshl_add_u32 v135, v130, 2, 0x80
	v_mov_b32_e32 v131, 0
.LBB31_301:                             ; =>This Inner Loop Header: Depth=1
	v_cmp_eq_u32_e32 vcc_lo, 1, v130
	ds_load_b32 v137, v135
	v_dual_add_nc_u32 v132, -1, v132 :: v_dual_add_nc_u32 v135, 4, v135
	v_cndmask_b32_e32 v136, v34, v35, vcc_lo
	v_cmp_eq_u32_e32 vcc_lo, 2, v130
	s_delay_alu instid0(VALU_DEP_2) | instskip(SKIP_1) | instid1(VALU_DEP_2)
	v_cndmask_b32_e32 v136, v136, v36, vcc_lo
	v_cmp_eq_u32_e32 vcc_lo, 3, v130
	v_cndmask_b32_e32 v136, v136, v37, vcc_lo
	v_cmp_eq_u32_e32 vcc_lo, 4, v130
	s_delay_alu instid0(VALU_DEP_2) | instskip(SKIP_1) | instid1(VALU_DEP_2)
	v_cndmask_b32_e32 v136, v136, v38, vcc_lo
	v_cmp_eq_u32_e32 vcc_lo, 5, v130
	;; [unrolled: 5-line block ×14, first 2 shown]
	v_cndmask_b32_e32 v136, v136, v63, vcc_lo
	v_cmp_eq_u32_e32 vcc_lo, 30, v130
	s_delay_alu instid0(VALU_DEP_2) | instskip(SKIP_2) | instid1(VALU_DEP_3)
	v_cndmask_b32_e32 v136, v136, v64, vcc_lo
	v_cmp_eq_u32_e32 vcc_lo, 31, v130
	v_add_nc_u64_e32 v[130:131], 1, v[130:131]
	v_cndmask_b32_e32 v136, v136, v65, vcc_lo
	v_cmp_eq_u32_e32 vcc_lo, 0, v132
	s_wait_dscnt 0x0
	s_delay_alu instid0(VALU_DEP_2) | instskip(SKIP_1) | instid1(SALU_CYCLE_1)
	v_fmac_f32_e32 v134, v136, v137
	s_or_b32 s2, vcc_lo, s2
	s_and_not1_b32 exec_lo, exec_lo, s2
	s_cbranch_execnz .LBB31_301
; %bb.302:
	s_or_b32 exec_lo, exec_lo, s2
.LBB31_303:
	s_delay_alu instid0(SALU_CYCLE_1)
	s_or_b32 exec_lo, exec_lo, s0
.LBB31_304:
	s_delay_alu instid0(SALU_CYCLE_1)
	s_or_b32 exec_lo, exec_lo, s5
	v_mov_b32_e32 v45, 0
	ds_load_b32 v45, v45 offset:44
	s_wait_dscnt 0x0
	v_mul_f32_e32 v45, v134, v45
.LBB31_305:
	s_or_b32 exec_lo, exec_lo, s4
	v_cmp_lt_u32_e64 s0, 10, v0
	ds_store_b32 v133, v44
	s_wait_dscnt 0x0
	s_barrier_signal -1
	s_barrier_wait -1
	s_and_saveexec_b32 s4, s0
	s_cbranch_execz .LBB31_321
; %bb.306:
	s_and_not1_b32 vcc_lo, exec_lo, s33
	s_cbranch_vccnz .LBB31_308
; %bb.307:
	v_cmp_eq_u32_e32 vcc_lo, 1, v0
	ds_load_b32 v131, v133
	v_cndmask_b32_e32 v130, v34, v35, vcc_lo
	v_cmp_eq_u32_e32 vcc_lo, 2, v0
	s_delay_alu instid0(VALU_DEP_2) | instskip(SKIP_1) | instid1(VALU_DEP_2)
	v_cndmask_b32_e32 v130, v130, v36, vcc_lo
	v_cmp_eq_u32_e32 vcc_lo, 3, v0
	v_cndmask_b32_e32 v130, v130, v37, vcc_lo
	v_cmp_eq_u32_e32 vcc_lo, 4, v0
	s_delay_alu instid0(VALU_DEP_2) | instskip(SKIP_1) | instid1(VALU_DEP_2)
	v_cndmask_b32_e32 v130, v130, v38, vcc_lo
	v_cmp_eq_u32_e32 vcc_lo, 5, v0
	;; [unrolled: 5-line block ×15, first 2 shown]
	v_cndmask_b32_e32 v130, v130, v65, vcc_lo
	s_wait_dscnt 0x0
	s_delay_alu instid0(VALU_DEP_1)
	v_mul_f32_e32 v134, v130, v131
	s_cbranch_execz .LBB31_309
	s_branch .LBB31_310
.LBB31_308:
                                        ; implicit-def: $vgpr134
.LBB31_309:
	ds_load_b32 v134, v133
.LBB31_310:
	s_and_saveexec_b32 s5, s1
	s_cbranch_execz .LBB31_320
; %bb.311:
	v_dual_add_nc_u32 v130, -12, v0 :: v_dual_add_nc_u32 v131, -11, v0
	s_delay_alu instid0(VALU_DEP_1)
	v_cmp_lt_u32_e32 vcc_lo, 6, v130
	v_mov_b32_e32 v130, 11
	s_and_saveexec_b32 s1, vcc_lo
	s_cbranch_execz .LBB31_315
; %bb.312:
	v_and_b32_e32 v130, -8, v131
	s_mov_b32 s6, 0
	s_mov_b64 s[2:3], 18
	s_movk_i32 s7, 0xac
	s_delay_alu instid0(VALU_DEP_1)
	v_sub_nc_u32_e32 v132, 0, v130
.LBB31_313:                             ; =>This Inner Loop Header: Depth=1
	s_add_co_i32 m0, s2, -7
	v_movrels_b32_e32 v130, v34
	v_mov_b32_e32 v135, s7
	s_add_co_i32 m0, s2, -6
	s_add_co_i32 s7, s7, 32
	ds_load_2addr_b32 v[136:137], v135 offset1:1
	s_wait_dscnt 0x0
	v_fmac_f32_e32 v134, v130, v136
	v_movrels_b32_e32 v130, v34
	s_add_co_i32 m0, s2, -5
	s_delay_alu instid0(VALU_DEP_1) | instskip(SKIP_4) | instid1(VALU_DEP_1)
	v_fmac_f32_e32 v134, v130, v137
	ds_load_2addr_b32 v[136:137], v135 offset0:2 offset1:3
	v_movrels_b32_e32 v130, v34
	s_add_co_i32 m0, s2, -4
	s_wait_dscnt 0x0
	v_fmac_f32_e32 v134, v130, v136
	v_movrels_b32_e32 v130, v34
	s_add_co_i32 m0, s2, -3
	s_delay_alu instid0(VALU_DEP_1) | instskip(SKIP_4) | instid1(VALU_DEP_1)
	v_fmac_f32_e32 v134, v130, v137
	ds_load_2addr_b32 v[136:137], v135 offset0:4 offset1:5
	v_movrels_b32_e32 v130, v34
	s_add_co_i32 m0, s2, -2
	s_wait_dscnt 0x0
	v_fmac_f32_e32 v134, v130, v136
	v_movrels_b32_e32 v130, v34
	s_add_co_i32 m0, s2, -1
	s_delay_alu instid0(VALU_DEP_1) | instskip(SKIP_4) | instid1(SALU_CYCLE_1)
	v_fmac_f32_e32 v134, v130, v137
	ds_load_2addr_b32 v[136:137], v135 offset0:6 offset1:7
	v_movrels_b32_e32 v130, v34
	s_mov_b32 m0, s2
	s_add_nc_u64 s[2:3], s[2:3], 8
	s_add_co_i32 s8, s2, -7
	s_wait_dscnt 0x0
	v_fmac_f32_e32 v134, v130, v136
	v_movrels_b32_e32 v130, v34
	s_delay_alu instid0(VALU_DEP_1) | instskip(NEXT) | instid1(VALU_DEP_1)
	v_dual_fmac_f32 v134, v130, v137 :: v_dual_add_nc_u32 v130, s2, v132
	v_cmp_eq_u32_e32 vcc_lo, 18, v130
	v_mov_b32_e32 v130, s8
	s_or_b32 s6, vcc_lo, s6
	s_delay_alu instid0(SALU_CYCLE_1)
	s_and_not1_b32 exec_lo, exec_lo, s6
	s_cbranch_execnz .LBB31_313
; %bb.314:
	s_or_b32 exec_lo, exec_lo, s6
.LBB31_315:
	s_delay_alu instid0(SALU_CYCLE_1) | instskip(SKIP_3) | instid1(VALU_DEP_1)
	s_or_b32 exec_lo, exec_lo, s1
	v_and_b32_e32 v132, 7, v131
	s_mov_b32 s2, 0
	s_mov_b32 s1, exec_lo
	v_cmpx_ne_u32_e32 0, v132
	s_cbranch_execz .LBB31_319
; %bb.316:
	v_lshl_add_u32 v135, v130, 2, 0x80
	v_mov_b32_e32 v131, 0
.LBB31_317:                             ; =>This Inner Loop Header: Depth=1
	v_cmp_eq_u32_e32 vcc_lo, 1, v130
	ds_load_b32 v137, v135
	v_dual_add_nc_u32 v132, -1, v132 :: v_dual_add_nc_u32 v135, 4, v135
	v_cndmask_b32_e32 v136, v34, v35, vcc_lo
	v_cmp_eq_u32_e32 vcc_lo, 2, v130
	s_delay_alu instid0(VALU_DEP_2) | instskip(SKIP_1) | instid1(VALU_DEP_2)
	v_cndmask_b32_e32 v136, v136, v36, vcc_lo
	v_cmp_eq_u32_e32 vcc_lo, 3, v130
	v_cndmask_b32_e32 v136, v136, v37, vcc_lo
	v_cmp_eq_u32_e32 vcc_lo, 4, v130
	s_delay_alu instid0(VALU_DEP_2) | instskip(SKIP_1) | instid1(VALU_DEP_2)
	v_cndmask_b32_e32 v136, v136, v38, vcc_lo
	v_cmp_eq_u32_e32 vcc_lo, 5, v130
	;; [unrolled: 5-line block ×14, first 2 shown]
	v_cndmask_b32_e32 v136, v136, v63, vcc_lo
	v_cmp_eq_u32_e32 vcc_lo, 30, v130
	s_delay_alu instid0(VALU_DEP_2) | instskip(SKIP_2) | instid1(VALU_DEP_3)
	v_cndmask_b32_e32 v136, v136, v64, vcc_lo
	v_cmp_eq_u32_e32 vcc_lo, 31, v130
	v_add_nc_u64_e32 v[130:131], 1, v[130:131]
	v_cndmask_b32_e32 v136, v136, v65, vcc_lo
	v_cmp_eq_u32_e32 vcc_lo, 0, v132
	s_wait_dscnt 0x0
	s_delay_alu instid0(VALU_DEP_2) | instskip(SKIP_1) | instid1(SALU_CYCLE_1)
	v_fmac_f32_e32 v134, v136, v137
	s_or_b32 s2, vcc_lo, s2
	s_and_not1_b32 exec_lo, exec_lo, s2
	s_cbranch_execnz .LBB31_317
; %bb.318:
	s_or_b32 exec_lo, exec_lo, s2
.LBB31_319:
	s_delay_alu instid0(SALU_CYCLE_1)
	s_or_b32 exec_lo, exec_lo, s1
.LBB31_320:
	s_delay_alu instid0(SALU_CYCLE_1)
	s_or_b32 exec_lo, exec_lo, s5
	v_mov_b32_e32 v44, 0
	ds_load_b32 v44, v44 offset:40
	s_wait_dscnt 0x0
	v_mul_f32_e32 v44, v134, v44
.LBB31_321:
	s_or_b32 exec_lo, exec_lo, s4
	v_cmp_lt_u32_e64 s1, 9, v0
	ds_store_b32 v133, v43
	s_wait_dscnt 0x0
	s_barrier_signal -1
	s_barrier_wait -1
	s_and_saveexec_b32 s4, s1
	s_cbranch_execz .LBB31_337
; %bb.322:
	s_and_not1_b32 vcc_lo, exec_lo, s33
	s_cbranch_vccnz .LBB31_324
; %bb.323:
	v_cmp_eq_u32_e32 vcc_lo, 1, v0
	ds_load_b32 v131, v133
	v_cndmask_b32_e32 v130, v34, v35, vcc_lo
	v_cmp_eq_u32_e32 vcc_lo, 2, v0
	s_delay_alu instid0(VALU_DEP_2) | instskip(SKIP_1) | instid1(VALU_DEP_2)
	v_cndmask_b32_e32 v130, v130, v36, vcc_lo
	v_cmp_eq_u32_e32 vcc_lo, 3, v0
	v_cndmask_b32_e32 v130, v130, v37, vcc_lo
	v_cmp_eq_u32_e32 vcc_lo, 4, v0
	s_delay_alu instid0(VALU_DEP_2) | instskip(SKIP_1) | instid1(VALU_DEP_2)
	v_cndmask_b32_e32 v130, v130, v38, vcc_lo
	v_cmp_eq_u32_e32 vcc_lo, 5, v0
	;; [unrolled: 5-line block ×15, first 2 shown]
	v_cndmask_b32_e32 v130, v130, v65, vcc_lo
	s_wait_dscnt 0x0
	s_delay_alu instid0(VALU_DEP_1)
	v_mul_f32_e32 v134, v130, v131
	s_cbranch_execz .LBB31_325
	s_branch .LBB31_326
.LBB31_324:
                                        ; implicit-def: $vgpr134
.LBB31_325:
	ds_load_b32 v134, v133
.LBB31_326:
	s_and_saveexec_b32 s5, s0
	s_cbranch_execz .LBB31_336
; %bb.327:
	v_dual_add_nc_u32 v130, -11, v0 :: v_dual_add_nc_u32 v131, -10, v0
	s_delay_alu instid0(VALU_DEP_1)
	v_cmp_lt_u32_e32 vcc_lo, 6, v130
	v_mov_b32_e32 v130, 10
	s_and_saveexec_b32 s0, vcc_lo
	s_cbranch_execz .LBB31_331
; %bb.328:
	v_and_b32_e32 v130, -8, v131
	s_mov_b32 s6, 0
	s_mov_b64 s[2:3], 17
	s_movk_i32 s7, 0xa8
	s_delay_alu instid0(VALU_DEP_1)
	v_sub_nc_u32_e32 v132, 0, v130
.LBB31_329:                             ; =>This Inner Loop Header: Depth=1
	s_add_co_i32 m0, s2, -7
	v_movrels_b32_e32 v130, v34
	v_mov_b32_e32 v135, s7
	s_add_co_i32 m0, s2, -6
	s_add_co_i32 s7, s7, 32
	ds_load_2addr_b64 v[136:139], v135 offset1:1
	s_wait_dscnt 0x0
	v_fmac_f32_e32 v134, v130, v136
	v_movrels_b32_e32 v130, v34
	s_add_co_i32 m0, s2, -5
	s_delay_alu instid0(VALU_DEP_1) | instskip(SKIP_2) | instid1(VALU_DEP_1)
	v_fmac_f32_e32 v134, v130, v137
	v_movrels_b32_e32 v130, v34
	s_add_co_i32 m0, s2, -4
	v_fmac_f32_e32 v134, v130, v138
	v_movrels_b32_e32 v130, v34
	s_add_co_i32 m0, s2, -3
	s_delay_alu instid0(VALU_DEP_1) | instskip(SKIP_4) | instid1(VALU_DEP_1)
	v_fmac_f32_e32 v134, v130, v139
	ds_load_2addr_b64 v[136:139], v135 offset0:2 offset1:3
	v_movrels_b32_e32 v130, v34
	s_add_co_i32 m0, s2, -2
	s_wait_dscnt 0x0
	v_fmac_f32_e32 v134, v130, v136
	v_movrels_b32_e32 v130, v34
	s_add_co_i32 m0, s2, -1
	s_delay_alu instid0(VALU_DEP_1) | instskip(SKIP_3) | instid1(SALU_CYCLE_1)
	v_fmac_f32_e32 v134, v130, v137
	v_movrels_b32_e32 v130, v34
	s_mov_b32 m0, s2
	s_add_nc_u64 s[2:3], s[2:3], 8
	s_add_co_i32 s8, s2, -7
	s_delay_alu instid0(VALU_DEP_1) | instskip(SKIP_1) | instid1(VALU_DEP_1)
	v_fmac_f32_e32 v134, v130, v138
	v_movrels_b32_e32 v130, v34
	v_dual_fmac_f32 v134, v130, v139 :: v_dual_add_nc_u32 v130, s2, v132
	s_delay_alu instid0(VALU_DEP_1) | instskip(SKIP_2) | instid1(SALU_CYCLE_1)
	v_cmp_eq_u32_e32 vcc_lo, 17, v130
	v_mov_b32_e32 v130, s8
	s_or_b32 s6, vcc_lo, s6
	s_and_not1_b32 exec_lo, exec_lo, s6
	s_cbranch_execnz .LBB31_329
; %bb.330:
	s_or_b32 exec_lo, exec_lo, s6
.LBB31_331:
	s_delay_alu instid0(SALU_CYCLE_1) | instskip(SKIP_3) | instid1(VALU_DEP_1)
	s_or_b32 exec_lo, exec_lo, s0
	v_and_b32_e32 v132, 7, v131
	s_mov_b32 s2, 0
	s_mov_b32 s0, exec_lo
	v_cmpx_ne_u32_e32 0, v132
	s_cbranch_execz .LBB31_335
; %bb.332:
	v_lshl_add_u32 v135, v130, 2, 0x80
	v_mov_b32_e32 v131, 0
.LBB31_333:                             ; =>This Inner Loop Header: Depth=1
	v_cmp_eq_u32_e32 vcc_lo, 1, v130
	ds_load_b32 v137, v135
	v_dual_add_nc_u32 v132, -1, v132 :: v_dual_add_nc_u32 v135, 4, v135
	v_cndmask_b32_e32 v136, v34, v35, vcc_lo
	v_cmp_eq_u32_e32 vcc_lo, 2, v130
	s_delay_alu instid0(VALU_DEP_2) | instskip(SKIP_1) | instid1(VALU_DEP_2)
	v_cndmask_b32_e32 v136, v136, v36, vcc_lo
	v_cmp_eq_u32_e32 vcc_lo, 3, v130
	v_cndmask_b32_e32 v136, v136, v37, vcc_lo
	v_cmp_eq_u32_e32 vcc_lo, 4, v130
	s_delay_alu instid0(VALU_DEP_2) | instskip(SKIP_1) | instid1(VALU_DEP_2)
	v_cndmask_b32_e32 v136, v136, v38, vcc_lo
	v_cmp_eq_u32_e32 vcc_lo, 5, v130
	;; [unrolled: 5-line block ×14, first 2 shown]
	v_cndmask_b32_e32 v136, v136, v63, vcc_lo
	v_cmp_eq_u32_e32 vcc_lo, 30, v130
	s_delay_alu instid0(VALU_DEP_2) | instskip(SKIP_2) | instid1(VALU_DEP_3)
	v_cndmask_b32_e32 v136, v136, v64, vcc_lo
	v_cmp_eq_u32_e32 vcc_lo, 31, v130
	v_add_nc_u64_e32 v[130:131], 1, v[130:131]
	v_cndmask_b32_e32 v136, v136, v65, vcc_lo
	v_cmp_eq_u32_e32 vcc_lo, 0, v132
	s_wait_dscnt 0x0
	s_delay_alu instid0(VALU_DEP_2) | instskip(SKIP_1) | instid1(SALU_CYCLE_1)
	v_fmac_f32_e32 v134, v136, v137
	s_or_b32 s2, vcc_lo, s2
	s_and_not1_b32 exec_lo, exec_lo, s2
	s_cbranch_execnz .LBB31_333
; %bb.334:
	s_or_b32 exec_lo, exec_lo, s2
.LBB31_335:
	s_delay_alu instid0(SALU_CYCLE_1)
	s_or_b32 exec_lo, exec_lo, s0
.LBB31_336:
	s_delay_alu instid0(SALU_CYCLE_1)
	s_or_b32 exec_lo, exec_lo, s5
	v_mov_b32_e32 v43, 0
	ds_load_b32 v43, v43 offset:36
	s_wait_dscnt 0x0
	v_mul_f32_e32 v43, v134, v43
.LBB31_337:
	s_or_b32 exec_lo, exec_lo, s4
	v_cmp_lt_u32_e64 s0, 8, v0
	ds_store_b32 v133, v42
	s_wait_dscnt 0x0
	s_barrier_signal -1
	s_barrier_wait -1
	s_and_saveexec_b32 s4, s0
	s_cbranch_execz .LBB31_353
; %bb.338:
	s_and_not1_b32 vcc_lo, exec_lo, s33
	s_cbranch_vccnz .LBB31_340
; %bb.339:
	v_cmp_eq_u32_e32 vcc_lo, 1, v0
	ds_load_b32 v131, v133
	v_cndmask_b32_e32 v130, v34, v35, vcc_lo
	v_cmp_eq_u32_e32 vcc_lo, 2, v0
	s_delay_alu instid0(VALU_DEP_2) | instskip(SKIP_1) | instid1(VALU_DEP_2)
	v_cndmask_b32_e32 v130, v130, v36, vcc_lo
	v_cmp_eq_u32_e32 vcc_lo, 3, v0
	v_cndmask_b32_e32 v130, v130, v37, vcc_lo
	v_cmp_eq_u32_e32 vcc_lo, 4, v0
	s_delay_alu instid0(VALU_DEP_2) | instskip(SKIP_1) | instid1(VALU_DEP_2)
	v_cndmask_b32_e32 v130, v130, v38, vcc_lo
	v_cmp_eq_u32_e32 vcc_lo, 5, v0
	;; [unrolled: 5-line block ×15, first 2 shown]
	v_cndmask_b32_e32 v130, v130, v65, vcc_lo
	s_wait_dscnt 0x0
	s_delay_alu instid0(VALU_DEP_1)
	v_mul_f32_e32 v134, v130, v131
	s_cbranch_execz .LBB31_341
	s_branch .LBB31_342
.LBB31_340:
                                        ; implicit-def: $vgpr134
.LBB31_341:
	ds_load_b32 v134, v133
.LBB31_342:
	s_and_saveexec_b32 s5, s1
	s_cbranch_execz .LBB31_352
; %bb.343:
	v_dual_add_nc_u32 v130, -10, v0 :: v_dual_add_nc_u32 v131, -9, v0
	s_delay_alu instid0(VALU_DEP_1)
	v_cmp_lt_u32_e32 vcc_lo, 6, v130
	v_mov_b32_e32 v130, 9
	s_and_saveexec_b32 s1, vcc_lo
	s_cbranch_execz .LBB31_347
; %bb.344:
	v_and_b32_e32 v130, -8, v131
	s_mov_b32 s6, 0
	s_mov_b64 s[2:3], 16
	s_movk_i32 s7, 0xa4
	s_delay_alu instid0(VALU_DEP_1)
	v_sub_nc_u32_e32 v132, 0, v130
.LBB31_345:                             ; =>This Inner Loop Header: Depth=1
	s_add_co_i32 m0, s2, -7
	v_movrels_b32_e32 v130, v34
	v_mov_b32_e32 v135, s7
	s_add_co_i32 m0, s2, -6
	s_add_co_i32 s7, s7, 32
	ds_load_2addr_b32 v[136:137], v135 offset1:1
	s_wait_dscnt 0x0
	v_fmac_f32_e32 v134, v130, v136
	v_movrels_b32_e32 v130, v34
	s_add_co_i32 m0, s2, -5
	s_delay_alu instid0(VALU_DEP_1) | instskip(SKIP_4) | instid1(VALU_DEP_1)
	v_fmac_f32_e32 v134, v130, v137
	ds_load_2addr_b32 v[136:137], v135 offset0:2 offset1:3
	v_movrels_b32_e32 v130, v34
	s_add_co_i32 m0, s2, -4
	s_wait_dscnt 0x0
	v_fmac_f32_e32 v134, v130, v136
	v_movrels_b32_e32 v130, v34
	s_add_co_i32 m0, s2, -3
	s_delay_alu instid0(VALU_DEP_1) | instskip(SKIP_4) | instid1(VALU_DEP_1)
	v_fmac_f32_e32 v134, v130, v137
	ds_load_2addr_b32 v[136:137], v135 offset0:4 offset1:5
	v_movrels_b32_e32 v130, v34
	s_add_co_i32 m0, s2, -2
	s_wait_dscnt 0x0
	v_fmac_f32_e32 v134, v130, v136
	v_movrels_b32_e32 v130, v34
	s_add_co_i32 m0, s2, -1
	s_delay_alu instid0(VALU_DEP_1) | instskip(SKIP_4) | instid1(SALU_CYCLE_1)
	v_fmac_f32_e32 v134, v130, v137
	ds_load_2addr_b32 v[136:137], v135 offset0:6 offset1:7
	v_movrels_b32_e32 v130, v34
	s_mov_b32 m0, s2
	s_add_nc_u64 s[2:3], s[2:3], 8
	s_add_co_i32 s8, s2, -7
	s_wait_dscnt 0x0
	v_fmac_f32_e32 v134, v130, v136
	v_movrels_b32_e32 v130, v34
	s_delay_alu instid0(VALU_DEP_1) | instskip(NEXT) | instid1(VALU_DEP_1)
	v_dual_fmac_f32 v134, v130, v137 :: v_dual_add_nc_u32 v130, s2, v132
	v_cmp_eq_u32_e32 vcc_lo, 16, v130
	v_mov_b32_e32 v130, s8
	s_or_b32 s6, vcc_lo, s6
	s_delay_alu instid0(SALU_CYCLE_1)
	s_and_not1_b32 exec_lo, exec_lo, s6
	s_cbranch_execnz .LBB31_345
; %bb.346:
	s_or_b32 exec_lo, exec_lo, s6
.LBB31_347:
	s_delay_alu instid0(SALU_CYCLE_1) | instskip(SKIP_3) | instid1(VALU_DEP_1)
	s_or_b32 exec_lo, exec_lo, s1
	v_and_b32_e32 v132, 7, v131
	s_mov_b32 s2, 0
	s_mov_b32 s1, exec_lo
	v_cmpx_ne_u32_e32 0, v132
	s_cbranch_execz .LBB31_351
; %bb.348:
	v_lshl_add_u32 v135, v130, 2, 0x80
	v_mov_b32_e32 v131, 0
.LBB31_349:                             ; =>This Inner Loop Header: Depth=1
	v_cmp_eq_u32_e32 vcc_lo, 1, v130
	ds_load_b32 v137, v135
	v_dual_add_nc_u32 v132, -1, v132 :: v_dual_add_nc_u32 v135, 4, v135
	v_cndmask_b32_e32 v136, v34, v35, vcc_lo
	v_cmp_eq_u32_e32 vcc_lo, 2, v130
	s_delay_alu instid0(VALU_DEP_2) | instskip(SKIP_1) | instid1(VALU_DEP_2)
	v_cndmask_b32_e32 v136, v136, v36, vcc_lo
	v_cmp_eq_u32_e32 vcc_lo, 3, v130
	v_cndmask_b32_e32 v136, v136, v37, vcc_lo
	v_cmp_eq_u32_e32 vcc_lo, 4, v130
	s_delay_alu instid0(VALU_DEP_2) | instskip(SKIP_1) | instid1(VALU_DEP_2)
	v_cndmask_b32_e32 v136, v136, v38, vcc_lo
	v_cmp_eq_u32_e32 vcc_lo, 5, v130
	;; [unrolled: 5-line block ×14, first 2 shown]
	v_cndmask_b32_e32 v136, v136, v63, vcc_lo
	v_cmp_eq_u32_e32 vcc_lo, 30, v130
	s_delay_alu instid0(VALU_DEP_2) | instskip(SKIP_2) | instid1(VALU_DEP_3)
	v_cndmask_b32_e32 v136, v136, v64, vcc_lo
	v_cmp_eq_u32_e32 vcc_lo, 31, v130
	v_add_nc_u64_e32 v[130:131], 1, v[130:131]
	v_cndmask_b32_e32 v136, v136, v65, vcc_lo
	v_cmp_eq_u32_e32 vcc_lo, 0, v132
	s_wait_dscnt 0x0
	s_delay_alu instid0(VALU_DEP_2) | instskip(SKIP_1) | instid1(SALU_CYCLE_1)
	v_fmac_f32_e32 v134, v136, v137
	s_or_b32 s2, vcc_lo, s2
	s_and_not1_b32 exec_lo, exec_lo, s2
	s_cbranch_execnz .LBB31_349
; %bb.350:
	s_or_b32 exec_lo, exec_lo, s2
.LBB31_351:
	s_delay_alu instid0(SALU_CYCLE_1)
	s_or_b32 exec_lo, exec_lo, s1
.LBB31_352:
	s_delay_alu instid0(SALU_CYCLE_1)
	s_or_b32 exec_lo, exec_lo, s5
	v_mov_b32_e32 v42, 0
	ds_load_b32 v42, v42 offset:32
	s_wait_dscnt 0x0
	v_mul_f32_e32 v42, v134, v42
.LBB31_353:
	s_or_b32 exec_lo, exec_lo, s4
	v_cmp_lt_u32_e64 s1, 7, v0
	ds_store_b32 v133, v41
	s_wait_dscnt 0x0
	s_barrier_signal -1
	s_barrier_wait -1
	s_and_saveexec_b32 s4, s1
	s_cbranch_execz .LBB31_369
; %bb.354:
	s_and_not1_b32 vcc_lo, exec_lo, s33
	s_cbranch_vccnz .LBB31_356
; %bb.355:
	v_cmp_eq_u32_e32 vcc_lo, 1, v0
	ds_load_b32 v131, v133
	v_cndmask_b32_e32 v130, v34, v35, vcc_lo
	v_cmp_eq_u32_e32 vcc_lo, 2, v0
	s_delay_alu instid0(VALU_DEP_2) | instskip(SKIP_1) | instid1(VALU_DEP_2)
	v_cndmask_b32_e32 v130, v130, v36, vcc_lo
	v_cmp_eq_u32_e32 vcc_lo, 3, v0
	v_cndmask_b32_e32 v130, v130, v37, vcc_lo
	v_cmp_eq_u32_e32 vcc_lo, 4, v0
	s_delay_alu instid0(VALU_DEP_2) | instskip(SKIP_1) | instid1(VALU_DEP_2)
	v_cndmask_b32_e32 v130, v130, v38, vcc_lo
	v_cmp_eq_u32_e32 vcc_lo, 5, v0
	;; [unrolled: 5-line block ×15, first 2 shown]
	v_cndmask_b32_e32 v130, v130, v65, vcc_lo
	s_wait_dscnt 0x0
	s_delay_alu instid0(VALU_DEP_1)
	v_mul_f32_e32 v134, v130, v131
	s_cbranch_execz .LBB31_357
	s_branch .LBB31_358
.LBB31_356:
                                        ; implicit-def: $vgpr134
.LBB31_357:
	ds_load_b32 v134, v133
.LBB31_358:
	s_and_saveexec_b32 s5, s0
	s_cbranch_execz .LBB31_368
; %bb.359:
	v_add_nc_u32_e32 v130, -9, v0
	s_delay_alu instid0(VALU_DEP_1)
	v_cmp_lt_u32_e32 vcc_lo, 6, v130
	v_mov_b32_e32 v130, 8
	s_and_saveexec_b32 s0, vcc_lo
	s_cbranch_execz .LBB31_363
; %bb.360:
	v_and_b32_e32 v130, 24, v0
	s_mov_b32 s6, 0
	s_mov_b64 s[2:3], 15
	s_movk_i32 s7, 0xa0
	s_delay_alu instid0(VALU_DEP_1)
	v_sub_nc_u32_e32 v132, 0, v130
.LBB31_361:                             ; =>This Inner Loop Header: Depth=1
	s_add_co_i32 m0, s2, -7
	v_movrels_b32_e32 v131, v34
	v_mov_b32_e32 v130, s7
	s_add_co_i32 m0, s2, -6
	s_add_co_i32 s7, s7, 32
	v_movrels_b32_e32 v135, v34
	s_add_co_i32 m0, s2, -5
	ds_load_b128 v[136:139], v130
	ds_load_b128 v[140:143], v130 offset:16
	v_movrels_b32_e32 v130, v34
	s_add_co_i32 m0, s2, -4
	s_wait_dscnt 0x1
	v_fmac_f32_e32 v134, v131, v136
	v_movrels_b32_e32 v131, v34
	s_add_co_i32 m0, s2, -3
	s_delay_alu instid0(VALU_DEP_2) | instskip(NEXT) | instid1(VALU_DEP_1)
	v_fmac_f32_e32 v134, v135, v137
	v_fmac_f32_e32 v134, v130, v138
	v_movrels_b32_e32 v130, v34
	s_add_co_i32 m0, s2, -2
	s_delay_alu instid0(VALU_DEP_2) | instskip(SKIP_3) | instid1(VALU_DEP_2)
	v_fmac_f32_e32 v134, v131, v139
	v_movrels_b32_e32 v131, v34
	s_add_co_i32 m0, s2, -1
	s_wait_dscnt 0x0
	v_fmac_f32_e32 v134, v130, v140
	v_movrels_b32_e32 v130, v34
	s_mov_b32 m0, s2
	s_add_nc_u64 s[2:3], s[2:3], 8
	v_movrels_b32_e32 v135, v34
	v_dual_fmac_f32 v134, v131, v141 :: v_dual_add_nc_u32 v131, s2, v132
	s_add_co_i32 s8, s2, -7
	s_delay_alu instid0(VALU_DEP_1) | instskip(NEXT) | instid1(VALU_DEP_2)
	v_fmac_f32_e32 v134, v130, v142
	v_cmp_eq_u32_e32 vcc_lo, 7, v131
	s_delay_alu instid0(VALU_DEP_2) | instskip(SKIP_1) | instid1(SALU_CYCLE_1)
	v_dual_mov_b32 v130, s8 :: v_dual_fmac_f32 v134, v135, v143
	s_or_b32 s6, vcc_lo, s6
	s_and_not1_b32 exec_lo, exec_lo, s6
	s_cbranch_execnz .LBB31_361
; %bb.362:
	s_or_b32 exec_lo, exec_lo, s6
.LBB31_363:
	s_delay_alu instid0(SALU_CYCLE_1) | instskip(SKIP_3) | instid1(VALU_DEP_1)
	s_or_b32 exec_lo, exec_lo, s0
	v_and_b32_e32 v132, 7, v0
	s_mov_b32 s2, 0
	s_mov_b32 s0, exec_lo
	v_cmpx_ne_u32_e32 0, v132
	s_cbranch_execz .LBB31_367
; %bb.364:
	v_lshl_add_u32 v135, v130, 2, 0x80
	v_mov_b32_e32 v131, 0
.LBB31_365:                             ; =>This Inner Loop Header: Depth=1
	v_cmp_eq_u32_e32 vcc_lo, 1, v130
	ds_load_b32 v137, v135
	v_dual_add_nc_u32 v132, -1, v132 :: v_dual_add_nc_u32 v135, 4, v135
	v_cndmask_b32_e32 v136, v34, v35, vcc_lo
	v_cmp_eq_u32_e32 vcc_lo, 2, v130
	s_delay_alu instid0(VALU_DEP_2) | instskip(SKIP_1) | instid1(VALU_DEP_2)
	v_cndmask_b32_e32 v136, v136, v36, vcc_lo
	v_cmp_eq_u32_e32 vcc_lo, 3, v130
	v_cndmask_b32_e32 v136, v136, v37, vcc_lo
	v_cmp_eq_u32_e32 vcc_lo, 4, v130
	s_delay_alu instid0(VALU_DEP_2) | instskip(SKIP_1) | instid1(VALU_DEP_2)
	v_cndmask_b32_e32 v136, v136, v38, vcc_lo
	v_cmp_eq_u32_e32 vcc_lo, 5, v130
	;; [unrolled: 5-line block ×14, first 2 shown]
	v_cndmask_b32_e32 v136, v136, v63, vcc_lo
	v_cmp_eq_u32_e32 vcc_lo, 30, v130
	s_delay_alu instid0(VALU_DEP_2) | instskip(SKIP_2) | instid1(VALU_DEP_3)
	v_cndmask_b32_e32 v136, v136, v64, vcc_lo
	v_cmp_eq_u32_e32 vcc_lo, 31, v130
	v_add_nc_u64_e32 v[130:131], 1, v[130:131]
	v_cndmask_b32_e32 v136, v136, v65, vcc_lo
	v_cmp_eq_u32_e32 vcc_lo, 0, v132
	s_wait_dscnt 0x0
	s_delay_alu instid0(VALU_DEP_2) | instskip(SKIP_1) | instid1(SALU_CYCLE_1)
	v_fmac_f32_e32 v134, v136, v137
	s_or_b32 s2, vcc_lo, s2
	s_and_not1_b32 exec_lo, exec_lo, s2
	s_cbranch_execnz .LBB31_365
; %bb.366:
	s_or_b32 exec_lo, exec_lo, s2
.LBB31_367:
	s_delay_alu instid0(SALU_CYCLE_1)
	s_or_b32 exec_lo, exec_lo, s0
.LBB31_368:
	s_delay_alu instid0(SALU_CYCLE_1)
	s_or_b32 exec_lo, exec_lo, s5
	v_mov_b32_e32 v41, 0
	ds_load_b32 v41, v41 offset:28
	s_wait_dscnt 0x0
	v_mul_f32_e32 v41, v134, v41
.LBB31_369:
	s_or_b32 exec_lo, exec_lo, s4
	v_cmp_lt_u32_e64 s0, 6, v0
	ds_store_b32 v133, v40
	s_wait_dscnt 0x0
	s_barrier_signal -1
	s_barrier_wait -1
	s_and_saveexec_b32 s4, s0
	s_cbranch_execz .LBB31_385
; %bb.370:
	s_and_not1_b32 vcc_lo, exec_lo, s33
	s_cbranch_vccnz .LBB31_372
; %bb.371:
	v_cmp_eq_u32_e32 vcc_lo, 1, v0
	ds_load_b32 v131, v133
	v_cndmask_b32_e32 v130, v34, v35, vcc_lo
	v_cmp_eq_u32_e32 vcc_lo, 2, v0
	s_delay_alu instid0(VALU_DEP_2) | instskip(SKIP_1) | instid1(VALU_DEP_2)
	v_cndmask_b32_e32 v130, v130, v36, vcc_lo
	v_cmp_eq_u32_e32 vcc_lo, 3, v0
	v_cndmask_b32_e32 v130, v130, v37, vcc_lo
	v_cmp_eq_u32_e32 vcc_lo, 4, v0
	s_delay_alu instid0(VALU_DEP_2) | instskip(SKIP_1) | instid1(VALU_DEP_2)
	v_cndmask_b32_e32 v130, v130, v38, vcc_lo
	v_cmp_eq_u32_e32 vcc_lo, 5, v0
	;; [unrolled: 5-line block ×15, first 2 shown]
	v_cndmask_b32_e32 v130, v130, v65, vcc_lo
	s_wait_dscnt 0x0
	s_delay_alu instid0(VALU_DEP_1)
	v_mul_f32_e32 v134, v130, v131
	s_cbranch_execz .LBB31_373
	s_branch .LBB31_374
.LBB31_372:
                                        ; implicit-def: $vgpr134
.LBB31_373:
	ds_load_b32 v134, v133
.LBB31_374:
	s_and_saveexec_b32 s5, s1
	s_cbranch_execz .LBB31_384
; %bb.375:
	v_dual_add_nc_u32 v130, -8, v0 :: v_dual_add_nc_u32 v131, -7, v0
	s_delay_alu instid0(VALU_DEP_1)
	v_cmp_lt_u32_e32 vcc_lo, 6, v130
	v_mov_b32_e32 v130, 7
	s_and_saveexec_b32 s1, vcc_lo
	s_cbranch_execz .LBB31_379
; %bb.376:
	v_and_b32_e32 v130, -8, v131
	s_mov_b32 s6, 0
	s_mov_b64 s[2:3], 14
	s_movk_i32 s7, 0x9c
	s_delay_alu instid0(VALU_DEP_1)
	v_sub_nc_u32_e32 v132, 0, v130
.LBB31_377:                             ; =>This Inner Loop Header: Depth=1
	s_add_co_i32 m0, s2, -7
	v_movrels_b32_e32 v130, v34
	v_mov_b32_e32 v135, s7
	s_add_co_i32 m0, s2, -6
	s_add_co_i32 s7, s7, 32
	ds_load_2addr_b32 v[136:137], v135 offset1:1
	s_wait_dscnt 0x0
	v_fmac_f32_e32 v134, v130, v136
	v_movrels_b32_e32 v130, v34
	s_add_co_i32 m0, s2, -5
	s_delay_alu instid0(VALU_DEP_1) | instskip(SKIP_4) | instid1(VALU_DEP_1)
	v_fmac_f32_e32 v134, v130, v137
	ds_load_2addr_b32 v[136:137], v135 offset0:2 offset1:3
	v_movrels_b32_e32 v130, v34
	s_add_co_i32 m0, s2, -4
	s_wait_dscnt 0x0
	v_fmac_f32_e32 v134, v130, v136
	v_movrels_b32_e32 v130, v34
	s_add_co_i32 m0, s2, -3
	s_delay_alu instid0(VALU_DEP_1) | instskip(SKIP_4) | instid1(VALU_DEP_1)
	v_fmac_f32_e32 v134, v130, v137
	ds_load_2addr_b32 v[136:137], v135 offset0:4 offset1:5
	v_movrels_b32_e32 v130, v34
	s_add_co_i32 m0, s2, -2
	s_wait_dscnt 0x0
	v_fmac_f32_e32 v134, v130, v136
	v_movrels_b32_e32 v130, v34
	s_add_co_i32 m0, s2, -1
	s_delay_alu instid0(VALU_DEP_1) | instskip(SKIP_4) | instid1(SALU_CYCLE_1)
	v_fmac_f32_e32 v134, v130, v137
	ds_load_2addr_b32 v[136:137], v135 offset0:6 offset1:7
	v_movrels_b32_e32 v130, v34
	s_mov_b32 m0, s2
	s_add_nc_u64 s[2:3], s[2:3], 8
	s_add_co_i32 s8, s2, -7
	s_wait_dscnt 0x0
	v_fmac_f32_e32 v134, v130, v136
	v_movrels_b32_e32 v130, v34
	s_delay_alu instid0(VALU_DEP_1) | instskip(NEXT) | instid1(VALU_DEP_1)
	v_dual_fmac_f32 v134, v130, v137 :: v_dual_add_nc_u32 v130, s2, v132
	v_cmp_eq_u32_e32 vcc_lo, 14, v130
	v_mov_b32_e32 v130, s8
	s_or_b32 s6, vcc_lo, s6
	s_delay_alu instid0(SALU_CYCLE_1)
	s_and_not1_b32 exec_lo, exec_lo, s6
	s_cbranch_execnz .LBB31_377
; %bb.378:
	s_or_b32 exec_lo, exec_lo, s6
.LBB31_379:
	s_delay_alu instid0(SALU_CYCLE_1) | instskip(SKIP_3) | instid1(VALU_DEP_1)
	s_or_b32 exec_lo, exec_lo, s1
	v_and_b32_e32 v132, 7, v131
	s_mov_b32 s2, 0
	s_mov_b32 s1, exec_lo
	v_cmpx_ne_u32_e32 0, v132
	s_cbranch_execz .LBB31_383
; %bb.380:
	v_lshl_add_u32 v135, v130, 2, 0x80
	v_mov_b32_e32 v131, 0
.LBB31_381:                             ; =>This Inner Loop Header: Depth=1
	v_cmp_eq_u32_e32 vcc_lo, 1, v130
	ds_load_b32 v137, v135
	v_dual_add_nc_u32 v132, -1, v132 :: v_dual_add_nc_u32 v135, 4, v135
	v_cndmask_b32_e32 v136, v34, v35, vcc_lo
	v_cmp_eq_u32_e32 vcc_lo, 2, v130
	s_delay_alu instid0(VALU_DEP_2) | instskip(SKIP_1) | instid1(VALU_DEP_2)
	v_cndmask_b32_e32 v136, v136, v36, vcc_lo
	v_cmp_eq_u32_e32 vcc_lo, 3, v130
	v_cndmask_b32_e32 v136, v136, v37, vcc_lo
	v_cmp_eq_u32_e32 vcc_lo, 4, v130
	s_delay_alu instid0(VALU_DEP_2) | instskip(SKIP_1) | instid1(VALU_DEP_2)
	v_cndmask_b32_e32 v136, v136, v38, vcc_lo
	v_cmp_eq_u32_e32 vcc_lo, 5, v130
	v_cndmask_b32_e32 v136, v136, v39, vcc_lo
	v_cmp_eq_u32_e32 vcc_lo, 6, v130
	s_delay_alu instid0(VALU_DEP_2) | instskip(SKIP_1) | instid1(VALU_DEP_2)
	v_cndmask_b32_e32 v136, v136, v40, vcc_lo
	v_cmp_eq_u32_e32 vcc_lo, 7, v130
	v_cndmask_b32_e32 v136, v136, v41, vcc_lo
	v_cmp_eq_u32_e32 vcc_lo, 8, v130
	s_delay_alu instid0(VALU_DEP_2) | instskip(SKIP_1) | instid1(VALU_DEP_2)
	v_cndmask_b32_e32 v136, v136, v42, vcc_lo
	v_cmp_eq_u32_e32 vcc_lo, 9, v130
	v_cndmask_b32_e32 v136, v136, v43, vcc_lo
	v_cmp_eq_u32_e32 vcc_lo, 10, v130
	s_delay_alu instid0(VALU_DEP_2) | instskip(SKIP_1) | instid1(VALU_DEP_2)
	v_cndmask_b32_e32 v136, v136, v44, vcc_lo
	v_cmp_eq_u32_e32 vcc_lo, 11, v130
	v_cndmask_b32_e32 v136, v136, v45, vcc_lo
	v_cmp_eq_u32_e32 vcc_lo, 12, v130
	s_delay_alu instid0(VALU_DEP_2) | instskip(SKIP_1) | instid1(VALU_DEP_2)
	v_cndmask_b32_e32 v136, v136, v46, vcc_lo
	v_cmp_eq_u32_e32 vcc_lo, 13, v130
	v_cndmask_b32_e32 v136, v136, v47, vcc_lo
	v_cmp_eq_u32_e32 vcc_lo, 14, v130
	s_delay_alu instid0(VALU_DEP_2) | instskip(SKIP_1) | instid1(VALU_DEP_2)
	v_cndmask_b32_e32 v136, v136, v48, vcc_lo
	v_cmp_eq_u32_e32 vcc_lo, 15, v130
	v_cndmask_b32_e32 v136, v136, v49, vcc_lo
	v_cmp_eq_u32_e32 vcc_lo, 16, v130
	s_delay_alu instid0(VALU_DEP_2) | instskip(SKIP_1) | instid1(VALU_DEP_2)
	v_cndmask_b32_e32 v136, v136, v50, vcc_lo
	v_cmp_eq_u32_e32 vcc_lo, 17, v130
	v_cndmask_b32_e32 v136, v136, v51, vcc_lo
	v_cmp_eq_u32_e32 vcc_lo, 18, v130
	s_delay_alu instid0(VALU_DEP_2) | instskip(SKIP_1) | instid1(VALU_DEP_2)
	v_cndmask_b32_e32 v136, v136, v52, vcc_lo
	v_cmp_eq_u32_e32 vcc_lo, 19, v130
	v_cndmask_b32_e32 v136, v136, v53, vcc_lo
	v_cmp_eq_u32_e32 vcc_lo, 20, v130
	s_delay_alu instid0(VALU_DEP_2) | instskip(SKIP_1) | instid1(VALU_DEP_2)
	v_cndmask_b32_e32 v136, v136, v54, vcc_lo
	v_cmp_eq_u32_e32 vcc_lo, 21, v130
	v_cndmask_b32_e32 v136, v136, v55, vcc_lo
	v_cmp_eq_u32_e32 vcc_lo, 22, v130
	s_delay_alu instid0(VALU_DEP_2) | instskip(SKIP_1) | instid1(VALU_DEP_2)
	v_cndmask_b32_e32 v136, v136, v56, vcc_lo
	v_cmp_eq_u32_e32 vcc_lo, 23, v130
	v_cndmask_b32_e32 v136, v136, v57, vcc_lo
	v_cmp_eq_u32_e32 vcc_lo, 24, v130
	s_delay_alu instid0(VALU_DEP_2) | instskip(SKIP_1) | instid1(VALU_DEP_2)
	v_cndmask_b32_e32 v136, v136, v58, vcc_lo
	v_cmp_eq_u32_e32 vcc_lo, 25, v130
	v_cndmask_b32_e32 v136, v136, v59, vcc_lo
	v_cmp_eq_u32_e32 vcc_lo, 26, v130
	s_delay_alu instid0(VALU_DEP_2) | instskip(SKIP_1) | instid1(VALU_DEP_2)
	v_cndmask_b32_e32 v136, v136, v60, vcc_lo
	v_cmp_eq_u32_e32 vcc_lo, 27, v130
	v_cndmask_b32_e32 v136, v136, v61, vcc_lo
	v_cmp_eq_u32_e32 vcc_lo, 28, v130
	s_delay_alu instid0(VALU_DEP_2) | instskip(SKIP_1) | instid1(VALU_DEP_2)
	v_cndmask_b32_e32 v136, v136, v62, vcc_lo
	v_cmp_eq_u32_e32 vcc_lo, 29, v130
	v_cndmask_b32_e32 v136, v136, v63, vcc_lo
	v_cmp_eq_u32_e32 vcc_lo, 30, v130
	s_delay_alu instid0(VALU_DEP_2) | instskip(SKIP_2) | instid1(VALU_DEP_3)
	v_cndmask_b32_e32 v136, v136, v64, vcc_lo
	v_cmp_eq_u32_e32 vcc_lo, 31, v130
	v_add_nc_u64_e32 v[130:131], 1, v[130:131]
	v_cndmask_b32_e32 v136, v136, v65, vcc_lo
	v_cmp_eq_u32_e32 vcc_lo, 0, v132
	s_wait_dscnt 0x0
	s_delay_alu instid0(VALU_DEP_2) | instskip(SKIP_1) | instid1(SALU_CYCLE_1)
	v_fmac_f32_e32 v134, v136, v137
	s_or_b32 s2, vcc_lo, s2
	s_and_not1_b32 exec_lo, exec_lo, s2
	s_cbranch_execnz .LBB31_381
; %bb.382:
	s_or_b32 exec_lo, exec_lo, s2
.LBB31_383:
	s_delay_alu instid0(SALU_CYCLE_1)
	s_or_b32 exec_lo, exec_lo, s1
.LBB31_384:
	s_delay_alu instid0(SALU_CYCLE_1)
	s_or_b32 exec_lo, exec_lo, s5
	v_mov_b32_e32 v40, 0
	ds_load_b32 v40, v40 offset:24
	s_wait_dscnt 0x0
	v_mul_f32_e32 v40, v134, v40
.LBB31_385:
	s_or_b32 exec_lo, exec_lo, s4
	v_cmp_lt_u32_e64 s1, 5, v0
	ds_store_b32 v133, v39
	s_wait_dscnt 0x0
	s_barrier_signal -1
	s_barrier_wait -1
	s_and_saveexec_b32 s4, s1
	s_cbranch_execz .LBB31_401
; %bb.386:
	s_and_not1_b32 vcc_lo, exec_lo, s33
	s_cbranch_vccnz .LBB31_388
; %bb.387:
	v_cmp_eq_u32_e32 vcc_lo, 1, v0
	ds_load_b32 v131, v133
	v_cndmask_b32_e32 v130, v34, v35, vcc_lo
	v_cmp_eq_u32_e32 vcc_lo, 2, v0
	s_delay_alu instid0(VALU_DEP_2) | instskip(SKIP_1) | instid1(VALU_DEP_2)
	v_cndmask_b32_e32 v130, v130, v36, vcc_lo
	v_cmp_eq_u32_e32 vcc_lo, 3, v0
	v_cndmask_b32_e32 v130, v130, v37, vcc_lo
	v_cmp_eq_u32_e32 vcc_lo, 4, v0
	s_delay_alu instid0(VALU_DEP_2) | instskip(SKIP_1) | instid1(VALU_DEP_2)
	v_cndmask_b32_e32 v130, v130, v38, vcc_lo
	v_cmp_eq_u32_e32 vcc_lo, 5, v0
	;; [unrolled: 5-line block ×15, first 2 shown]
	v_cndmask_b32_e32 v130, v130, v65, vcc_lo
	s_wait_dscnt 0x0
	s_delay_alu instid0(VALU_DEP_1)
	v_mul_f32_e32 v134, v130, v131
	s_cbranch_execz .LBB31_389
	s_branch .LBB31_390
.LBB31_388:
                                        ; implicit-def: $vgpr134
.LBB31_389:
	ds_load_b32 v134, v133
.LBB31_390:
	s_and_saveexec_b32 s5, s0
	s_cbranch_execz .LBB31_400
; %bb.391:
	v_dual_add_nc_u32 v132, -7, v0 :: v_dual_add_nc_u32 v131, -6, v0
	v_mov_b32_e32 v130, 6
	s_mov_b32 s0, exec_lo
	s_delay_alu instid0(VALU_DEP_2)
	v_cmpx_lt_u32_e32 6, v132
	s_cbranch_execz .LBB31_395
; %bb.392:
	v_and_b32_e32 v130, -8, v131
	s_mov_b32 s6, 0
	s_mov_b64 s[2:3], 13
	s_movk_i32 s7, 0x98
	s_delay_alu instid0(VALU_DEP_1)
	v_sub_nc_u32_e32 v132, 0, v130
.LBB31_393:                             ; =>This Inner Loop Header: Depth=1
	s_add_co_i32 m0, s2, -7
	v_movrels_b32_e32 v130, v34
	v_mov_b32_e32 v135, s7
	s_add_co_i32 m0, s2, -6
	s_add_co_i32 s7, s7, 32
	ds_load_2addr_b64 v[136:139], v135 offset1:1
	s_wait_dscnt 0x0
	v_fmac_f32_e32 v134, v130, v136
	v_movrels_b32_e32 v130, v34
	s_add_co_i32 m0, s2, -5
	s_delay_alu instid0(VALU_DEP_1) | instskip(SKIP_2) | instid1(VALU_DEP_1)
	v_fmac_f32_e32 v134, v130, v137
	v_movrels_b32_e32 v130, v34
	s_add_co_i32 m0, s2, -4
	v_fmac_f32_e32 v134, v130, v138
	v_movrels_b32_e32 v130, v34
	s_add_co_i32 m0, s2, -3
	s_delay_alu instid0(VALU_DEP_1) | instskip(SKIP_4) | instid1(VALU_DEP_1)
	v_fmac_f32_e32 v134, v130, v139
	ds_load_2addr_b64 v[136:139], v135 offset0:2 offset1:3
	v_movrels_b32_e32 v130, v34
	s_add_co_i32 m0, s2, -2
	s_wait_dscnt 0x0
	v_fmac_f32_e32 v134, v130, v136
	v_movrels_b32_e32 v130, v34
	s_add_co_i32 m0, s2, -1
	s_delay_alu instid0(VALU_DEP_1) | instskip(SKIP_3) | instid1(SALU_CYCLE_1)
	v_fmac_f32_e32 v134, v130, v137
	v_movrels_b32_e32 v130, v34
	s_mov_b32 m0, s2
	s_add_nc_u64 s[2:3], s[2:3], 8
	s_add_co_i32 s8, s2, -7
	s_delay_alu instid0(VALU_DEP_1) | instskip(SKIP_1) | instid1(VALU_DEP_1)
	v_fmac_f32_e32 v134, v130, v138
	v_movrels_b32_e32 v130, v34
	v_dual_fmac_f32 v134, v130, v139 :: v_dual_add_nc_u32 v130, s2, v132
	s_delay_alu instid0(VALU_DEP_1) | instskip(SKIP_2) | instid1(SALU_CYCLE_1)
	v_cmp_eq_u32_e32 vcc_lo, 13, v130
	v_mov_b32_e32 v130, s8
	s_or_b32 s6, vcc_lo, s6
	s_and_not1_b32 exec_lo, exec_lo, s6
	s_cbranch_execnz .LBB31_393
; %bb.394:
	s_or_b32 exec_lo, exec_lo, s6
.LBB31_395:
	s_delay_alu instid0(SALU_CYCLE_1) | instskip(SKIP_3) | instid1(VALU_DEP_1)
	s_or_b32 exec_lo, exec_lo, s0
	v_and_b32_e32 v132, 7, v131
	s_mov_b32 s2, 0
	s_mov_b32 s0, exec_lo
	v_cmpx_ne_u32_e32 0, v132
	s_cbranch_execz .LBB31_399
; %bb.396:
	v_lshl_add_u32 v135, v130, 2, 0x80
	v_mov_b32_e32 v131, 0
.LBB31_397:                             ; =>This Inner Loop Header: Depth=1
	v_cmp_eq_u32_e32 vcc_lo, 1, v130
	ds_load_b32 v137, v135
	v_dual_add_nc_u32 v132, -1, v132 :: v_dual_add_nc_u32 v135, 4, v135
	v_cndmask_b32_e32 v136, v34, v35, vcc_lo
	v_cmp_eq_u32_e32 vcc_lo, 2, v130
	s_delay_alu instid0(VALU_DEP_2) | instskip(SKIP_1) | instid1(VALU_DEP_2)
	v_cndmask_b32_e32 v136, v136, v36, vcc_lo
	v_cmp_eq_u32_e32 vcc_lo, 3, v130
	v_cndmask_b32_e32 v136, v136, v37, vcc_lo
	v_cmp_eq_u32_e32 vcc_lo, 4, v130
	s_delay_alu instid0(VALU_DEP_2) | instskip(SKIP_1) | instid1(VALU_DEP_2)
	v_cndmask_b32_e32 v136, v136, v38, vcc_lo
	v_cmp_eq_u32_e32 vcc_lo, 5, v130
	;; [unrolled: 5-line block ×14, first 2 shown]
	v_cndmask_b32_e32 v136, v136, v63, vcc_lo
	v_cmp_eq_u32_e32 vcc_lo, 30, v130
	s_delay_alu instid0(VALU_DEP_2) | instskip(SKIP_2) | instid1(VALU_DEP_3)
	v_cndmask_b32_e32 v136, v136, v64, vcc_lo
	v_cmp_eq_u32_e32 vcc_lo, 31, v130
	v_add_nc_u64_e32 v[130:131], 1, v[130:131]
	v_cndmask_b32_e32 v136, v136, v65, vcc_lo
	v_cmp_eq_u32_e32 vcc_lo, 0, v132
	s_wait_dscnt 0x0
	s_delay_alu instid0(VALU_DEP_2) | instskip(SKIP_1) | instid1(SALU_CYCLE_1)
	v_fmac_f32_e32 v134, v136, v137
	s_or_b32 s2, vcc_lo, s2
	s_and_not1_b32 exec_lo, exec_lo, s2
	s_cbranch_execnz .LBB31_397
; %bb.398:
	s_or_b32 exec_lo, exec_lo, s2
.LBB31_399:
	s_delay_alu instid0(SALU_CYCLE_1)
	s_or_b32 exec_lo, exec_lo, s0
.LBB31_400:
	s_delay_alu instid0(SALU_CYCLE_1)
	s_or_b32 exec_lo, exec_lo, s5
	v_mov_b32_e32 v39, 0
	ds_load_b32 v39, v39 offset:20
	s_wait_dscnt 0x0
	v_mul_f32_e32 v39, v134, v39
.LBB31_401:
	s_or_b32 exec_lo, exec_lo, s4
	v_cmp_lt_u32_e64 s0, 4, v0
	ds_store_b32 v133, v38
	s_wait_dscnt 0x0
	s_barrier_signal -1
	s_barrier_wait -1
	s_and_saveexec_b32 s4, s0
	s_cbranch_execz .LBB31_417
; %bb.402:
	s_and_not1_b32 vcc_lo, exec_lo, s33
	s_cbranch_vccnz .LBB31_404
; %bb.403:
	v_cmp_eq_u32_e32 vcc_lo, 1, v0
	ds_load_b32 v131, v133
	v_cndmask_b32_e32 v130, v34, v35, vcc_lo
	v_cmp_eq_u32_e32 vcc_lo, 2, v0
	s_delay_alu instid0(VALU_DEP_2) | instskip(SKIP_1) | instid1(VALU_DEP_2)
	v_cndmask_b32_e32 v130, v130, v36, vcc_lo
	v_cmp_eq_u32_e32 vcc_lo, 3, v0
	v_cndmask_b32_e32 v130, v130, v37, vcc_lo
	v_cmp_eq_u32_e32 vcc_lo, 4, v0
	s_delay_alu instid0(VALU_DEP_2) | instskip(SKIP_1) | instid1(VALU_DEP_2)
	v_cndmask_b32_e32 v130, v130, v38, vcc_lo
	v_cmp_eq_u32_e32 vcc_lo, 5, v0
	;; [unrolled: 5-line block ×15, first 2 shown]
	v_cndmask_b32_e32 v130, v130, v65, vcc_lo
	s_wait_dscnt 0x0
	s_delay_alu instid0(VALU_DEP_1)
	v_mul_f32_e32 v134, v130, v131
	s_cbranch_execz .LBB31_405
	s_branch .LBB31_406
.LBB31_404:
                                        ; implicit-def: $vgpr134
.LBB31_405:
	ds_load_b32 v134, v133
.LBB31_406:
	s_and_saveexec_b32 s5, s1
	s_cbranch_execz .LBB31_416
; %bb.407:
	v_dual_add_nc_u32 v130, -6, v0 :: v_dual_add_nc_u32 v131, -5, v0
	s_delay_alu instid0(VALU_DEP_1)
	v_cmp_lt_u32_e32 vcc_lo, 6, v130
	v_mov_b32_e32 v130, 5
	s_and_saveexec_b32 s1, vcc_lo
	s_cbranch_execz .LBB31_411
; %bb.408:
	v_and_b32_e32 v130, -8, v131
	s_mov_b32 s6, 0
	s_mov_b64 s[2:3], 12
	s_movk_i32 s7, 0x94
	s_delay_alu instid0(VALU_DEP_1)
	v_sub_nc_u32_e32 v132, 0, v130
.LBB31_409:                             ; =>This Inner Loop Header: Depth=1
	s_add_co_i32 m0, s2, -7
	v_movrels_b32_e32 v130, v34
	v_mov_b32_e32 v135, s7
	s_add_co_i32 m0, s2, -6
	s_add_co_i32 s7, s7, 32
	ds_load_2addr_b32 v[136:137], v135 offset1:1
	s_wait_dscnt 0x0
	v_fmac_f32_e32 v134, v130, v136
	v_movrels_b32_e32 v130, v34
	s_add_co_i32 m0, s2, -5
	s_delay_alu instid0(VALU_DEP_1) | instskip(SKIP_4) | instid1(VALU_DEP_1)
	v_fmac_f32_e32 v134, v130, v137
	ds_load_2addr_b32 v[136:137], v135 offset0:2 offset1:3
	v_movrels_b32_e32 v130, v34
	s_add_co_i32 m0, s2, -4
	s_wait_dscnt 0x0
	v_fmac_f32_e32 v134, v130, v136
	v_movrels_b32_e32 v130, v34
	s_add_co_i32 m0, s2, -3
	s_delay_alu instid0(VALU_DEP_1) | instskip(SKIP_4) | instid1(VALU_DEP_1)
	v_fmac_f32_e32 v134, v130, v137
	ds_load_2addr_b32 v[136:137], v135 offset0:4 offset1:5
	v_movrels_b32_e32 v130, v34
	s_add_co_i32 m0, s2, -2
	s_wait_dscnt 0x0
	v_fmac_f32_e32 v134, v130, v136
	v_movrels_b32_e32 v130, v34
	s_add_co_i32 m0, s2, -1
	s_delay_alu instid0(VALU_DEP_1) | instskip(SKIP_4) | instid1(SALU_CYCLE_1)
	v_fmac_f32_e32 v134, v130, v137
	ds_load_2addr_b32 v[136:137], v135 offset0:6 offset1:7
	v_movrels_b32_e32 v130, v34
	s_mov_b32 m0, s2
	s_add_nc_u64 s[2:3], s[2:3], 8
	s_add_co_i32 s8, s2, -7
	s_wait_dscnt 0x0
	v_fmac_f32_e32 v134, v130, v136
	v_movrels_b32_e32 v130, v34
	s_delay_alu instid0(VALU_DEP_1) | instskip(NEXT) | instid1(VALU_DEP_1)
	v_dual_fmac_f32 v134, v130, v137 :: v_dual_add_nc_u32 v130, s2, v132
	v_cmp_eq_u32_e32 vcc_lo, 12, v130
	v_mov_b32_e32 v130, s8
	s_or_b32 s6, vcc_lo, s6
	s_delay_alu instid0(SALU_CYCLE_1)
	s_and_not1_b32 exec_lo, exec_lo, s6
	s_cbranch_execnz .LBB31_409
; %bb.410:
	s_or_b32 exec_lo, exec_lo, s6
.LBB31_411:
	s_delay_alu instid0(SALU_CYCLE_1) | instskip(SKIP_3) | instid1(VALU_DEP_1)
	s_or_b32 exec_lo, exec_lo, s1
	v_and_b32_e32 v132, 7, v131
	s_mov_b32 s2, 0
	s_mov_b32 s1, exec_lo
	v_cmpx_ne_u32_e32 0, v132
	s_cbranch_execz .LBB31_415
; %bb.412:
	v_lshl_add_u32 v135, v130, 2, 0x80
	v_mov_b32_e32 v131, 0
.LBB31_413:                             ; =>This Inner Loop Header: Depth=1
	v_cmp_eq_u32_e32 vcc_lo, 1, v130
	ds_load_b32 v137, v135
	v_dual_add_nc_u32 v132, -1, v132 :: v_dual_add_nc_u32 v135, 4, v135
	v_cndmask_b32_e32 v136, v34, v35, vcc_lo
	v_cmp_eq_u32_e32 vcc_lo, 2, v130
	s_delay_alu instid0(VALU_DEP_2) | instskip(SKIP_1) | instid1(VALU_DEP_2)
	v_cndmask_b32_e32 v136, v136, v36, vcc_lo
	v_cmp_eq_u32_e32 vcc_lo, 3, v130
	v_cndmask_b32_e32 v136, v136, v37, vcc_lo
	v_cmp_eq_u32_e32 vcc_lo, 4, v130
	s_delay_alu instid0(VALU_DEP_2) | instskip(SKIP_1) | instid1(VALU_DEP_2)
	v_cndmask_b32_e32 v136, v136, v38, vcc_lo
	v_cmp_eq_u32_e32 vcc_lo, 5, v130
	;; [unrolled: 5-line block ×14, first 2 shown]
	v_cndmask_b32_e32 v136, v136, v63, vcc_lo
	v_cmp_eq_u32_e32 vcc_lo, 30, v130
	s_delay_alu instid0(VALU_DEP_2) | instskip(SKIP_2) | instid1(VALU_DEP_3)
	v_cndmask_b32_e32 v136, v136, v64, vcc_lo
	v_cmp_eq_u32_e32 vcc_lo, 31, v130
	v_add_nc_u64_e32 v[130:131], 1, v[130:131]
	v_cndmask_b32_e32 v136, v136, v65, vcc_lo
	v_cmp_eq_u32_e32 vcc_lo, 0, v132
	s_wait_dscnt 0x0
	s_delay_alu instid0(VALU_DEP_2) | instskip(SKIP_1) | instid1(SALU_CYCLE_1)
	v_fmac_f32_e32 v134, v136, v137
	s_or_b32 s2, vcc_lo, s2
	s_and_not1_b32 exec_lo, exec_lo, s2
	s_cbranch_execnz .LBB31_413
; %bb.414:
	s_or_b32 exec_lo, exec_lo, s2
.LBB31_415:
	s_delay_alu instid0(SALU_CYCLE_1)
	s_or_b32 exec_lo, exec_lo, s1
.LBB31_416:
	s_delay_alu instid0(SALU_CYCLE_1)
	s_or_b32 exec_lo, exec_lo, s5
	v_mov_b32_e32 v38, 0
	ds_load_b32 v38, v38 offset:16
	s_wait_dscnt 0x0
	v_mul_f32_e32 v38, v134, v38
.LBB31_417:
	s_or_b32 exec_lo, exec_lo, s4
	v_cmp_lt_u32_e64 s1, 3, v0
	ds_store_b32 v133, v37
	s_wait_dscnt 0x0
	s_barrier_signal -1
	s_barrier_wait -1
	s_and_saveexec_b32 s4, s1
	s_cbranch_execz .LBB31_433
; %bb.418:
	s_and_not1_b32 vcc_lo, exec_lo, s33
	s_cbranch_vccnz .LBB31_420
; %bb.419:
	v_cmp_eq_u32_e32 vcc_lo, 1, v0
	ds_load_b32 v131, v133
	v_cndmask_b32_e32 v130, v34, v35, vcc_lo
	v_cmp_eq_u32_e32 vcc_lo, 2, v0
	s_delay_alu instid0(VALU_DEP_2) | instskip(SKIP_1) | instid1(VALU_DEP_2)
	v_cndmask_b32_e32 v130, v130, v36, vcc_lo
	v_cmp_eq_u32_e32 vcc_lo, 3, v0
	v_cndmask_b32_e32 v130, v130, v37, vcc_lo
	v_cmp_eq_u32_e32 vcc_lo, 4, v0
	s_delay_alu instid0(VALU_DEP_2) | instskip(SKIP_1) | instid1(VALU_DEP_2)
	v_cndmask_b32_e32 v130, v130, v38, vcc_lo
	v_cmp_eq_u32_e32 vcc_lo, 5, v0
	;; [unrolled: 5-line block ×15, first 2 shown]
	v_cndmask_b32_e32 v130, v130, v65, vcc_lo
	s_wait_dscnt 0x0
	s_delay_alu instid0(VALU_DEP_1)
	v_mul_f32_e32 v134, v130, v131
	s_cbranch_execz .LBB31_421
	s_branch .LBB31_422
.LBB31_420:
                                        ; implicit-def: $vgpr134
.LBB31_421:
	ds_load_b32 v134, v133
.LBB31_422:
	s_and_saveexec_b32 s5, s0
	s_cbranch_execz .LBB31_432
; %bb.423:
	v_dual_add_nc_u32 v130, -5, v0 :: v_dual_add_nc_u32 v131, -4, v0
	s_delay_alu instid0(VALU_DEP_1)
	v_cmp_lt_u32_e32 vcc_lo, 6, v130
	v_mov_b32_e32 v130, 4
	s_and_saveexec_b32 s0, vcc_lo
	s_cbranch_execz .LBB31_427
; %bb.424:
	v_and_b32_e32 v130, -8, v131
	s_mov_b32 s6, 0
	s_mov_b64 s[2:3], 5
	s_movk_i32 s7, 0x90
	s_delay_alu instid0(VALU_DEP_1)
	v_sub_nc_u32_e32 v132, 0, v130
.LBB31_425:                             ; =>This Inner Loop Header: Depth=1
	s_add_co_i32 m0, s2, -1
	v_movrels_b32_e32 v130, v34
	v_mov_b32_e32 v135, s7
	s_mov_b32 m0, s2
	s_add_co_i32 s7, s7, 32
	ds_load_b128 v[136:139], v135
	ds_load_b128 v[140:143], v135 offset:16
	s_wait_dscnt 0x1
	v_fmac_f32_e32 v134, v130, v136
	v_movrels_b32_e32 v130, v34
	s_add_co_i32 m0, s2, 1
	s_delay_alu instid0(VALU_DEP_1) | instskip(SKIP_2) | instid1(VALU_DEP_1)
	v_fmac_f32_e32 v134, v130, v137
	v_movrels_b32_e32 v130, v34
	s_add_co_i32 m0, s2, 2
	v_fmac_f32_e32 v134, v130, v138
	v_movrels_b32_e32 v130, v34
	s_add_co_i32 m0, s2, 3
	s_delay_alu instid0(VALU_DEP_1) | instskip(SKIP_3) | instid1(VALU_DEP_1)
	v_fmac_f32_e32 v134, v130, v139
	v_movrels_b32_e32 v130, v34
	s_add_co_i32 m0, s2, 4
	s_wait_dscnt 0x0
	v_fmac_f32_e32 v134, v130, v140
	v_movrels_b32_e32 v130, v34
	s_add_co_i32 m0, s2, 5
	s_delay_alu instid0(VALU_DEP_1) | instskip(SKIP_3) | instid1(SALU_CYCLE_1)
	v_fmac_f32_e32 v134, v130, v141
	v_movrels_b32_e32 v130, v34
	s_add_co_i32 m0, s2, 6
	s_add_nc_u64 s[2:3], s[2:3], 8
	s_add_co_i32 s8, s2, -1
	s_delay_alu instid0(VALU_DEP_1) | instskip(SKIP_1) | instid1(VALU_DEP_1)
	v_fmac_f32_e32 v134, v130, v142
	v_movrels_b32_e32 v130, v34
	v_dual_fmac_f32 v134, v130, v143 :: v_dual_add_nc_u32 v130, s2, v132
	s_delay_alu instid0(VALU_DEP_1) | instskip(SKIP_2) | instid1(SALU_CYCLE_1)
	v_cmp_eq_u32_e32 vcc_lo, 5, v130
	v_mov_b32_e32 v130, s8
	s_or_b32 s6, vcc_lo, s6
	s_and_not1_b32 exec_lo, exec_lo, s6
	s_cbranch_execnz .LBB31_425
; %bb.426:
	s_or_b32 exec_lo, exec_lo, s6
.LBB31_427:
	s_delay_alu instid0(SALU_CYCLE_1) | instskip(SKIP_3) | instid1(VALU_DEP_1)
	s_or_b32 exec_lo, exec_lo, s0
	v_and_b32_e32 v132, 7, v131
	s_mov_b32 s2, 0
	s_mov_b32 s0, exec_lo
	v_cmpx_ne_u32_e32 0, v132
	s_cbranch_execz .LBB31_431
; %bb.428:
	v_lshl_add_u32 v135, v130, 2, 0x80
	v_mov_b32_e32 v131, 0
.LBB31_429:                             ; =>This Inner Loop Header: Depth=1
	v_cmp_eq_u32_e32 vcc_lo, 1, v130
	ds_load_b32 v137, v135
	v_dual_add_nc_u32 v132, -1, v132 :: v_dual_add_nc_u32 v135, 4, v135
	v_cndmask_b32_e32 v136, v34, v35, vcc_lo
	v_cmp_eq_u32_e32 vcc_lo, 2, v130
	s_delay_alu instid0(VALU_DEP_2) | instskip(SKIP_1) | instid1(VALU_DEP_2)
	v_cndmask_b32_e32 v136, v136, v36, vcc_lo
	v_cmp_eq_u32_e32 vcc_lo, 3, v130
	v_cndmask_b32_e32 v136, v136, v37, vcc_lo
	v_cmp_eq_u32_e32 vcc_lo, 4, v130
	s_delay_alu instid0(VALU_DEP_2) | instskip(SKIP_1) | instid1(VALU_DEP_2)
	v_cndmask_b32_e32 v136, v136, v38, vcc_lo
	v_cmp_eq_u32_e32 vcc_lo, 5, v130
	v_cndmask_b32_e32 v136, v136, v39, vcc_lo
	v_cmp_eq_u32_e32 vcc_lo, 6, v130
	s_delay_alu instid0(VALU_DEP_2) | instskip(SKIP_1) | instid1(VALU_DEP_2)
	v_cndmask_b32_e32 v136, v136, v40, vcc_lo
	v_cmp_eq_u32_e32 vcc_lo, 7, v130
	v_cndmask_b32_e32 v136, v136, v41, vcc_lo
	v_cmp_eq_u32_e32 vcc_lo, 8, v130
	s_delay_alu instid0(VALU_DEP_2) | instskip(SKIP_1) | instid1(VALU_DEP_2)
	v_cndmask_b32_e32 v136, v136, v42, vcc_lo
	v_cmp_eq_u32_e32 vcc_lo, 9, v130
	v_cndmask_b32_e32 v136, v136, v43, vcc_lo
	v_cmp_eq_u32_e32 vcc_lo, 10, v130
	s_delay_alu instid0(VALU_DEP_2) | instskip(SKIP_1) | instid1(VALU_DEP_2)
	v_cndmask_b32_e32 v136, v136, v44, vcc_lo
	v_cmp_eq_u32_e32 vcc_lo, 11, v130
	v_cndmask_b32_e32 v136, v136, v45, vcc_lo
	v_cmp_eq_u32_e32 vcc_lo, 12, v130
	s_delay_alu instid0(VALU_DEP_2) | instskip(SKIP_1) | instid1(VALU_DEP_2)
	v_cndmask_b32_e32 v136, v136, v46, vcc_lo
	v_cmp_eq_u32_e32 vcc_lo, 13, v130
	v_cndmask_b32_e32 v136, v136, v47, vcc_lo
	v_cmp_eq_u32_e32 vcc_lo, 14, v130
	s_delay_alu instid0(VALU_DEP_2) | instskip(SKIP_1) | instid1(VALU_DEP_2)
	v_cndmask_b32_e32 v136, v136, v48, vcc_lo
	v_cmp_eq_u32_e32 vcc_lo, 15, v130
	v_cndmask_b32_e32 v136, v136, v49, vcc_lo
	v_cmp_eq_u32_e32 vcc_lo, 16, v130
	s_delay_alu instid0(VALU_DEP_2) | instskip(SKIP_1) | instid1(VALU_DEP_2)
	v_cndmask_b32_e32 v136, v136, v50, vcc_lo
	v_cmp_eq_u32_e32 vcc_lo, 17, v130
	v_cndmask_b32_e32 v136, v136, v51, vcc_lo
	v_cmp_eq_u32_e32 vcc_lo, 18, v130
	s_delay_alu instid0(VALU_DEP_2) | instskip(SKIP_1) | instid1(VALU_DEP_2)
	v_cndmask_b32_e32 v136, v136, v52, vcc_lo
	v_cmp_eq_u32_e32 vcc_lo, 19, v130
	v_cndmask_b32_e32 v136, v136, v53, vcc_lo
	v_cmp_eq_u32_e32 vcc_lo, 20, v130
	s_delay_alu instid0(VALU_DEP_2) | instskip(SKIP_1) | instid1(VALU_DEP_2)
	v_cndmask_b32_e32 v136, v136, v54, vcc_lo
	v_cmp_eq_u32_e32 vcc_lo, 21, v130
	v_cndmask_b32_e32 v136, v136, v55, vcc_lo
	v_cmp_eq_u32_e32 vcc_lo, 22, v130
	s_delay_alu instid0(VALU_DEP_2) | instskip(SKIP_1) | instid1(VALU_DEP_2)
	v_cndmask_b32_e32 v136, v136, v56, vcc_lo
	v_cmp_eq_u32_e32 vcc_lo, 23, v130
	v_cndmask_b32_e32 v136, v136, v57, vcc_lo
	v_cmp_eq_u32_e32 vcc_lo, 24, v130
	s_delay_alu instid0(VALU_DEP_2) | instskip(SKIP_1) | instid1(VALU_DEP_2)
	v_cndmask_b32_e32 v136, v136, v58, vcc_lo
	v_cmp_eq_u32_e32 vcc_lo, 25, v130
	v_cndmask_b32_e32 v136, v136, v59, vcc_lo
	v_cmp_eq_u32_e32 vcc_lo, 26, v130
	s_delay_alu instid0(VALU_DEP_2) | instskip(SKIP_1) | instid1(VALU_DEP_2)
	v_cndmask_b32_e32 v136, v136, v60, vcc_lo
	v_cmp_eq_u32_e32 vcc_lo, 27, v130
	v_cndmask_b32_e32 v136, v136, v61, vcc_lo
	v_cmp_eq_u32_e32 vcc_lo, 28, v130
	s_delay_alu instid0(VALU_DEP_2) | instskip(SKIP_1) | instid1(VALU_DEP_2)
	v_cndmask_b32_e32 v136, v136, v62, vcc_lo
	v_cmp_eq_u32_e32 vcc_lo, 29, v130
	v_cndmask_b32_e32 v136, v136, v63, vcc_lo
	v_cmp_eq_u32_e32 vcc_lo, 30, v130
	s_delay_alu instid0(VALU_DEP_2) | instskip(SKIP_2) | instid1(VALU_DEP_3)
	v_cndmask_b32_e32 v136, v136, v64, vcc_lo
	v_cmp_eq_u32_e32 vcc_lo, 31, v130
	v_add_nc_u64_e32 v[130:131], 1, v[130:131]
	v_cndmask_b32_e32 v136, v136, v65, vcc_lo
	v_cmp_eq_u32_e32 vcc_lo, 0, v132
	s_wait_dscnt 0x0
	s_delay_alu instid0(VALU_DEP_2) | instskip(SKIP_1) | instid1(SALU_CYCLE_1)
	v_fmac_f32_e32 v134, v136, v137
	s_or_b32 s2, vcc_lo, s2
	s_and_not1_b32 exec_lo, exec_lo, s2
	s_cbranch_execnz .LBB31_429
; %bb.430:
	s_or_b32 exec_lo, exec_lo, s2
.LBB31_431:
	s_delay_alu instid0(SALU_CYCLE_1)
	s_or_b32 exec_lo, exec_lo, s0
.LBB31_432:
	s_delay_alu instid0(SALU_CYCLE_1)
	s_or_b32 exec_lo, exec_lo, s5
	v_mov_b32_e32 v37, 0
	ds_load_b32 v37, v37 offset:12
	s_wait_dscnt 0x0
	v_mul_f32_e32 v37, v134, v37
.LBB31_433:
	s_or_b32 exec_lo, exec_lo, s4
	v_cmp_lt_u32_e64 s0, 2, v0
	ds_store_b32 v133, v36
	s_wait_dscnt 0x0
	s_barrier_signal -1
	s_barrier_wait -1
	s_and_saveexec_b32 s4, s0
	s_cbranch_execz .LBB31_449
; %bb.434:
	s_and_not1_b32 vcc_lo, exec_lo, s33
	s_cbranch_vccnz .LBB31_436
; %bb.435:
	v_cmp_eq_u32_e32 vcc_lo, 1, v0
	ds_load_b32 v131, v133
	v_cndmask_b32_e32 v130, v34, v35, vcc_lo
	v_cmp_eq_u32_e32 vcc_lo, 2, v0
	s_delay_alu instid0(VALU_DEP_2) | instskip(SKIP_1) | instid1(VALU_DEP_2)
	v_cndmask_b32_e32 v130, v130, v36, vcc_lo
	v_cmp_eq_u32_e32 vcc_lo, 3, v0
	v_cndmask_b32_e32 v130, v130, v37, vcc_lo
	v_cmp_eq_u32_e32 vcc_lo, 4, v0
	s_delay_alu instid0(VALU_DEP_2) | instskip(SKIP_1) | instid1(VALU_DEP_2)
	v_cndmask_b32_e32 v130, v130, v38, vcc_lo
	v_cmp_eq_u32_e32 vcc_lo, 5, v0
	;; [unrolled: 5-line block ×15, first 2 shown]
	v_cndmask_b32_e32 v130, v130, v65, vcc_lo
	s_wait_dscnt 0x0
	s_delay_alu instid0(VALU_DEP_1)
	v_mul_f32_e32 v134, v130, v131
	s_cbranch_execz .LBB31_437
	s_branch .LBB31_438
.LBB31_436:
                                        ; implicit-def: $vgpr134
.LBB31_437:
	ds_load_b32 v134, v133
.LBB31_438:
	s_and_saveexec_b32 s5, s1
	s_cbranch_execz .LBB31_448
; %bb.439:
	v_dual_add_nc_u32 v130, -4, v0 :: v_dual_add_nc_u32 v131, -3, v0
	s_delay_alu instid0(VALU_DEP_1)
	v_cmp_lt_u32_e32 vcc_lo, 6, v130
	v_mov_b32_e32 v130, 3
	s_and_saveexec_b32 s1, vcc_lo
	s_cbranch_execz .LBB31_443
; %bb.440:
	v_and_b32_e32 v130, -8, v131
	s_mov_b32 s6, 0
	s_mov_b64 s[2:3], 10
	s_movk_i32 s7, 0x8c
	s_delay_alu instid0(VALU_DEP_1)
	v_sub_nc_u32_e32 v132, 0, v130
.LBB31_441:                             ; =>This Inner Loop Header: Depth=1
	s_add_co_i32 m0, s2, -7
	v_movrels_b32_e32 v130, v34
	v_mov_b32_e32 v135, s7
	s_add_co_i32 m0, s2, -6
	s_add_co_i32 s7, s7, 32
	ds_load_2addr_b32 v[136:137], v135 offset1:1
	s_wait_dscnt 0x0
	v_fmac_f32_e32 v134, v130, v136
	v_movrels_b32_e32 v130, v34
	s_add_co_i32 m0, s2, -5
	s_delay_alu instid0(VALU_DEP_1) | instskip(SKIP_4) | instid1(VALU_DEP_1)
	v_fmac_f32_e32 v134, v130, v137
	ds_load_2addr_b32 v[136:137], v135 offset0:2 offset1:3
	v_movrels_b32_e32 v130, v34
	s_add_co_i32 m0, s2, -4
	s_wait_dscnt 0x0
	v_fmac_f32_e32 v134, v130, v136
	v_movrels_b32_e32 v130, v34
	s_add_co_i32 m0, s2, -3
	s_delay_alu instid0(VALU_DEP_1) | instskip(SKIP_4) | instid1(VALU_DEP_1)
	v_fmac_f32_e32 v134, v130, v137
	ds_load_2addr_b32 v[136:137], v135 offset0:4 offset1:5
	v_movrels_b32_e32 v130, v34
	s_add_co_i32 m0, s2, -2
	s_wait_dscnt 0x0
	v_fmac_f32_e32 v134, v130, v136
	v_movrels_b32_e32 v130, v34
	s_add_co_i32 m0, s2, -1
	s_delay_alu instid0(VALU_DEP_1) | instskip(SKIP_4) | instid1(SALU_CYCLE_1)
	v_fmac_f32_e32 v134, v130, v137
	ds_load_2addr_b32 v[136:137], v135 offset0:6 offset1:7
	v_movrels_b32_e32 v130, v34
	s_mov_b32 m0, s2
	s_add_nc_u64 s[2:3], s[2:3], 8
	s_add_co_i32 s8, s2, -7
	s_wait_dscnt 0x0
	v_fmac_f32_e32 v134, v130, v136
	v_movrels_b32_e32 v130, v34
	s_delay_alu instid0(VALU_DEP_1) | instskip(NEXT) | instid1(VALU_DEP_1)
	v_dual_fmac_f32 v134, v130, v137 :: v_dual_add_nc_u32 v130, s2, v132
	v_cmp_eq_u32_e32 vcc_lo, 10, v130
	v_mov_b32_e32 v130, s8
	s_or_b32 s6, vcc_lo, s6
	s_delay_alu instid0(SALU_CYCLE_1)
	s_and_not1_b32 exec_lo, exec_lo, s6
	s_cbranch_execnz .LBB31_441
; %bb.442:
	s_or_b32 exec_lo, exec_lo, s6
.LBB31_443:
	s_delay_alu instid0(SALU_CYCLE_1) | instskip(SKIP_3) | instid1(VALU_DEP_1)
	s_or_b32 exec_lo, exec_lo, s1
	v_and_b32_e32 v132, 7, v131
	s_mov_b32 s2, 0
	s_mov_b32 s1, exec_lo
	v_cmpx_ne_u32_e32 0, v132
	s_cbranch_execz .LBB31_447
; %bb.444:
	v_lshl_add_u32 v135, v130, 2, 0x80
	v_mov_b32_e32 v131, 0
.LBB31_445:                             ; =>This Inner Loop Header: Depth=1
	v_cmp_eq_u32_e32 vcc_lo, 1, v130
	ds_load_b32 v137, v135
	v_dual_add_nc_u32 v132, -1, v132 :: v_dual_add_nc_u32 v135, 4, v135
	v_cndmask_b32_e32 v136, v34, v35, vcc_lo
	v_cmp_eq_u32_e32 vcc_lo, 2, v130
	s_delay_alu instid0(VALU_DEP_2) | instskip(SKIP_1) | instid1(VALU_DEP_2)
	v_cndmask_b32_e32 v136, v136, v36, vcc_lo
	v_cmp_eq_u32_e32 vcc_lo, 3, v130
	v_cndmask_b32_e32 v136, v136, v37, vcc_lo
	v_cmp_eq_u32_e32 vcc_lo, 4, v130
	s_delay_alu instid0(VALU_DEP_2) | instskip(SKIP_1) | instid1(VALU_DEP_2)
	v_cndmask_b32_e32 v136, v136, v38, vcc_lo
	v_cmp_eq_u32_e32 vcc_lo, 5, v130
	;; [unrolled: 5-line block ×14, first 2 shown]
	v_cndmask_b32_e32 v136, v136, v63, vcc_lo
	v_cmp_eq_u32_e32 vcc_lo, 30, v130
	s_delay_alu instid0(VALU_DEP_2) | instskip(SKIP_2) | instid1(VALU_DEP_3)
	v_cndmask_b32_e32 v136, v136, v64, vcc_lo
	v_cmp_eq_u32_e32 vcc_lo, 31, v130
	v_add_nc_u64_e32 v[130:131], 1, v[130:131]
	v_cndmask_b32_e32 v136, v136, v65, vcc_lo
	v_cmp_eq_u32_e32 vcc_lo, 0, v132
	s_wait_dscnt 0x0
	s_delay_alu instid0(VALU_DEP_2) | instskip(SKIP_1) | instid1(SALU_CYCLE_1)
	v_fmac_f32_e32 v134, v136, v137
	s_or_b32 s2, vcc_lo, s2
	s_and_not1_b32 exec_lo, exec_lo, s2
	s_cbranch_execnz .LBB31_445
; %bb.446:
	s_or_b32 exec_lo, exec_lo, s2
.LBB31_447:
	s_delay_alu instid0(SALU_CYCLE_1)
	s_or_b32 exec_lo, exec_lo, s1
.LBB31_448:
	s_delay_alu instid0(SALU_CYCLE_1)
	s_or_b32 exec_lo, exec_lo, s5
	v_mov_b32_e32 v36, 0
	ds_load_b32 v36, v36 offset:8
	s_wait_dscnt 0x0
	v_mul_f32_e32 v36, v134, v36
.LBB31_449:
	s_or_b32 exec_lo, exec_lo, s4
	v_cmp_lt_u32_e64 s1, 1, v0
	ds_store_b32 v133, v35
	s_wait_dscnt 0x0
	s_barrier_signal -1
	s_barrier_wait -1
	s_and_saveexec_b32 s4, s1
	s_cbranch_execz .LBB31_465
; %bb.450:
	s_and_not1_b32 vcc_lo, exec_lo, s33
	s_cbranch_vccnz .LBB31_452
; %bb.451:
	v_cmp_eq_u32_e32 vcc_lo, 1, v0
	ds_load_b32 v131, v133
	v_cndmask_b32_e32 v130, v34, v35, vcc_lo
	v_cmp_eq_u32_e32 vcc_lo, 2, v0
	s_delay_alu instid0(VALU_DEP_2) | instskip(SKIP_1) | instid1(VALU_DEP_2)
	v_cndmask_b32_e32 v130, v130, v36, vcc_lo
	v_cmp_eq_u32_e32 vcc_lo, 3, v0
	v_cndmask_b32_e32 v130, v130, v37, vcc_lo
	v_cmp_eq_u32_e32 vcc_lo, 4, v0
	s_delay_alu instid0(VALU_DEP_2) | instskip(SKIP_1) | instid1(VALU_DEP_2)
	v_cndmask_b32_e32 v130, v130, v38, vcc_lo
	v_cmp_eq_u32_e32 vcc_lo, 5, v0
	;; [unrolled: 5-line block ×15, first 2 shown]
	v_cndmask_b32_e32 v130, v130, v65, vcc_lo
	s_wait_dscnt 0x0
	s_delay_alu instid0(VALU_DEP_1)
	v_mul_f32_e32 v134, v130, v131
	s_cbranch_execz .LBB31_453
	s_branch .LBB31_454
.LBB31_452:
                                        ; implicit-def: $vgpr134
.LBB31_453:
	ds_load_b32 v134, v133
.LBB31_454:
	s_and_saveexec_b32 s5, s0
	s_cbranch_execz .LBB31_464
; %bb.455:
	v_dual_add_nc_u32 v130, -3, v0 :: v_dual_add_nc_u32 v131, -2, v0
	s_delay_alu instid0(VALU_DEP_1)
	v_cmp_lt_u32_e32 vcc_lo, 6, v130
	v_mov_b32_e32 v130, 2
	s_and_saveexec_b32 s0, vcc_lo
	s_cbranch_execz .LBB31_459
; %bb.456:
	v_and_b32_e32 v130, -8, v131
	s_mov_b32 s6, 0
	s_mov_b64 s[2:3], 9
	s_movk_i32 s7, 0x88
	s_delay_alu instid0(VALU_DEP_1)
	v_sub_nc_u32_e32 v132, 0, v130
.LBB31_457:                             ; =>This Inner Loop Header: Depth=1
	s_add_co_i32 m0, s2, -7
	v_movrels_b32_e32 v130, v34
	v_mov_b32_e32 v135, s7
	s_add_co_i32 m0, s2, -6
	s_add_co_i32 s7, s7, 32
	ds_load_2addr_b64 v[136:139], v135 offset1:1
	s_wait_dscnt 0x0
	v_fmac_f32_e32 v134, v130, v136
	v_movrels_b32_e32 v130, v34
	s_add_co_i32 m0, s2, -5
	s_delay_alu instid0(VALU_DEP_1) | instskip(SKIP_2) | instid1(VALU_DEP_1)
	v_fmac_f32_e32 v134, v130, v137
	v_movrels_b32_e32 v130, v34
	s_add_co_i32 m0, s2, -4
	v_fmac_f32_e32 v134, v130, v138
	v_movrels_b32_e32 v130, v34
	s_add_co_i32 m0, s2, -3
	s_delay_alu instid0(VALU_DEP_1) | instskip(SKIP_4) | instid1(VALU_DEP_1)
	v_fmac_f32_e32 v134, v130, v139
	ds_load_2addr_b64 v[136:139], v135 offset0:2 offset1:3
	v_movrels_b32_e32 v130, v34
	s_add_co_i32 m0, s2, -2
	s_wait_dscnt 0x0
	v_fmac_f32_e32 v134, v130, v136
	v_movrels_b32_e32 v130, v34
	s_add_co_i32 m0, s2, -1
	s_delay_alu instid0(VALU_DEP_1) | instskip(SKIP_3) | instid1(SALU_CYCLE_1)
	v_fmac_f32_e32 v134, v130, v137
	v_movrels_b32_e32 v130, v34
	s_mov_b32 m0, s2
	s_add_nc_u64 s[2:3], s[2:3], 8
	s_add_co_i32 s8, s2, -7
	s_delay_alu instid0(VALU_DEP_1) | instskip(SKIP_1) | instid1(VALU_DEP_1)
	v_fmac_f32_e32 v134, v130, v138
	v_movrels_b32_e32 v130, v34
	v_dual_fmac_f32 v134, v130, v139 :: v_dual_add_nc_u32 v130, s2, v132
	s_delay_alu instid0(VALU_DEP_1) | instskip(SKIP_2) | instid1(SALU_CYCLE_1)
	v_cmp_eq_u32_e32 vcc_lo, 9, v130
	v_mov_b32_e32 v130, s8
	s_or_b32 s6, vcc_lo, s6
	s_and_not1_b32 exec_lo, exec_lo, s6
	s_cbranch_execnz .LBB31_457
; %bb.458:
	s_or_b32 exec_lo, exec_lo, s6
.LBB31_459:
	s_delay_alu instid0(SALU_CYCLE_1) | instskip(SKIP_3) | instid1(VALU_DEP_1)
	s_or_b32 exec_lo, exec_lo, s0
	v_and_b32_e32 v132, 7, v131
	s_mov_b32 s2, 0
	s_mov_b32 s0, exec_lo
	v_cmpx_ne_u32_e32 0, v132
	s_cbranch_execz .LBB31_463
; %bb.460:
	v_lshl_add_u32 v135, v130, 2, 0x80
	v_mov_b32_e32 v131, 0
.LBB31_461:                             ; =>This Inner Loop Header: Depth=1
	v_cmp_eq_u32_e32 vcc_lo, 1, v130
	ds_load_b32 v137, v135
	v_dual_add_nc_u32 v132, -1, v132 :: v_dual_add_nc_u32 v135, 4, v135
	v_cndmask_b32_e32 v136, v34, v35, vcc_lo
	v_cmp_eq_u32_e32 vcc_lo, 2, v130
	s_delay_alu instid0(VALU_DEP_2) | instskip(SKIP_1) | instid1(VALU_DEP_2)
	v_cndmask_b32_e32 v136, v136, v36, vcc_lo
	v_cmp_eq_u32_e32 vcc_lo, 3, v130
	v_cndmask_b32_e32 v136, v136, v37, vcc_lo
	v_cmp_eq_u32_e32 vcc_lo, 4, v130
	s_delay_alu instid0(VALU_DEP_2) | instskip(SKIP_1) | instid1(VALU_DEP_2)
	v_cndmask_b32_e32 v136, v136, v38, vcc_lo
	v_cmp_eq_u32_e32 vcc_lo, 5, v130
	;; [unrolled: 5-line block ×14, first 2 shown]
	v_cndmask_b32_e32 v136, v136, v63, vcc_lo
	v_cmp_eq_u32_e32 vcc_lo, 30, v130
	s_delay_alu instid0(VALU_DEP_2) | instskip(SKIP_2) | instid1(VALU_DEP_3)
	v_cndmask_b32_e32 v136, v136, v64, vcc_lo
	v_cmp_eq_u32_e32 vcc_lo, 31, v130
	v_add_nc_u64_e32 v[130:131], 1, v[130:131]
	v_cndmask_b32_e32 v136, v136, v65, vcc_lo
	v_cmp_eq_u32_e32 vcc_lo, 0, v132
	s_wait_dscnt 0x0
	s_delay_alu instid0(VALU_DEP_2) | instskip(SKIP_1) | instid1(SALU_CYCLE_1)
	v_fmac_f32_e32 v134, v136, v137
	s_or_b32 s2, vcc_lo, s2
	s_and_not1_b32 exec_lo, exec_lo, s2
	s_cbranch_execnz .LBB31_461
; %bb.462:
	s_or_b32 exec_lo, exec_lo, s2
.LBB31_463:
	s_delay_alu instid0(SALU_CYCLE_1)
	s_or_b32 exec_lo, exec_lo, s0
.LBB31_464:
	s_delay_alu instid0(SALU_CYCLE_1)
	s_or_b32 exec_lo, exec_lo, s5
	v_mov_b32_e32 v35, 0
	ds_load_b32 v35, v35 offset:4
	s_wait_dscnt 0x0
	v_mul_f32_e32 v35, v134, v35
.LBB31_465:
	s_or_b32 exec_lo, exec_lo, s4
	s_mov_b32 s2, 0
	s_mov_b32 s3, exec_lo
	ds_store_b32 v133, v34
	s_wait_dscnt 0x0
	s_barrier_signal -1
	s_barrier_wait -1
	v_cmpx_ne_u32_e32 0, v0
	s_cbranch_execz .LBB31_481
; %bb.466:
	s_and_not1_b32 vcc_lo, exec_lo, s33
	s_cbranch_vccnz .LBB31_468
; %bb.467:
	v_cmp_eq_u32_e32 vcc_lo, 1, v0
	ds_load_b32 v131, v133
	v_cndmask_b32_e32 v130, v34, v35, vcc_lo
	v_cmp_eq_u32_e32 vcc_lo, 2, v0
	s_delay_alu instid0(VALU_DEP_2) | instskip(SKIP_1) | instid1(VALU_DEP_2)
	v_cndmask_b32_e32 v130, v130, v36, vcc_lo
	v_cmp_eq_u32_e32 vcc_lo, 3, v0
	v_cndmask_b32_e32 v130, v130, v37, vcc_lo
	v_cmp_eq_u32_e32 vcc_lo, 4, v0
	s_delay_alu instid0(VALU_DEP_2) | instskip(SKIP_1) | instid1(VALU_DEP_2)
	v_cndmask_b32_e32 v130, v130, v38, vcc_lo
	v_cmp_eq_u32_e32 vcc_lo, 5, v0
	v_cndmask_b32_e32 v130, v130, v39, vcc_lo
	v_cmp_eq_u32_e32 vcc_lo, 6, v0
	s_delay_alu instid0(VALU_DEP_2) | instskip(SKIP_1) | instid1(VALU_DEP_2)
	v_cndmask_b32_e32 v130, v130, v40, vcc_lo
	v_cmp_eq_u32_e32 vcc_lo, 7, v0
	v_cndmask_b32_e32 v130, v130, v41, vcc_lo
	v_cmp_eq_u32_e32 vcc_lo, 8, v0
	s_delay_alu instid0(VALU_DEP_2) | instskip(SKIP_1) | instid1(VALU_DEP_2)
	v_cndmask_b32_e32 v130, v130, v42, vcc_lo
	v_cmp_eq_u32_e32 vcc_lo, 9, v0
	v_cndmask_b32_e32 v130, v130, v43, vcc_lo
	v_cmp_eq_u32_e32 vcc_lo, 10, v0
	s_delay_alu instid0(VALU_DEP_2) | instskip(SKIP_1) | instid1(VALU_DEP_2)
	v_cndmask_b32_e32 v130, v130, v44, vcc_lo
	v_cmp_eq_u32_e32 vcc_lo, 11, v0
	v_cndmask_b32_e32 v130, v130, v45, vcc_lo
	v_cmp_eq_u32_e32 vcc_lo, 12, v0
	s_delay_alu instid0(VALU_DEP_2) | instskip(SKIP_1) | instid1(VALU_DEP_2)
	v_cndmask_b32_e32 v130, v130, v46, vcc_lo
	v_cmp_eq_u32_e32 vcc_lo, 13, v0
	v_cndmask_b32_e32 v130, v130, v47, vcc_lo
	v_cmp_eq_u32_e32 vcc_lo, 14, v0
	s_delay_alu instid0(VALU_DEP_2) | instskip(SKIP_1) | instid1(VALU_DEP_2)
	v_cndmask_b32_e32 v130, v130, v48, vcc_lo
	v_cmp_eq_u32_e32 vcc_lo, 15, v0
	v_cndmask_b32_e32 v130, v130, v49, vcc_lo
	v_cmp_eq_u32_e32 vcc_lo, 16, v0
	s_delay_alu instid0(VALU_DEP_2) | instskip(SKIP_1) | instid1(VALU_DEP_2)
	v_cndmask_b32_e32 v130, v130, v50, vcc_lo
	v_cmp_eq_u32_e32 vcc_lo, 17, v0
	v_cndmask_b32_e32 v130, v130, v51, vcc_lo
	v_cmp_eq_u32_e32 vcc_lo, 18, v0
	s_delay_alu instid0(VALU_DEP_2) | instskip(SKIP_1) | instid1(VALU_DEP_2)
	v_cndmask_b32_e32 v130, v130, v52, vcc_lo
	v_cmp_eq_u32_e32 vcc_lo, 19, v0
	v_cndmask_b32_e32 v130, v130, v53, vcc_lo
	v_cmp_eq_u32_e32 vcc_lo, 20, v0
	s_delay_alu instid0(VALU_DEP_2) | instskip(SKIP_1) | instid1(VALU_DEP_2)
	v_cndmask_b32_e32 v130, v130, v54, vcc_lo
	v_cmp_eq_u32_e32 vcc_lo, 21, v0
	v_cndmask_b32_e32 v130, v130, v55, vcc_lo
	v_cmp_eq_u32_e32 vcc_lo, 22, v0
	s_delay_alu instid0(VALU_DEP_2) | instskip(SKIP_1) | instid1(VALU_DEP_2)
	v_cndmask_b32_e32 v130, v130, v56, vcc_lo
	v_cmp_eq_u32_e32 vcc_lo, 23, v0
	v_cndmask_b32_e32 v130, v130, v57, vcc_lo
	v_cmp_eq_u32_e32 vcc_lo, 24, v0
	s_delay_alu instid0(VALU_DEP_2) | instskip(SKIP_1) | instid1(VALU_DEP_2)
	v_cndmask_b32_e32 v130, v130, v58, vcc_lo
	v_cmp_eq_u32_e32 vcc_lo, 25, v0
	v_cndmask_b32_e32 v130, v130, v59, vcc_lo
	v_cmp_eq_u32_e32 vcc_lo, 26, v0
	s_delay_alu instid0(VALU_DEP_2) | instskip(SKIP_1) | instid1(VALU_DEP_2)
	v_cndmask_b32_e32 v130, v130, v60, vcc_lo
	v_cmp_eq_u32_e32 vcc_lo, 27, v0
	v_cndmask_b32_e32 v130, v130, v61, vcc_lo
	v_cmp_eq_u32_e32 vcc_lo, 28, v0
	s_delay_alu instid0(VALU_DEP_2) | instskip(SKIP_1) | instid1(VALU_DEP_2)
	v_cndmask_b32_e32 v130, v130, v62, vcc_lo
	v_cmp_eq_u32_e32 vcc_lo, 29, v0
	v_cndmask_b32_e32 v130, v130, v63, vcc_lo
	v_cmp_eq_u32_e32 vcc_lo, 30, v0
	s_delay_alu instid0(VALU_DEP_2) | instskip(SKIP_1) | instid1(VALU_DEP_2)
	v_cndmask_b32_e32 v130, v130, v64, vcc_lo
	v_cmp_eq_u32_e32 vcc_lo, 31, v0
	v_cndmask_b32_e32 v130, v130, v65, vcc_lo
	s_wait_dscnt 0x0
	s_delay_alu instid0(VALU_DEP_1)
	v_mul_f32_e32 v134, v130, v131
	s_cbranch_execz .LBB31_469
	s_branch .LBB31_470
.LBB31_468:
                                        ; implicit-def: $vgpr134
.LBB31_469:
	ds_load_b32 v134, v133
.LBB31_470:
	s_and_saveexec_b32 s4, s1
	s_cbranch_execz .LBB31_480
; %bb.471:
	v_dual_add_nc_u32 v130, -2, v0 :: v_dual_add_nc_u32 v131, -1, v0
	s_delay_alu instid0(VALU_DEP_1)
	v_cmp_lt_u32_e32 vcc_lo, 6, v130
	v_mov_b32_e32 v130, 1
	s_and_saveexec_b32 s5, vcc_lo
	s_cbranch_execz .LBB31_475
; %bb.472:
	v_and_b32_e32 v130, -8, v131
	s_mov_b32 s6, 0
	s_mov_b64 s[0:1], 8
	s_movk_i32 s7, 0x84
	s_delay_alu instid0(VALU_DEP_1)
	v_sub_nc_u32_e32 v132, 0, v130
.LBB31_473:                             ; =>This Inner Loop Header: Depth=1
	s_add_co_i32 m0, s0, -7
	v_movrels_b32_e32 v130, v34
	v_mov_b32_e32 v135, s7
	s_add_co_i32 m0, s0, -6
	s_add_co_i32 s7, s7, 32
	ds_load_2addr_b32 v[136:137], v135 offset1:1
	s_wait_dscnt 0x0
	v_fmac_f32_e32 v134, v130, v136
	v_movrels_b32_e32 v130, v34
	s_add_co_i32 m0, s0, -5
	s_delay_alu instid0(VALU_DEP_1) | instskip(SKIP_4) | instid1(VALU_DEP_1)
	v_fmac_f32_e32 v134, v130, v137
	ds_load_2addr_b32 v[136:137], v135 offset0:2 offset1:3
	v_movrels_b32_e32 v130, v34
	s_add_co_i32 m0, s0, -4
	s_wait_dscnt 0x0
	v_fmac_f32_e32 v134, v130, v136
	v_movrels_b32_e32 v130, v34
	s_add_co_i32 m0, s0, -3
	s_delay_alu instid0(VALU_DEP_1) | instskip(SKIP_4) | instid1(VALU_DEP_1)
	v_fmac_f32_e32 v134, v130, v137
	ds_load_2addr_b32 v[136:137], v135 offset0:4 offset1:5
	v_movrels_b32_e32 v130, v34
	s_add_co_i32 m0, s0, -2
	s_wait_dscnt 0x0
	v_fmac_f32_e32 v134, v130, v136
	v_movrels_b32_e32 v130, v34
	s_add_co_i32 m0, s0, -1
	s_delay_alu instid0(VALU_DEP_1) | instskip(SKIP_4) | instid1(SALU_CYCLE_1)
	v_fmac_f32_e32 v134, v130, v137
	ds_load_2addr_b32 v[136:137], v135 offset0:6 offset1:7
	v_movrels_b32_e32 v130, v34
	s_mov_b32 m0, s0
	s_add_nc_u64 s[0:1], s[0:1], 8
	s_add_co_i32 s8, s0, -7
	s_wait_dscnt 0x0
	v_fmac_f32_e32 v134, v130, v136
	v_movrels_b32_e32 v130, v34
	s_delay_alu instid0(VALU_DEP_1) | instskip(NEXT) | instid1(VALU_DEP_1)
	v_dual_fmac_f32 v134, v130, v137 :: v_dual_add_nc_u32 v130, s0, v132
	v_cmp_eq_u32_e32 vcc_lo, 8, v130
	v_mov_b32_e32 v130, s8
	s_or_b32 s6, vcc_lo, s6
	s_delay_alu instid0(SALU_CYCLE_1)
	s_and_not1_b32 exec_lo, exec_lo, s6
	s_cbranch_execnz .LBB31_473
; %bb.474:
	s_or_b32 exec_lo, exec_lo, s6
.LBB31_475:
	s_delay_alu instid0(SALU_CYCLE_1) | instskip(SKIP_3) | instid1(VALU_DEP_1)
	s_or_b32 exec_lo, exec_lo, s5
	v_and_b32_e32 v132, 7, v131
	s_mov_b32 s1, 0
	s_mov_b32 s0, exec_lo
	v_cmpx_ne_u32_e32 0, v132
	s_cbranch_execz .LBB31_479
; %bb.476:
	v_lshl_add_u32 v135, v130, 2, 0x80
	v_mov_b32_e32 v131, 0
.LBB31_477:                             ; =>This Inner Loop Header: Depth=1
	v_cmp_eq_u32_e32 vcc_lo, 1, v130
	ds_load_b32 v137, v135
	v_dual_add_nc_u32 v132, -1, v132 :: v_dual_add_nc_u32 v135, 4, v135
	v_cndmask_b32_e32 v136, v34, v35, vcc_lo
	v_cmp_eq_u32_e32 vcc_lo, 2, v130
	s_delay_alu instid0(VALU_DEP_2) | instskip(SKIP_1) | instid1(VALU_DEP_2)
	v_cndmask_b32_e32 v136, v136, v36, vcc_lo
	v_cmp_eq_u32_e32 vcc_lo, 3, v130
	v_cndmask_b32_e32 v136, v136, v37, vcc_lo
	v_cmp_eq_u32_e32 vcc_lo, 4, v130
	s_delay_alu instid0(VALU_DEP_2) | instskip(SKIP_1) | instid1(VALU_DEP_2)
	v_cndmask_b32_e32 v136, v136, v38, vcc_lo
	v_cmp_eq_u32_e32 vcc_lo, 5, v130
	v_cndmask_b32_e32 v136, v136, v39, vcc_lo
	v_cmp_eq_u32_e32 vcc_lo, 6, v130
	s_delay_alu instid0(VALU_DEP_2) | instskip(SKIP_1) | instid1(VALU_DEP_2)
	v_cndmask_b32_e32 v136, v136, v40, vcc_lo
	v_cmp_eq_u32_e32 vcc_lo, 7, v130
	v_cndmask_b32_e32 v136, v136, v41, vcc_lo
	v_cmp_eq_u32_e32 vcc_lo, 8, v130
	s_delay_alu instid0(VALU_DEP_2) | instskip(SKIP_1) | instid1(VALU_DEP_2)
	v_cndmask_b32_e32 v136, v136, v42, vcc_lo
	v_cmp_eq_u32_e32 vcc_lo, 9, v130
	v_cndmask_b32_e32 v136, v136, v43, vcc_lo
	v_cmp_eq_u32_e32 vcc_lo, 10, v130
	s_delay_alu instid0(VALU_DEP_2) | instskip(SKIP_1) | instid1(VALU_DEP_2)
	v_cndmask_b32_e32 v136, v136, v44, vcc_lo
	v_cmp_eq_u32_e32 vcc_lo, 11, v130
	v_cndmask_b32_e32 v136, v136, v45, vcc_lo
	v_cmp_eq_u32_e32 vcc_lo, 12, v130
	s_delay_alu instid0(VALU_DEP_2) | instskip(SKIP_1) | instid1(VALU_DEP_2)
	v_cndmask_b32_e32 v136, v136, v46, vcc_lo
	v_cmp_eq_u32_e32 vcc_lo, 13, v130
	v_cndmask_b32_e32 v136, v136, v47, vcc_lo
	v_cmp_eq_u32_e32 vcc_lo, 14, v130
	s_delay_alu instid0(VALU_DEP_2) | instskip(SKIP_1) | instid1(VALU_DEP_2)
	v_cndmask_b32_e32 v136, v136, v48, vcc_lo
	v_cmp_eq_u32_e32 vcc_lo, 15, v130
	v_cndmask_b32_e32 v136, v136, v49, vcc_lo
	v_cmp_eq_u32_e32 vcc_lo, 16, v130
	s_delay_alu instid0(VALU_DEP_2) | instskip(SKIP_1) | instid1(VALU_DEP_2)
	v_cndmask_b32_e32 v136, v136, v50, vcc_lo
	v_cmp_eq_u32_e32 vcc_lo, 17, v130
	v_cndmask_b32_e32 v136, v136, v51, vcc_lo
	v_cmp_eq_u32_e32 vcc_lo, 18, v130
	s_delay_alu instid0(VALU_DEP_2) | instskip(SKIP_1) | instid1(VALU_DEP_2)
	v_cndmask_b32_e32 v136, v136, v52, vcc_lo
	v_cmp_eq_u32_e32 vcc_lo, 19, v130
	v_cndmask_b32_e32 v136, v136, v53, vcc_lo
	v_cmp_eq_u32_e32 vcc_lo, 20, v130
	s_delay_alu instid0(VALU_DEP_2) | instskip(SKIP_1) | instid1(VALU_DEP_2)
	v_cndmask_b32_e32 v136, v136, v54, vcc_lo
	v_cmp_eq_u32_e32 vcc_lo, 21, v130
	v_cndmask_b32_e32 v136, v136, v55, vcc_lo
	v_cmp_eq_u32_e32 vcc_lo, 22, v130
	s_delay_alu instid0(VALU_DEP_2) | instskip(SKIP_1) | instid1(VALU_DEP_2)
	v_cndmask_b32_e32 v136, v136, v56, vcc_lo
	v_cmp_eq_u32_e32 vcc_lo, 23, v130
	v_cndmask_b32_e32 v136, v136, v57, vcc_lo
	v_cmp_eq_u32_e32 vcc_lo, 24, v130
	s_delay_alu instid0(VALU_DEP_2) | instskip(SKIP_1) | instid1(VALU_DEP_2)
	v_cndmask_b32_e32 v136, v136, v58, vcc_lo
	v_cmp_eq_u32_e32 vcc_lo, 25, v130
	v_cndmask_b32_e32 v136, v136, v59, vcc_lo
	v_cmp_eq_u32_e32 vcc_lo, 26, v130
	s_delay_alu instid0(VALU_DEP_2) | instskip(SKIP_1) | instid1(VALU_DEP_2)
	v_cndmask_b32_e32 v136, v136, v60, vcc_lo
	v_cmp_eq_u32_e32 vcc_lo, 27, v130
	v_cndmask_b32_e32 v136, v136, v61, vcc_lo
	v_cmp_eq_u32_e32 vcc_lo, 28, v130
	s_delay_alu instid0(VALU_DEP_2) | instskip(SKIP_1) | instid1(VALU_DEP_2)
	v_cndmask_b32_e32 v136, v136, v62, vcc_lo
	v_cmp_eq_u32_e32 vcc_lo, 29, v130
	v_cndmask_b32_e32 v136, v136, v63, vcc_lo
	v_cmp_eq_u32_e32 vcc_lo, 30, v130
	s_delay_alu instid0(VALU_DEP_2) | instskip(SKIP_2) | instid1(VALU_DEP_3)
	v_cndmask_b32_e32 v136, v136, v64, vcc_lo
	v_cmp_eq_u32_e32 vcc_lo, 31, v130
	v_add_nc_u64_e32 v[130:131], 1, v[130:131]
	v_cndmask_b32_e32 v136, v136, v65, vcc_lo
	v_cmp_eq_u32_e32 vcc_lo, 0, v132
	s_wait_dscnt 0x0
	s_delay_alu instid0(VALU_DEP_2) | instskip(SKIP_1) | instid1(SALU_CYCLE_1)
	v_fmac_f32_e32 v134, v136, v137
	s_or_b32 s1, vcc_lo, s1
	s_and_not1_b32 exec_lo, exec_lo, s1
	s_cbranch_execnz .LBB31_477
; %bb.478:
	s_or_b32 exec_lo, exec_lo, s1
.LBB31_479:
	s_delay_alu instid0(SALU_CYCLE_1)
	s_or_b32 exec_lo, exec_lo, s0
.LBB31_480:
	s_delay_alu instid0(SALU_CYCLE_1)
	s_or_b32 exec_lo, exec_lo, s4
	v_mov_b32_e32 v34, 0
	ds_load_b32 v34, v34
	s_wait_dscnt 0x0
	v_mul_f32_e32 v34, v134, v34
.LBB31_481:
	s_or_b32 exec_lo, exec_lo, s3
	s_delay_alu instid0(SALU_CYCLE_1)
	s_and_b32 vcc_lo, exec_lo, s2
	s_cbranch_vccz .LBB31_795
.LBB31_482:
	v_cmp_eq_u32_e64 s0, 0, v0
	s_wait_loadcnt 0x1f
	ds_store_b32 v133, v3
	s_wait_loadcnt_dscnt 0x0
	s_barrier_signal -1
	s_barrier_wait -1
	s_and_saveexec_b32 s1, s0
	s_cbranch_execz .LBB31_488
; %bb.483:
	s_and_b32 vcc_lo, exec_lo, s33
	s_cbranch_vccz .LBB31_485
; %bb.484:
	v_cmp_eq_u32_e32 vcc_lo, 1, v0
	ds_load_b32 v34, v133
	v_cndmask_b32_e32 v3, v2, v3, vcc_lo
	v_cmp_eq_u32_e32 vcc_lo, 2, v0
	s_delay_alu instid0(VALU_DEP_2) | instskip(SKIP_1) | instid1(VALU_DEP_2)
	v_cndmask_b32_e32 v3, v3, v4, vcc_lo
	v_cmp_eq_u32_e32 vcc_lo, 3, v0
	v_cndmask_b32_e32 v3, v3, v5, vcc_lo
	v_cmp_eq_u32_e32 vcc_lo, 4, v0
	s_delay_alu instid0(VALU_DEP_2) | instskip(SKIP_1) | instid1(VALU_DEP_2)
	v_cndmask_b32_e32 v3, v3, v6, vcc_lo
	v_cmp_eq_u32_e32 vcc_lo, 5, v0
	;; [unrolled: 5-line block ×15, first 2 shown]
	v_cndmask_b32_e32 v3, v3, v33, vcc_lo
	s_wait_dscnt 0x0
	s_delay_alu instid0(VALU_DEP_1)
	v_mul_f32_e32 v3, v3, v34
	s_cbranch_execz .LBB31_486
	s_branch .LBB31_487
.LBB31_485:
                                        ; implicit-def: $vgpr3
.LBB31_486:
	ds_load_b32 v3, v133
.LBB31_487:
	v_mov_b32_e32 v34, 0
	ds_load_b32 v34, v34 offset:4
	s_wait_dscnt 0x0
	v_mul_f32_e32 v3, v3, v34
.LBB31_488:
	s_or_b32 exec_lo, exec_lo, s1
	v_cndmask_b32_e64 v36, 0, 1, s33
	s_mov_b32 s1, exec_lo
	ds_store_b32 v133, v4
	s_wait_dscnt 0x0
	s_barrier_signal -1
	s_barrier_wait -1
	v_cmpx_gt_u32_e32 2, v0
	s_cbranch_execz .LBB31_494
; %bb.489:
	s_and_not1_b32 vcc_lo, exec_lo, s33
	s_cbranch_vccnz .LBB31_491
; %bb.490:
	v_cmp_eq_u32_e32 vcc_lo, 1, v0
	v_cndmask_b32_e32 v34, v2, v3, vcc_lo
	v_cmp_eq_u32_e32 vcc_lo, 2, v0
	s_delay_alu instid0(VALU_DEP_2) | instskip(SKIP_4) | instid1(VALU_DEP_2)
	v_cndmask_b32_e32 v4, v34, v4, vcc_lo
	v_cmp_eq_u32_e32 vcc_lo, 3, v0
	ds_load_b32 v34, v133
	v_cndmask_b32_e32 v4, v4, v5, vcc_lo
	v_cmp_eq_u32_e32 vcc_lo, 4, v0
	v_cndmask_b32_e32 v4, v4, v6, vcc_lo
	v_cmp_eq_u32_e32 vcc_lo, 5, v0
	s_delay_alu instid0(VALU_DEP_2) | instskip(SKIP_1) | instid1(VALU_DEP_2)
	v_cndmask_b32_e32 v4, v4, v7, vcc_lo
	v_cmp_eq_u32_e32 vcc_lo, 6, v0
	v_cndmask_b32_e32 v4, v4, v8, vcc_lo
	v_cmp_eq_u32_e32 vcc_lo, 7, v0
	s_delay_alu instid0(VALU_DEP_2) | instskip(SKIP_1) | instid1(VALU_DEP_2)
	;; [unrolled: 5-line block ×13, first 2 shown]
	v_cndmask_b32_e32 v4, v4, v31, vcc_lo
	v_cmp_eq_u32_e32 vcc_lo, 30, v0
	v_cndmask_b32_e32 v4, v4, v32, vcc_lo
	v_cmp_eq_u32_e32 vcc_lo, 31, v0
	s_delay_alu instid0(VALU_DEP_2) | instskip(SKIP_1) | instid1(VALU_DEP_1)
	v_cndmask_b32_e32 v4, v4, v33, vcc_lo
	s_wait_dscnt 0x0
	v_mul_f32_e32 v4, v4, v34
	s_cbranch_execz .LBB31_492
	s_branch .LBB31_493
.LBB31_491:
                                        ; implicit-def: $vgpr4
.LBB31_492:
	ds_load_b32 v4, v133
.LBB31_493:
	v_mov_b32_e32 v34, 0
	ds_load_2addr_b32 v[34:35], v34 offset0:2 offset1:33
	s_wait_dscnt 0x0
	v_fma_f32 v35, v3, v35, v4
	s_delay_alu instid0(VALU_DEP_1) | instskip(NEXT) | instid1(VALU_DEP_1)
	v_cndmask_b32_e64 v4, v4, v35, s0
	v_mul_f32_e32 v4, v4, v34
.LBB31_494:
	s_or_b32 exec_lo, exec_lo, s1
	v_add_nc_u32_e32 v37, 1, v0
	v_cmp_gt_u32_e64 s1, 3, v0
	ds_store_b32 v133, v5
	s_wait_dscnt 0x0
	s_barrier_signal -1
	s_barrier_wait -1
	s_and_saveexec_b32 s2, s1
	s_cbranch_execz .LBB31_502
; %bb.495:
	v_cmp_ne_u32_e32 vcc_lo, 1, v36
	s_cbranch_vccnz .LBB31_497
; %bb.496:
	v_cmp_eq_u32_e32 vcc_lo, 1, v0
	ds_load_b32 v35, v133
	v_cndmask_b32_e32 v34, v2, v3, vcc_lo
	v_cmp_eq_u32_e32 vcc_lo, 2, v0
	s_delay_alu instid0(VALU_DEP_2) | instskip(SKIP_1) | instid1(VALU_DEP_2)
	v_cndmask_b32_e32 v34, v34, v4, vcc_lo
	v_cmp_eq_u32_e32 vcc_lo, 3, v0
	v_cndmask_b32_e32 v34, v34, v5, vcc_lo
	v_cmp_eq_u32_e32 vcc_lo, 4, v0
	s_delay_alu instid0(VALU_DEP_2) | instskip(SKIP_1) | instid1(VALU_DEP_2)
	v_cndmask_b32_e32 v34, v34, v6, vcc_lo
	v_cmp_eq_u32_e32 vcc_lo, 5, v0
	;; [unrolled: 5-line block ×15, first 2 shown]
	v_cndmask_b32_e32 v34, v34, v33, vcc_lo
	s_wait_dscnt 0x0
	s_delay_alu instid0(VALU_DEP_1)
	v_mul_f32_e32 v34, v34, v35
	s_cbranch_execz .LBB31_498
	s_branch .LBB31_499
.LBB31_497:
                                        ; implicit-def: $vgpr34
.LBB31_498:
	ds_load_b32 v34, v133
.LBB31_499:
	s_mov_b32 s3, exec_lo
	v_cmpx_ne_u32_e32 2, v0
	s_cbranch_execz .LBB31_501
; %bb.500:
	v_cmp_eq_u32_e32 vcc_lo, 1, v37
	v_dual_mov_b32 v38, 0 :: v_dual_cndmask_b32 v35, v2, v3
	v_cmp_eq_u32_e32 vcc_lo, 2, v37
	ds_load_b32 v38, v38 offset:136
	v_cndmask_b32_e32 v35, v35, v4, vcc_lo
	v_cmp_eq_u32_e32 vcc_lo, 3, v37
	s_delay_alu instid0(VALU_DEP_2) | instskip(SKIP_4) | instid1(VALU_DEP_2)
	v_cndmask_b32_e32 v5, v35, v5, vcc_lo
	v_cmp_eq_u32_e32 vcc_lo, 4, v37
	ds_load_b32 v35, v133 offset:4
	v_cndmask_b32_e32 v5, v5, v6, vcc_lo
	v_cmp_eq_u32_e32 vcc_lo, 5, v37
	v_cndmask_b32_e32 v5, v5, v7, vcc_lo
	v_cmp_eq_u32_e32 vcc_lo, 6, v37
	s_delay_alu instid0(VALU_DEP_2) | instskip(SKIP_1) | instid1(VALU_DEP_2)
	v_cndmask_b32_e32 v5, v5, v8, vcc_lo
	v_cmp_eq_u32_e32 vcc_lo, 7, v37
	v_cndmask_b32_e32 v5, v5, v9, vcc_lo
	v_cmp_eq_u32_e32 vcc_lo, 8, v37
	s_delay_alu instid0(VALU_DEP_2) | instskip(SKIP_1) | instid1(VALU_DEP_2)
	;; [unrolled: 5-line block ×13, first 2 shown]
	v_cndmask_b32_e32 v5, v5, v32, vcc_lo
	v_cmp_eq_u32_e32 vcc_lo, 31, v37
	v_cndmask_b32_e32 v5, v5, v33, vcc_lo
	s_wait_dscnt 0x0
	s_delay_alu instid0(VALU_DEP_1) | instskip(NEXT) | instid1(VALU_DEP_1)
	v_fmac_f32_e32 v34, v5, v35
	v_fma_f32 v5, v4, v38, v34
	s_delay_alu instid0(VALU_DEP_1)
	v_cndmask_b32_e64 v34, v34, v5, s0
.LBB31_501:
	s_or_b32 exec_lo, exec_lo, s3
	v_mov_b32_e32 v5, 0
	ds_load_b32 v5, v5 offset:12
	s_wait_dscnt 0x0
	v_mul_f32_e32 v5, v34, v5
.LBB31_502:
	s_or_b32 exec_lo, exec_lo, s2
	s_delay_alu instid0(SALU_CYCLE_1)
	s_mov_b32 s2, exec_lo
	ds_store_b32 v133, v6
	s_wait_dscnt 0x0
	s_barrier_signal -1
	s_barrier_wait -1
	v_cmpx_gt_u32_e32 4, v0
	s_cbranch_execz .LBB31_512
; %bb.503:
	v_cmp_ne_u32_e32 vcc_lo, 1, v36
	s_cbranch_vccnz .LBB31_505
; %bb.504:
	v_cmp_eq_u32_e32 vcc_lo, 1, v0
	ds_load_b32 v35, v133
	v_cndmask_b32_e32 v34, v2, v3, vcc_lo
	v_cmp_eq_u32_e32 vcc_lo, 2, v0
	s_delay_alu instid0(VALU_DEP_2) | instskip(SKIP_1) | instid1(VALU_DEP_2)
	v_cndmask_b32_e32 v34, v34, v4, vcc_lo
	v_cmp_eq_u32_e32 vcc_lo, 3, v0
	v_cndmask_b32_e32 v34, v34, v5, vcc_lo
	v_cmp_eq_u32_e32 vcc_lo, 4, v0
	s_delay_alu instid0(VALU_DEP_2) | instskip(SKIP_1) | instid1(VALU_DEP_2)
	v_cndmask_b32_e32 v34, v34, v6, vcc_lo
	v_cmp_eq_u32_e32 vcc_lo, 5, v0
	;; [unrolled: 5-line block ×15, first 2 shown]
	v_cndmask_b32_e32 v34, v34, v33, vcc_lo
	s_wait_dscnt 0x0
	s_delay_alu instid0(VALU_DEP_1)
	v_mul_f32_e32 v38, v34, v35
	s_cbranch_execz .LBB31_506
	s_branch .LBB31_507
.LBB31_505:
                                        ; implicit-def: $vgpr38
.LBB31_506:
	ds_load_b32 v38, v133
.LBB31_507:
	s_mov_b32 s3, exec_lo
	v_cmpx_ne_u32_e32 3, v0
	s_cbranch_execz .LBB31_511
; %bb.508:
	v_mov_b64_e32 v[34:35], v[0:1]
	v_lshl_add_u32 v39, v0, 2, 0x84
	s_mov_b32 s4, 0
.LBB31_509:                             ; =>This Inner Loop Header: Depth=1
	s_delay_alu instid0(VALU_DEP_2)
	v_add_nc_u64_e32 v[34:35], 1, v[34:35]
	ds_load_b32 v41, v39
	v_add_nc_u32_e32 v39, 4, v39
	v_cmp_eq_u32_e32 vcc_lo, 1, v34
	v_cndmask_b32_e32 v40, v2, v3, vcc_lo
	v_cmp_eq_u32_e32 vcc_lo, 2, v34
	s_delay_alu instid0(VALU_DEP_2) | instskip(SKIP_1) | instid1(VALU_DEP_2)
	v_cndmask_b32_e32 v40, v40, v4, vcc_lo
	v_cmp_eq_u32_e32 vcc_lo, 3, v34
	v_cndmask_b32_e32 v40, v40, v5, vcc_lo
	v_cmp_eq_u32_e32 vcc_lo, 4, v34
	s_delay_alu instid0(VALU_DEP_2) | instskip(SKIP_1) | instid1(VALU_DEP_2)
	v_cndmask_b32_e32 v40, v40, v6, vcc_lo
	;; [unrolled: 5-line block ×15, first 2 shown]
	v_cmp_eq_u32_e32 vcc_lo, 31, v34
	v_cndmask_b32_e32 v40, v40, v33, vcc_lo
	v_cmp_lt_u32_e32 vcc_lo, 2, v34
	s_wait_dscnt 0x0
	s_delay_alu instid0(VALU_DEP_2) | instskip(SKIP_1) | instid1(SALU_CYCLE_1)
	v_fmac_f32_e32 v38, v40, v41
	s_or_b32 s4, vcc_lo, s4
	s_and_not1_b32 exec_lo, exec_lo, s4
	s_cbranch_execnz .LBB31_509
; %bb.510:
	s_or_b32 exec_lo, exec_lo, s4
.LBB31_511:
	s_delay_alu instid0(SALU_CYCLE_1)
	s_or_b32 exec_lo, exec_lo, s3
	v_mov_b32_e32 v6, 0
	ds_load_b32 v6, v6 offset:16
	s_wait_dscnt 0x0
	v_mul_f32_e32 v6, v38, v6
.LBB31_512:
	s_or_b32 exec_lo, exec_lo, s2
	v_cmp_gt_u32_e64 s2, 5, v0
	ds_store_b32 v133, v7
	s_wait_dscnt 0x0
	s_barrier_signal -1
	s_barrier_wait -1
	s_and_saveexec_b32 s3, s2
	s_cbranch_execz .LBB31_522
; %bb.513:
	v_cmp_ne_u32_e32 vcc_lo, 1, v36
	s_cbranch_vccnz .LBB31_515
; %bb.514:
	v_cmp_eq_u32_e32 vcc_lo, 1, v0
	ds_load_b32 v35, v133
	v_cndmask_b32_e32 v34, v2, v3, vcc_lo
	v_cmp_eq_u32_e32 vcc_lo, 2, v0
	s_delay_alu instid0(VALU_DEP_2) | instskip(SKIP_1) | instid1(VALU_DEP_2)
	v_cndmask_b32_e32 v34, v34, v4, vcc_lo
	v_cmp_eq_u32_e32 vcc_lo, 3, v0
	v_cndmask_b32_e32 v34, v34, v5, vcc_lo
	v_cmp_eq_u32_e32 vcc_lo, 4, v0
	s_delay_alu instid0(VALU_DEP_2) | instskip(SKIP_1) | instid1(VALU_DEP_2)
	v_cndmask_b32_e32 v34, v34, v6, vcc_lo
	v_cmp_eq_u32_e32 vcc_lo, 5, v0
	;; [unrolled: 5-line block ×15, first 2 shown]
	v_cndmask_b32_e32 v34, v34, v33, vcc_lo
	s_wait_dscnt 0x0
	s_delay_alu instid0(VALU_DEP_1)
	v_mul_f32_e32 v38, v34, v35
	s_cbranch_execz .LBB31_516
	s_branch .LBB31_517
.LBB31_515:
                                        ; implicit-def: $vgpr38
.LBB31_516:
	ds_load_b32 v38, v133
.LBB31_517:
	s_mov_b32 s4, exec_lo
	v_cmpx_ne_u32_e32 4, v0
	s_cbranch_execz .LBB31_521
; %bb.518:
	v_mov_b64_e32 v[34:35], v[0:1]
	v_lshl_add_u32 v39, v0, 2, 0x84
	s_mov_b32 s5, 0
.LBB31_519:                             ; =>This Inner Loop Header: Depth=1
	s_delay_alu instid0(VALU_DEP_2)
	v_add_nc_u64_e32 v[34:35], 1, v[34:35]
	ds_load_b32 v41, v39
	v_add_nc_u32_e32 v39, 4, v39
	v_cmp_eq_u32_e32 vcc_lo, 1, v34
	v_cndmask_b32_e32 v40, v2, v3, vcc_lo
	v_cmp_eq_u32_e32 vcc_lo, 2, v34
	s_delay_alu instid0(VALU_DEP_2) | instskip(SKIP_1) | instid1(VALU_DEP_2)
	v_cndmask_b32_e32 v40, v40, v4, vcc_lo
	v_cmp_eq_u32_e32 vcc_lo, 3, v34
	v_cndmask_b32_e32 v40, v40, v5, vcc_lo
	v_cmp_eq_u32_e32 vcc_lo, 4, v34
	s_delay_alu instid0(VALU_DEP_2) | instskip(SKIP_1) | instid1(VALU_DEP_2)
	v_cndmask_b32_e32 v40, v40, v6, vcc_lo
	;; [unrolled: 5-line block ×15, first 2 shown]
	v_cmp_eq_u32_e32 vcc_lo, 31, v34
	v_cndmask_b32_e32 v40, v40, v33, vcc_lo
	v_cmp_lt_u32_e32 vcc_lo, 3, v34
	s_wait_dscnt 0x0
	s_delay_alu instid0(VALU_DEP_2) | instskip(SKIP_1) | instid1(SALU_CYCLE_1)
	v_fmac_f32_e32 v38, v40, v41
	s_or_b32 s5, vcc_lo, s5
	s_and_not1_b32 exec_lo, exec_lo, s5
	s_cbranch_execnz .LBB31_519
; %bb.520:
	s_or_b32 exec_lo, exec_lo, s5
.LBB31_521:
	s_delay_alu instid0(SALU_CYCLE_1)
	s_or_b32 exec_lo, exec_lo, s4
	v_mov_b32_e32 v7, 0
	ds_load_b32 v7, v7 offset:20
	s_wait_dscnt 0x0
	v_mul_f32_e32 v7, v38, v7
.LBB31_522:
	s_or_b32 exec_lo, exec_lo, s3
	s_delay_alu instid0(SALU_CYCLE_1)
	s_mov_b32 s3, exec_lo
	ds_store_b32 v133, v8
	s_wait_dscnt 0x0
	s_barrier_signal -1
	s_barrier_wait -1
	v_cmpx_gt_u32_e32 6, v0
	s_cbranch_execz .LBB31_532
; %bb.523:
	v_cmp_ne_u32_e32 vcc_lo, 1, v36
	s_cbranch_vccnz .LBB31_525
; %bb.524:
	v_cmp_eq_u32_e32 vcc_lo, 1, v0
	ds_load_b32 v35, v133
	v_cndmask_b32_e32 v34, v2, v3, vcc_lo
	v_cmp_eq_u32_e32 vcc_lo, 2, v0
	s_delay_alu instid0(VALU_DEP_2) | instskip(SKIP_1) | instid1(VALU_DEP_2)
	v_cndmask_b32_e32 v34, v34, v4, vcc_lo
	v_cmp_eq_u32_e32 vcc_lo, 3, v0
	v_cndmask_b32_e32 v34, v34, v5, vcc_lo
	v_cmp_eq_u32_e32 vcc_lo, 4, v0
	s_delay_alu instid0(VALU_DEP_2) | instskip(SKIP_1) | instid1(VALU_DEP_2)
	v_cndmask_b32_e32 v34, v34, v6, vcc_lo
	v_cmp_eq_u32_e32 vcc_lo, 5, v0
	;; [unrolled: 5-line block ×15, first 2 shown]
	v_cndmask_b32_e32 v34, v34, v33, vcc_lo
	s_wait_dscnt 0x0
	s_delay_alu instid0(VALU_DEP_1)
	v_mul_f32_e32 v38, v34, v35
	s_cbranch_execz .LBB31_526
	s_branch .LBB31_527
.LBB31_525:
                                        ; implicit-def: $vgpr38
.LBB31_526:
	ds_load_b32 v38, v133
.LBB31_527:
	s_mov_b32 s4, exec_lo
	v_cmpx_ne_u32_e32 5, v0
	s_cbranch_execz .LBB31_531
; %bb.528:
	v_mov_b64_e32 v[34:35], v[0:1]
	v_lshl_add_u32 v39, v0, 2, 0x84
	s_mov_b32 s5, 0
.LBB31_529:                             ; =>This Inner Loop Header: Depth=1
	s_delay_alu instid0(VALU_DEP_2)
	v_add_nc_u64_e32 v[34:35], 1, v[34:35]
	ds_load_b32 v41, v39
	v_add_nc_u32_e32 v39, 4, v39
	v_cmp_eq_u32_e32 vcc_lo, 1, v34
	v_cndmask_b32_e32 v40, v2, v3, vcc_lo
	v_cmp_eq_u32_e32 vcc_lo, 2, v34
	s_delay_alu instid0(VALU_DEP_2) | instskip(SKIP_1) | instid1(VALU_DEP_2)
	v_cndmask_b32_e32 v40, v40, v4, vcc_lo
	v_cmp_eq_u32_e32 vcc_lo, 3, v34
	v_cndmask_b32_e32 v40, v40, v5, vcc_lo
	v_cmp_eq_u32_e32 vcc_lo, 4, v34
	s_delay_alu instid0(VALU_DEP_2) | instskip(SKIP_1) | instid1(VALU_DEP_2)
	v_cndmask_b32_e32 v40, v40, v6, vcc_lo
	;; [unrolled: 5-line block ×15, first 2 shown]
	v_cmp_eq_u32_e32 vcc_lo, 31, v34
	v_cndmask_b32_e32 v40, v40, v33, vcc_lo
	v_cmp_lt_u32_e32 vcc_lo, 4, v34
	s_wait_dscnt 0x0
	s_delay_alu instid0(VALU_DEP_2) | instskip(SKIP_1) | instid1(SALU_CYCLE_1)
	v_fmac_f32_e32 v38, v40, v41
	s_or_b32 s5, vcc_lo, s5
	s_and_not1_b32 exec_lo, exec_lo, s5
	s_cbranch_execnz .LBB31_529
; %bb.530:
	s_or_b32 exec_lo, exec_lo, s5
.LBB31_531:
	s_delay_alu instid0(SALU_CYCLE_1)
	s_or_b32 exec_lo, exec_lo, s4
	v_mov_b32_e32 v8, 0
	ds_load_b32 v8, v8 offset:24
	s_wait_dscnt 0x0
	v_mul_f32_e32 v8, v38, v8
.LBB31_532:
	s_or_b32 exec_lo, exec_lo, s3
	v_cmp_gt_u32_e64 s3, 7, v0
	ds_store_b32 v133, v9
	s_wait_dscnt 0x0
	s_barrier_signal -1
	s_barrier_wait -1
	s_and_saveexec_b32 s4, s3
	s_cbranch_execz .LBB31_542
; %bb.533:
	v_cmp_ne_u32_e32 vcc_lo, 1, v36
	s_cbranch_vccnz .LBB31_535
; %bb.534:
	v_cmp_eq_u32_e32 vcc_lo, 1, v0
	ds_load_b32 v35, v133
	v_cndmask_b32_e32 v34, v2, v3, vcc_lo
	v_cmp_eq_u32_e32 vcc_lo, 2, v0
	s_delay_alu instid0(VALU_DEP_2) | instskip(SKIP_1) | instid1(VALU_DEP_2)
	v_cndmask_b32_e32 v34, v34, v4, vcc_lo
	v_cmp_eq_u32_e32 vcc_lo, 3, v0
	v_cndmask_b32_e32 v34, v34, v5, vcc_lo
	v_cmp_eq_u32_e32 vcc_lo, 4, v0
	s_delay_alu instid0(VALU_DEP_2) | instskip(SKIP_1) | instid1(VALU_DEP_2)
	v_cndmask_b32_e32 v34, v34, v6, vcc_lo
	v_cmp_eq_u32_e32 vcc_lo, 5, v0
	;; [unrolled: 5-line block ×15, first 2 shown]
	v_cndmask_b32_e32 v34, v34, v33, vcc_lo
	s_wait_dscnt 0x0
	s_delay_alu instid0(VALU_DEP_1)
	v_mul_f32_e32 v38, v34, v35
	s_cbranch_execz .LBB31_536
	s_branch .LBB31_537
.LBB31_535:
                                        ; implicit-def: $vgpr38
.LBB31_536:
	ds_load_b32 v38, v133
.LBB31_537:
	s_mov_b32 s5, exec_lo
	v_cmpx_ne_u32_e32 6, v0
	s_cbranch_execz .LBB31_541
; %bb.538:
	v_mov_b64_e32 v[34:35], v[0:1]
	v_lshl_add_u32 v39, v0, 2, 0x84
	s_mov_b32 s6, 0
.LBB31_539:                             ; =>This Inner Loop Header: Depth=1
	s_delay_alu instid0(VALU_DEP_2)
	v_add_nc_u64_e32 v[34:35], 1, v[34:35]
	ds_load_b32 v41, v39
	v_add_nc_u32_e32 v39, 4, v39
	v_cmp_eq_u32_e32 vcc_lo, 1, v34
	v_cndmask_b32_e32 v40, v2, v3, vcc_lo
	v_cmp_eq_u32_e32 vcc_lo, 2, v34
	s_delay_alu instid0(VALU_DEP_2) | instskip(SKIP_1) | instid1(VALU_DEP_2)
	v_cndmask_b32_e32 v40, v40, v4, vcc_lo
	v_cmp_eq_u32_e32 vcc_lo, 3, v34
	v_cndmask_b32_e32 v40, v40, v5, vcc_lo
	v_cmp_eq_u32_e32 vcc_lo, 4, v34
	s_delay_alu instid0(VALU_DEP_2) | instskip(SKIP_1) | instid1(VALU_DEP_2)
	v_cndmask_b32_e32 v40, v40, v6, vcc_lo
	;; [unrolled: 5-line block ×15, first 2 shown]
	v_cmp_eq_u32_e32 vcc_lo, 31, v34
	v_cndmask_b32_e32 v40, v40, v33, vcc_lo
	v_cmp_lt_u32_e32 vcc_lo, 5, v34
	s_wait_dscnt 0x0
	s_delay_alu instid0(VALU_DEP_2) | instskip(SKIP_1) | instid1(SALU_CYCLE_1)
	v_fmac_f32_e32 v38, v40, v41
	s_or_b32 s6, vcc_lo, s6
	s_and_not1_b32 exec_lo, exec_lo, s6
	s_cbranch_execnz .LBB31_539
; %bb.540:
	s_or_b32 exec_lo, exec_lo, s6
.LBB31_541:
	s_delay_alu instid0(SALU_CYCLE_1)
	s_or_b32 exec_lo, exec_lo, s5
	v_mov_b32_e32 v9, 0
	ds_load_b32 v9, v9 offset:28
	s_wait_dscnt 0x0
	v_mul_f32_e32 v9, v38, v9
.LBB31_542:
	s_or_b32 exec_lo, exec_lo, s4
	s_delay_alu instid0(SALU_CYCLE_1)
	s_mov_b32 s4, exec_lo
	ds_store_b32 v133, v10
	s_wait_dscnt 0x0
	s_barrier_signal -1
	s_barrier_wait -1
	v_cmpx_gt_u32_e32 8, v0
	s_cbranch_execz .LBB31_552
; %bb.543:
	v_cmp_ne_u32_e32 vcc_lo, 1, v36
	s_cbranch_vccnz .LBB31_545
; %bb.544:
	v_cmp_eq_u32_e32 vcc_lo, 1, v0
	ds_load_b32 v35, v133
	v_cndmask_b32_e32 v34, v2, v3, vcc_lo
	v_cmp_eq_u32_e32 vcc_lo, 2, v0
	s_delay_alu instid0(VALU_DEP_2) | instskip(SKIP_1) | instid1(VALU_DEP_2)
	v_cndmask_b32_e32 v34, v34, v4, vcc_lo
	v_cmp_eq_u32_e32 vcc_lo, 3, v0
	v_cndmask_b32_e32 v34, v34, v5, vcc_lo
	v_cmp_eq_u32_e32 vcc_lo, 4, v0
	s_delay_alu instid0(VALU_DEP_2) | instskip(SKIP_1) | instid1(VALU_DEP_2)
	v_cndmask_b32_e32 v34, v34, v6, vcc_lo
	v_cmp_eq_u32_e32 vcc_lo, 5, v0
	;; [unrolled: 5-line block ×15, first 2 shown]
	v_cndmask_b32_e32 v34, v34, v33, vcc_lo
	s_wait_dscnt 0x0
	s_delay_alu instid0(VALU_DEP_1)
	v_mul_f32_e32 v38, v34, v35
	s_cbranch_execz .LBB31_546
	s_branch .LBB31_547
.LBB31_545:
                                        ; implicit-def: $vgpr38
.LBB31_546:
	ds_load_b32 v38, v133
.LBB31_547:
	s_mov_b32 s5, exec_lo
	v_cmpx_ne_u32_e32 7, v0
	s_cbranch_execz .LBB31_551
; %bb.548:
	v_mov_b64_e32 v[34:35], v[0:1]
	v_lshl_add_u32 v39, v0, 2, 0x84
	s_mov_b32 s6, 0
.LBB31_549:                             ; =>This Inner Loop Header: Depth=1
	s_delay_alu instid0(VALU_DEP_2)
	v_add_nc_u64_e32 v[34:35], 1, v[34:35]
	ds_load_b32 v41, v39
	v_add_nc_u32_e32 v39, 4, v39
	v_cmp_eq_u32_e32 vcc_lo, 1, v34
	v_cndmask_b32_e32 v40, v2, v3, vcc_lo
	v_cmp_eq_u32_e32 vcc_lo, 2, v34
	s_delay_alu instid0(VALU_DEP_2) | instskip(SKIP_1) | instid1(VALU_DEP_2)
	v_cndmask_b32_e32 v40, v40, v4, vcc_lo
	v_cmp_eq_u32_e32 vcc_lo, 3, v34
	v_cndmask_b32_e32 v40, v40, v5, vcc_lo
	v_cmp_eq_u32_e32 vcc_lo, 4, v34
	s_delay_alu instid0(VALU_DEP_2) | instskip(SKIP_1) | instid1(VALU_DEP_2)
	v_cndmask_b32_e32 v40, v40, v6, vcc_lo
	;; [unrolled: 5-line block ×15, first 2 shown]
	v_cmp_eq_u32_e32 vcc_lo, 31, v34
	v_cndmask_b32_e32 v40, v40, v33, vcc_lo
	v_cmp_lt_u32_e32 vcc_lo, 6, v34
	s_wait_dscnt 0x0
	s_delay_alu instid0(VALU_DEP_2) | instskip(SKIP_1) | instid1(SALU_CYCLE_1)
	v_fmac_f32_e32 v38, v40, v41
	s_or_b32 s6, vcc_lo, s6
	s_and_not1_b32 exec_lo, exec_lo, s6
	s_cbranch_execnz .LBB31_549
; %bb.550:
	s_or_b32 exec_lo, exec_lo, s6
.LBB31_551:
	s_delay_alu instid0(SALU_CYCLE_1)
	s_or_b32 exec_lo, exec_lo, s5
	v_mov_b32_e32 v10, 0
	ds_load_b32 v10, v10 offset:32
	s_wait_dscnt 0x0
	v_mul_f32_e32 v10, v38, v10
.LBB31_552:
	s_or_b32 exec_lo, exec_lo, s4
	s_delay_alu instid0(SALU_CYCLE_1)
	s_mov_b32 s4, exec_lo
	ds_store_b32 v133, v11
	s_wait_dscnt 0x0
	s_barrier_signal -1
	s_barrier_wait -1
	v_cmpx_gt_u32_e32 9, v0
	s_cbranch_execz .LBB31_574
; %bb.553:
	v_cmp_ne_u32_e32 vcc_lo, 1, v36
	s_cbranch_vccnz .LBB31_555
; %bb.554:
	v_cmp_eq_u32_e32 vcc_lo, 1, v0
	ds_load_b32 v35, v133
	v_cndmask_b32_e32 v34, v2, v3, vcc_lo
	v_cmp_eq_u32_e32 vcc_lo, 2, v0
	s_delay_alu instid0(VALU_DEP_2) | instskip(SKIP_1) | instid1(VALU_DEP_2)
	v_cndmask_b32_e32 v34, v34, v4, vcc_lo
	v_cmp_eq_u32_e32 vcc_lo, 3, v0
	v_cndmask_b32_e32 v34, v34, v5, vcc_lo
	v_cmp_eq_u32_e32 vcc_lo, 4, v0
	s_delay_alu instid0(VALU_DEP_2) | instskip(SKIP_1) | instid1(VALU_DEP_2)
	v_cndmask_b32_e32 v34, v34, v6, vcc_lo
	v_cmp_eq_u32_e32 vcc_lo, 5, v0
	;; [unrolled: 5-line block ×15, first 2 shown]
	v_cndmask_b32_e32 v34, v34, v33, vcc_lo
	s_wait_dscnt 0x0
	s_delay_alu instid0(VALU_DEP_1)
	v_mul_f32_e32 v34, v34, v35
	s_cbranch_execz .LBB31_556
	s_branch .LBB31_557
.LBB31_555:
                                        ; implicit-def: $vgpr34
.LBB31_556:
	ds_load_b32 v34, v133
.LBB31_557:
	s_mov_b32 s5, exec_lo
	v_cmpx_ne_u32_e32 8, v0
	s_cbranch_execz .LBB31_573
; %bb.558:
	v_cmp_eq_u32_e32 vcc_lo, 1, v37
	ds_load_b32 v38, v133 offset:4
	v_cndmask_b32_e32 v35, v2, v3, vcc_lo
	v_cmp_eq_u32_e32 vcc_lo, 2, v37
	s_delay_alu instid0(VALU_DEP_2) | instskip(SKIP_1) | instid1(VALU_DEP_2)
	v_cndmask_b32_e32 v35, v35, v4, vcc_lo
	v_cmp_eq_u32_e32 vcc_lo, 3, v37
	v_cndmask_b32_e32 v35, v35, v5, vcc_lo
	v_cmp_eq_u32_e32 vcc_lo, 4, v37
	s_delay_alu instid0(VALU_DEP_2) | instskip(SKIP_1) | instid1(VALU_DEP_2)
	v_cndmask_b32_e32 v35, v35, v6, vcc_lo
	v_cmp_eq_u32_e32 vcc_lo, 5, v37
	v_cndmask_b32_e32 v35, v35, v7, vcc_lo
	v_cmp_eq_u32_e32 vcc_lo, 6, v37
	s_delay_alu instid0(VALU_DEP_2) | instskip(SKIP_1) | instid1(VALU_DEP_2)
	v_cndmask_b32_e32 v35, v35, v8, vcc_lo
	v_cmp_eq_u32_e32 vcc_lo, 7, v37
	v_cndmask_b32_e32 v35, v35, v9, vcc_lo
	v_cmp_eq_u32_e32 vcc_lo, 8, v37
	s_delay_alu instid0(VALU_DEP_2) | instskip(SKIP_1) | instid1(VALU_DEP_2)
	v_cndmask_b32_e32 v35, v35, v10, vcc_lo
	v_cmp_eq_u32_e32 vcc_lo, 9, v37
	v_cndmask_b32_e32 v35, v35, v11, vcc_lo
	v_cmp_eq_u32_e32 vcc_lo, 10, v37
	s_delay_alu instid0(VALU_DEP_2) | instskip(SKIP_1) | instid1(VALU_DEP_2)
	v_cndmask_b32_e32 v35, v35, v12, vcc_lo
	v_cmp_eq_u32_e32 vcc_lo, 11, v37
	v_cndmask_b32_e32 v35, v35, v13, vcc_lo
	v_cmp_eq_u32_e32 vcc_lo, 12, v37
	s_delay_alu instid0(VALU_DEP_2) | instskip(SKIP_1) | instid1(VALU_DEP_2)
	v_cndmask_b32_e32 v35, v35, v14, vcc_lo
	v_cmp_eq_u32_e32 vcc_lo, 13, v37
	v_cndmask_b32_e32 v35, v35, v15, vcc_lo
	v_cmp_eq_u32_e32 vcc_lo, 14, v37
	s_delay_alu instid0(VALU_DEP_2) | instskip(SKIP_1) | instid1(VALU_DEP_2)
	v_cndmask_b32_e32 v35, v35, v16, vcc_lo
	v_cmp_eq_u32_e32 vcc_lo, 15, v37
	v_cndmask_b32_e32 v35, v35, v17, vcc_lo
	v_cmp_eq_u32_e32 vcc_lo, 16, v37
	s_delay_alu instid0(VALU_DEP_2) | instskip(SKIP_1) | instid1(VALU_DEP_2)
	v_cndmask_b32_e32 v35, v35, v18, vcc_lo
	v_cmp_eq_u32_e32 vcc_lo, 17, v37
	v_cndmask_b32_e32 v35, v35, v19, vcc_lo
	v_cmp_eq_u32_e32 vcc_lo, 18, v37
	s_delay_alu instid0(VALU_DEP_2) | instskip(SKIP_1) | instid1(VALU_DEP_2)
	v_cndmask_b32_e32 v35, v35, v20, vcc_lo
	v_cmp_eq_u32_e32 vcc_lo, 19, v37
	v_cndmask_b32_e32 v35, v35, v21, vcc_lo
	v_cmp_eq_u32_e32 vcc_lo, 20, v37
	s_delay_alu instid0(VALU_DEP_2) | instskip(SKIP_1) | instid1(VALU_DEP_2)
	v_cndmask_b32_e32 v35, v35, v22, vcc_lo
	v_cmp_eq_u32_e32 vcc_lo, 21, v37
	v_cndmask_b32_e32 v35, v35, v23, vcc_lo
	v_cmp_eq_u32_e32 vcc_lo, 22, v37
	s_delay_alu instid0(VALU_DEP_2) | instskip(SKIP_1) | instid1(VALU_DEP_2)
	v_cndmask_b32_e32 v35, v35, v24, vcc_lo
	v_cmp_eq_u32_e32 vcc_lo, 23, v37
	v_cndmask_b32_e32 v35, v35, v25, vcc_lo
	v_cmp_eq_u32_e32 vcc_lo, 24, v37
	s_delay_alu instid0(VALU_DEP_2) | instskip(SKIP_1) | instid1(VALU_DEP_2)
	v_cndmask_b32_e32 v35, v35, v26, vcc_lo
	v_cmp_eq_u32_e32 vcc_lo, 25, v37
	v_cndmask_b32_e32 v35, v35, v27, vcc_lo
	v_cmp_eq_u32_e32 vcc_lo, 26, v37
	s_delay_alu instid0(VALU_DEP_2) | instskip(SKIP_1) | instid1(VALU_DEP_2)
	v_cndmask_b32_e32 v35, v35, v28, vcc_lo
	v_cmp_eq_u32_e32 vcc_lo, 27, v37
	v_cndmask_b32_e32 v35, v35, v29, vcc_lo
	v_cmp_eq_u32_e32 vcc_lo, 28, v37
	s_delay_alu instid0(VALU_DEP_2) | instskip(SKIP_1) | instid1(VALU_DEP_2)
	v_cndmask_b32_e32 v35, v35, v30, vcc_lo
	v_cmp_eq_u32_e32 vcc_lo, 29, v37
	v_cndmask_b32_e32 v35, v35, v31, vcc_lo
	v_cmp_eq_u32_e32 vcc_lo, 30, v37
	s_delay_alu instid0(VALU_DEP_2) | instskip(SKIP_1) | instid1(VALU_DEP_2)
	v_cndmask_b32_e32 v35, v35, v32, vcc_lo
	v_cmp_eq_u32_e32 vcc_lo, 31, v37
	v_cndmask_b32_e32 v35, v35, v33, vcc_lo
	s_wait_dscnt 0x0
	s_delay_alu instid0(VALU_DEP_1)
	v_fmac_f32_e32 v34, v35, v38
	s_and_saveexec_b32 s6, s3
	s_cbranch_execz .LBB31_572
; %bb.559:
	v_add_nc_u32_e32 v35, 2, v0
	ds_load_b32 v38, v133 offset:8
	s_mov_b32 s3, exec_lo
	v_cmp_eq_u32_e32 vcc_lo, 1, v35
	v_cndmask_b32_e32 v37, v2, v3, vcc_lo
	v_cmp_eq_u32_e32 vcc_lo, 2, v35
	s_delay_alu instid0(VALU_DEP_2) | instskip(SKIP_1) | instid1(VALU_DEP_2)
	v_cndmask_b32_e32 v37, v37, v4, vcc_lo
	v_cmp_eq_u32_e32 vcc_lo, 3, v35
	v_cndmask_b32_e32 v37, v37, v5, vcc_lo
	v_cmp_eq_u32_e32 vcc_lo, 4, v35
	s_delay_alu instid0(VALU_DEP_2) | instskip(SKIP_1) | instid1(VALU_DEP_2)
	v_cndmask_b32_e32 v37, v37, v6, vcc_lo
	v_cmp_eq_u32_e32 vcc_lo, 5, v35
	v_cndmask_b32_e32 v37, v37, v7, vcc_lo
	v_cmp_eq_u32_e32 vcc_lo, 6, v35
	s_delay_alu instid0(VALU_DEP_2) | instskip(SKIP_1) | instid1(VALU_DEP_2)
	v_cndmask_b32_e32 v37, v37, v8, vcc_lo
	v_cmp_eq_u32_e32 vcc_lo, 7, v35
	v_cndmask_b32_e32 v37, v37, v9, vcc_lo
	v_cmp_eq_u32_e32 vcc_lo, 8, v35
	s_delay_alu instid0(VALU_DEP_2) | instskip(SKIP_1) | instid1(VALU_DEP_2)
	v_cndmask_b32_e32 v37, v37, v10, vcc_lo
	v_cmp_eq_u32_e32 vcc_lo, 9, v35
	v_cndmask_b32_e32 v37, v37, v11, vcc_lo
	v_cmp_eq_u32_e32 vcc_lo, 10, v35
	s_delay_alu instid0(VALU_DEP_2) | instskip(SKIP_1) | instid1(VALU_DEP_2)
	v_cndmask_b32_e32 v37, v37, v12, vcc_lo
	v_cmp_eq_u32_e32 vcc_lo, 11, v35
	v_cndmask_b32_e32 v37, v37, v13, vcc_lo
	v_cmp_eq_u32_e32 vcc_lo, 12, v35
	s_delay_alu instid0(VALU_DEP_2) | instskip(SKIP_1) | instid1(VALU_DEP_2)
	v_cndmask_b32_e32 v37, v37, v14, vcc_lo
	v_cmp_eq_u32_e32 vcc_lo, 13, v35
	v_cndmask_b32_e32 v37, v37, v15, vcc_lo
	v_cmp_eq_u32_e32 vcc_lo, 14, v35
	s_delay_alu instid0(VALU_DEP_2) | instskip(SKIP_1) | instid1(VALU_DEP_2)
	v_cndmask_b32_e32 v37, v37, v16, vcc_lo
	v_cmp_eq_u32_e32 vcc_lo, 15, v35
	v_cndmask_b32_e32 v37, v37, v17, vcc_lo
	v_cmp_eq_u32_e32 vcc_lo, 16, v35
	s_delay_alu instid0(VALU_DEP_2) | instskip(SKIP_1) | instid1(VALU_DEP_2)
	v_cndmask_b32_e32 v37, v37, v18, vcc_lo
	v_cmp_eq_u32_e32 vcc_lo, 17, v35
	v_cndmask_b32_e32 v37, v37, v19, vcc_lo
	v_cmp_eq_u32_e32 vcc_lo, 18, v35
	s_delay_alu instid0(VALU_DEP_2) | instskip(SKIP_1) | instid1(VALU_DEP_2)
	v_cndmask_b32_e32 v37, v37, v20, vcc_lo
	v_cmp_eq_u32_e32 vcc_lo, 19, v35
	v_cndmask_b32_e32 v37, v37, v21, vcc_lo
	v_cmp_eq_u32_e32 vcc_lo, 20, v35
	s_delay_alu instid0(VALU_DEP_2) | instskip(SKIP_1) | instid1(VALU_DEP_2)
	v_cndmask_b32_e32 v37, v37, v22, vcc_lo
	v_cmp_eq_u32_e32 vcc_lo, 21, v35
	v_cndmask_b32_e32 v37, v37, v23, vcc_lo
	v_cmp_eq_u32_e32 vcc_lo, 22, v35
	s_delay_alu instid0(VALU_DEP_2) | instskip(SKIP_1) | instid1(VALU_DEP_2)
	v_cndmask_b32_e32 v37, v37, v24, vcc_lo
	v_cmp_eq_u32_e32 vcc_lo, 23, v35
	v_cndmask_b32_e32 v37, v37, v25, vcc_lo
	v_cmp_eq_u32_e32 vcc_lo, 24, v35
	s_delay_alu instid0(VALU_DEP_2) | instskip(SKIP_1) | instid1(VALU_DEP_2)
	v_cndmask_b32_e32 v37, v37, v26, vcc_lo
	v_cmp_eq_u32_e32 vcc_lo, 25, v35
	v_cndmask_b32_e32 v37, v37, v27, vcc_lo
	v_cmp_eq_u32_e32 vcc_lo, 26, v35
	s_delay_alu instid0(VALU_DEP_2) | instskip(SKIP_1) | instid1(VALU_DEP_2)
	v_cndmask_b32_e32 v37, v37, v28, vcc_lo
	v_cmp_eq_u32_e32 vcc_lo, 27, v35
	v_cndmask_b32_e32 v37, v37, v29, vcc_lo
	v_cmp_eq_u32_e32 vcc_lo, 28, v35
	s_delay_alu instid0(VALU_DEP_2) | instskip(SKIP_1) | instid1(VALU_DEP_2)
	v_cndmask_b32_e32 v37, v37, v30, vcc_lo
	v_cmp_eq_u32_e32 vcc_lo, 29, v35
	v_cndmask_b32_e32 v37, v37, v31, vcc_lo
	v_cmp_eq_u32_e32 vcc_lo, 30, v35
	s_delay_alu instid0(VALU_DEP_2) | instskip(SKIP_1) | instid1(VALU_DEP_2)
	v_cndmask_b32_e32 v37, v37, v32, vcc_lo
	v_cmp_eq_u32_e32 vcc_lo, 31, v35
	v_cndmask_b32_e32 v35, v37, v33, vcc_lo
	s_wait_dscnt 0x0
	s_delay_alu instid0(VALU_DEP_1)
	v_fmac_f32_e32 v34, v35, v38
	v_cmpx_ne_u32_e32 6, v0
	s_cbranch_execz .LBB31_571
; %bb.560:
	v_add_nc_u32_e32 v35, 3, v0
	ds_load_b32 v38, v133 offset:12
	v_cmp_eq_u32_e32 vcc_lo, 1, v35
	v_cndmask_b32_e32 v37, v2, v3, vcc_lo
	v_cmp_eq_u32_e32 vcc_lo, 2, v35
	s_delay_alu instid0(VALU_DEP_2) | instskip(SKIP_1) | instid1(VALU_DEP_2)
	v_cndmask_b32_e32 v37, v37, v4, vcc_lo
	v_cmp_eq_u32_e32 vcc_lo, 3, v35
	v_cndmask_b32_e32 v37, v37, v5, vcc_lo
	v_cmp_eq_u32_e32 vcc_lo, 4, v35
	s_delay_alu instid0(VALU_DEP_2) | instskip(SKIP_1) | instid1(VALU_DEP_2)
	v_cndmask_b32_e32 v37, v37, v6, vcc_lo
	;; [unrolled: 5-line block ×15, first 2 shown]
	v_cmp_eq_u32_e32 vcc_lo, 31, v35
	v_cndmask_b32_e32 v35, v37, v33, vcc_lo
	s_wait_dscnt 0x0
	s_delay_alu instid0(VALU_DEP_1)
	v_fmac_f32_e32 v34, v35, v38
	s_and_saveexec_b32 s7, s2
	s_cbranch_execz .LBB31_570
; %bb.561:
	v_add_nc_u32_e32 v35, 4, v0
	ds_load_b32 v38, v133 offset:16
	s_mov_b32 s2, exec_lo
	v_cmp_eq_u32_e32 vcc_lo, 1, v35
	v_cndmask_b32_e32 v37, v2, v3, vcc_lo
	v_cmp_eq_u32_e32 vcc_lo, 2, v35
	s_delay_alu instid0(VALU_DEP_2) | instskip(SKIP_1) | instid1(VALU_DEP_2)
	v_cndmask_b32_e32 v37, v37, v4, vcc_lo
	v_cmp_eq_u32_e32 vcc_lo, 3, v35
	v_cndmask_b32_e32 v37, v37, v5, vcc_lo
	v_cmp_eq_u32_e32 vcc_lo, 4, v35
	s_delay_alu instid0(VALU_DEP_2) | instskip(SKIP_1) | instid1(VALU_DEP_2)
	v_cndmask_b32_e32 v37, v37, v6, vcc_lo
	;; [unrolled: 5-line block ×15, first 2 shown]
	v_cmp_eq_u32_e32 vcc_lo, 31, v35
	v_cndmask_b32_e32 v35, v37, v33, vcc_lo
	s_wait_dscnt 0x0
	s_delay_alu instid0(VALU_DEP_1)
	v_fmac_f32_e32 v34, v35, v38
	v_cmpx_ne_u32_e32 4, v0
	s_cbranch_execz .LBB31_569
; %bb.562:
	v_add_nc_u32_e32 v35, 5, v0
	ds_load_b32 v38, v133 offset:20
	v_cmp_eq_u32_e32 vcc_lo, 1, v35
	v_cndmask_b32_e32 v37, v2, v3, vcc_lo
	v_cmp_eq_u32_e32 vcc_lo, 2, v35
	s_delay_alu instid0(VALU_DEP_2) | instskip(SKIP_1) | instid1(VALU_DEP_2)
	v_cndmask_b32_e32 v37, v37, v4, vcc_lo
	v_cmp_eq_u32_e32 vcc_lo, 3, v35
	v_cndmask_b32_e32 v37, v37, v5, vcc_lo
	v_cmp_eq_u32_e32 vcc_lo, 4, v35
	s_delay_alu instid0(VALU_DEP_2) | instskip(SKIP_1) | instid1(VALU_DEP_2)
	v_cndmask_b32_e32 v37, v37, v6, vcc_lo
	;; [unrolled: 5-line block ×15, first 2 shown]
	v_cmp_eq_u32_e32 vcc_lo, 31, v35
	v_cndmask_b32_e32 v35, v37, v33, vcc_lo
	s_wait_dscnt 0x0
	s_delay_alu instid0(VALU_DEP_1)
	v_fmac_f32_e32 v34, v35, v38
	s_and_saveexec_b32 s8, s1
	s_cbranch_execz .LBB31_568
; %bb.563:
	v_add_nc_u32_e32 v35, 6, v0
	ds_load_b32 v38, v133 offset:24
	s_mov_b32 s1, exec_lo
	v_cmp_eq_u32_e32 vcc_lo, 1, v35
	v_cndmask_b32_e32 v37, v2, v3, vcc_lo
	v_cmp_eq_u32_e32 vcc_lo, 2, v35
	s_delay_alu instid0(VALU_DEP_2) | instskip(SKIP_1) | instid1(VALU_DEP_2)
	v_cndmask_b32_e32 v37, v37, v4, vcc_lo
	v_cmp_eq_u32_e32 vcc_lo, 3, v35
	v_cndmask_b32_e32 v37, v37, v5, vcc_lo
	v_cmp_eq_u32_e32 vcc_lo, 4, v35
	s_delay_alu instid0(VALU_DEP_2) | instskip(SKIP_1) | instid1(VALU_DEP_2)
	v_cndmask_b32_e32 v37, v37, v6, vcc_lo
	;; [unrolled: 5-line block ×15, first 2 shown]
	v_cmp_eq_u32_e32 vcc_lo, 31, v35
	v_cndmask_b32_e32 v35, v37, v33, vcc_lo
	s_wait_dscnt 0x0
	s_delay_alu instid0(VALU_DEP_1)
	v_fmac_f32_e32 v34, v35, v38
	v_cmpx_ne_u32_e32 2, v0
	s_cbranch_execz .LBB31_567
; %bb.564:
	v_add_nc_u32_e32 v35, 7, v0
	s_delay_alu instid0(VALU_DEP_1) | instskip(SKIP_2) | instid1(VALU_DEP_2)
	v_cmp_eq_u32_e32 vcc_lo, 1, v35
	v_cndmask_b32_e32 v37, v2, v3, vcc_lo
	v_cmp_eq_u32_e32 vcc_lo, 2, v35
	v_cndmask_b32_e32 v37, v37, v4, vcc_lo
	v_cmp_eq_u32_e32 vcc_lo, 3, v35
	s_delay_alu instid0(VALU_DEP_2) | instskip(SKIP_1) | instid1(VALU_DEP_2)
	v_cndmask_b32_e32 v37, v37, v5, vcc_lo
	v_cmp_eq_u32_e32 vcc_lo, 4, v35
	v_cndmask_b32_e32 v37, v37, v6, vcc_lo
	v_cmp_eq_u32_e32 vcc_lo, 5, v35
	s_delay_alu instid0(VALU_DEP_2) | instskip(SKIP_1) | instid1(VALU_DEP_2)
	;; [unrolled: 5-line block ×3, first 2 shown]
	v_cndmask_b32_e32 v37, v37, v9, vcc_lo
	v_cmp_eq_u32_e32 vcc_lo, 8, v35
	v_cndmask_b32_e32 v37, v37, v10, vcc_lo
	v_cmp_eq_u32_e32 vcc_lo, 9, v35
	s_delay_alu instid0(VALU_DEP_2) | instskip(SKIP_4) | instid1(VALU_DEP_2)
	v_cndmask_b32_e32 v11, v37, v11, vcc_lo
	v_cmp_eq_u32_e32 vcc_lo, 10, v35
	ds_load_b32 v37, v133 offset:28
	v_cndmask_b32_e32 v11, v11, v12, vcc_lo
	v_cmp_eq_u32_e32 vcc_lo, 11, v35
	v_cndmask_b32_e32 v11, v11, v13, vcc_lo
	v_cmp_eq_u32_e32 vcc_lo, 12, v35
	s_delay_alu instid0(VALU_DEP_2) | instskip(SKIP_1) | instid1(VALU_DEP_2)
	v_cndmask_b32_e32 v11, v11, v14, vcc_lo
	v_cmp_eq_u32_e32 vcc_lo, 13, v35
	v_cndmask_b32_e32 v11, v11, v15, vcc_lo
	v_cmp_eq_u32_e32 vcc_lo, 14, v35
	s_delay_alu instid0(VALU_DEP_2) | instskip(SKIP_1) | instid1(VALU_DEP_2)
	;; [unrolled: 5-line block ×10, first 2 shown]
	v_cndmask_b32_e32 v11, v11, v32, vcc_lo
	v_cmp_eq_u32_e32 vcc_lo, 31, v35
	v_cndmask_b32_e32 v11, v11, v33, vcc_lo
	s_wait_dscnt 0x0
	s_delay_alu instid0(VALU_DEP_1)
	v_fmac_f32_e32 v34, v11, v37
	s_and_saveexec_b32 s9, s0
	s_cbranch_execz .LBB31_566
; %bb.565:
	ds_load_b32 v11, v133 offset:32
	s_wait_dscnt 0x0
	v_fmac_f32_e32 v34, v10, v11
.LBB31_566:
	s_or_b32 exec_lo, exec_lo, s9
.LBB31_567:
	s_delay_alu instid0(SALU_CYCLE_1)
	s_or_b32 exec_lo, exec_lo, s1
.LBB31_568:
	s_delay_alu instid0(SALU_CYCLE_1)
	s_or_b32 exec_lo, exec_lo, s8
.LBB31_569:
	s_delay_alu instid0(SALU_CYCLE_1)
	s_or_b32 exec_lo, exec_lo, s2
.LBB31_570:
	s_delay_alu instid0(SALU_CYCLE_1)
	s_or_b32 exec_lo, exec_lo, s7
.LBB31_571:
	s_delay_alu instid0(SALU_CYCLE_1)
	s_or_b32 exec_lo, exec_lo, s3
.LBB31_572:
	s_delay_alu instid0(SALU_CYCLE_1)
	s_or_b32 exec_lo, exec_lo, s6
.LBB31_573:
	s_delay_alu instid0(SALU_CYCLE_1)
	s_or_b32 exec_lo, exec_lo, s5
	v_mov_b32_e32 v11, 0
	ds_load_b32 v11, v11 offset:36
	s_wait_dscnt 0x0
	v_mul_f32_e32 v11, v34, v11
.LBB31_574:
	s_or_b32 exec_lo, exec_lo, s4
	s_delay_alu instid0(SALU_CYCLE_1)
	s_mov_b32 s0, exec_lo
	ds_store_b32 v133, v12
	s_wait_dscnt 0x0
	s_barrier_signal -1
	s_barrier_wait -1
	v_cmpx_gt_u32_e32 10, v0
	s_cbranch_execz .LBB31_584
; %bb.575:
	v_cmp_ne_u32_e32 vcc_lo, 1, v36
	s_cbranch_vccnz .LBB31_577
; %bb.576:
	v_cmp_eq_u32_e32 vcc_lo, 1, v0
	ds_load_b32 v35, v133
	v_cndmask_b32_e32 v34, v2, v3, vcc_lo
	v_cmp_eq_u32_e32 vcc_lo, 2, v0
	s_delay_alu instid0(VALU_DEP_2) | instskip(SKIP_1) | instid1(VALU_DEP_2)
	v_cndmask_b32_e32 v34, v34, v4, vcc_lo
	v_cmp_eq_u32_e32 vcc_lo, 3, v0
	v_cndmask_b32_e32 v34, v34, v5, vcc_lo
	v_cmp_eq_u32_e32 vcc_lo, 4, v0
	s_delay_alu instid0(VALU_DEP_2) | instskip(SKIP_1) | instid1(VALU_DEP_2)
	v_cndmask_b32_e32 v34, v34, v6, vcc_lo
	v_cmp_eq_u32_e32 vcc_lo, 5, v0
	;; [unrolled: 5-line block ×15, first 2 shown]
	v_cndmask_b32_e32 v34, v34, v33, vcc_lo
	s_wait_dscnt 0x0
	s_delay_alu instid0(VALU_DEP_1)
	v_mul_f32_e32 v37, v34, v35
	s_cbranch_execz .LBB31_578
	s_branch .LBB31_579
.LBB31_577:
                                        ; implicit-def: $vgpr37
.LBB31_578:
	ds_load_b32 v37, v133
.LBB31_579:
	s_mov_b32 s1, exec_lo
	v_cmpx_ne_u32_e32 9, v0
	s_cbranch_execz .LBB31_583
; %bb.580:
	v_mov_b64_e32 v[34:35], v[0:1]
	v_lshl_add_u32 v38, v0, 2, 0x84
	s_mov_b32 s2, 0
.LBB31_581:                             ; =>This Inner Loop Header: Depth=1
	s_delay_alu instid0(VALU_DEP_2)
	v_add_nc_u64_e32 v[34:35], 1, v[34:35]
	ds_load_b32 v40, v38
	v_add_nc_u32_e32 v38, 4, v38
	v_cmp_eq_u32_e32 vcc_lo, 1, v34
	v_cndmask_b32_e32 v39, v2, v3, vcc_lo
	v_cmp_eq_u32_e32 vcc_lo, 2, v34
	s_delay_alu instid0(VALU_DEP_2) | instskip(SKIP_1) | instid1(VALU_DEP_2)
	v_cndmask_b32_e32 v39, v39, v4, vcc_lo
	v_cmp_eq_u32_e32 vcc_lo, 3, v34
	v_cndmask_b32_e32 v39, v39, v5, vcc_lo
	v_cmp_eq_u32_e32 vcc_lo, 4, v34
	s_delay_alu instid0(VALU_DEP_2) | instskip(SKIP_1) | instid1(VALU_DEP_2)
	v_cndmask_b32_e32 v39, v39, v6, vcc_lo
	;; [unrolled: 5-line block ×15, first 2 shown]
	v_cmp_eq_u32_e32 vcc_lo, 31, v34
	v_cndmask_b32_e32 v39, v39, v33, vcc_lo
	v_cmp_lt_u32_e32 vcc_lo, 8, v34
	s_wait_dscnt 0x0
	s_delay_alu instid0(VALU_DEP_2) | instskip(SKIP_1) | instid1(SALU_CYCLE_1)
	v_fmac_f32_e32 v37, v39, v40
	s_or_b32 s2, vcc_lo, s2
	s_and_not1_b32 exec_lo, exec_lo, s2
	s_cbranch_execnz .LBB31_581
; %bb.582:
	s_or_b32 exec_lo, exec_lo, s2
.LBB31_583:
	s_delay_alu instid0(SALU_CYCLE_1)
	s_or_b32 exec_lo, exec_lo, s1
	v_mov_b32_e32 v12, 0
	ds_load_b32 v12, v12 offset:40
	s_wait_dscnt 0x0
	v_mul_f32_e32 v12, v37, v12
.LBB31_584:
	s_or_b32 exec_lo, exec_lo, s0
	s_delay_alu instid0(SALU_CYCLE_1)
	s_mov_b32 s0, exec_lo
	ds_store_b32 v133, v13
	s_wait_dscnt 0x0
	s_barrier_signal -1
	s_barrier_wait -1
	v_cmpx_gt_u32_e32 11, v0
	s_cbranch_execz .LBB31_594
; %bb.585:
	v_cmp_ne_u32_e32 vcc_lo, 1, v36
	s_cbranch_vccnz .LBB31_587
; %bb.586:
	v_cmp_eq_u32_e32 vcc_lo, 1, v0
	ds_load_b32 v35, v133
	v_cndmask_b32_e32 v34, v2, v3, vcc_lo
	v_cmp_eq_u32_e32 vcc_lo, 2, v0
	s_delay_alu instid0(VALU_DEP_2) | instskip(SKIP_1) | instid1(VALU_DEP_2)
	v_cndmask_b32_e32 v34, v34, v4, vcc_lo
	v_cmp_eq_u32_e32 vcc_lo, 3, v0
	v_cndmask_b32_e32 v34, v34, v5, vcc_lo
	v_cmp_eq_u32_e32 vcc_lo, 4, v0
	s_delay_alu instid0(VALU_DEP_2) | instskip(SKIP_1) | instid1(VALU_DEP_2)
	v_cndmask_b32_e32 v34, v34, v6, vcc_lo
	v_cmp_eq_u32_e32 vcc_lo, 5, v0
	;; [unrolled: 5-line block ×15, first 2 shown]
	v_cndmask_b32_e32 v34, v34, v33, vcc_lo
	s_wait_dscnt 0x0
	s_delay_alu instid0(VALU_DEP_1)
	v_mul_f32_e32 v37, v34, v35
	s_cbranch_execz .LBB31_588
	s_branch .LBB31_589
.LBB31_587:
                                        ; implicit-def: $vgpr37
.LBB31_588:
	ds_load_b32 v37, v133
.LBB31_589:
	s_mov_b32 s1, exec_lo
	v_cmpx_ne_u32_e32 10, v0
	s_cbranch_execz .LBB31_593
; %bb.590:
	v_mov_b64_e32 v[34:35], v[0:1]
	v_lshl_add_u32 v38, v0, 2, 0x84
	s_mov_b32 s2, 0
.LBB31_591:                             ; =>This Inner Loop Header: Depth=1
	s_delay_alu instid0(VALU_DEP_2)
	v_add_nc_u64_e32 v[34:35], 1, v[34:35]
	ds_load_b32 v40, v38
	v_add_nc_u32_e32 v38, 4, v38
	v_cmp_eq_u32_e32 vcc_lo, 1, v34
	v_cndmask_b32_e32 v39, v2, v3, vcc_lo
	v_cmp_eq_u32_e32 vcc_lo, 2, v34
	s_delay_alu instid0(VALU_DEP_2) | instskip(SKIP_1) | instid1(VALU_DEP_2)
	v_cndmask_b32_e32 v39, v39, v4, vcc_lo
	v_cmp_eq_u32_e32 vcc_lo, 3, v34
	v_cndmask_b32_e32 v39, v39, v5, vcc_lo
	v_cmp_eq_u32_e32 vcc_lo, 4, v34
	s_delay_alu instid0(VALU_DEP_2) | instskip(SKIP_1) | instid1(VALU_DEP_2)
	v_cndmask_b32_e32 v39, v39, v6, vcc_lo
	;; [unrolled: 5-line block ×15, first 2 shown]
	v_cmp_eq_u32_e32 vcc_lo, 31, v34
	v_cndmask_b32_e32 v39, v39, v33, vcc_lo
	v_cmp_lt_u32_e32 vcc_lo, 9, v34
	s_wait_dscnt 0x0
	s_delay_alu instid0(VALU_DEP_2) | instskip(SKIP_1) | instid1(SALU_CYCLE_1)
	v_fmac_f32_e32 v37, v39, v40
	s_or_b32 s2, vcc_lo, s2
	s_and_not1_b32 exec_lo, exec_lo, s2
	s_cbranch_execnz .LBB31_591
; %bb.592:
	s_or_b32 exec_lo, exec_lo, s2
.LBB31_593:
	s_delay_alu instid0(SALU_CYCLE_1)
	s_or_b32 exec_lo, exec_lo, s1
	v_mov_b32_e32 v13, 0
	ds_load_b32 v13, v13 offset:44
	s_wait_dscnt 0x0
	v_mul_f32_e32 v13, v37, v13
.LBB31_594:
	s_or_b32 exec_lo, exec_lo, s0
	s_delay_alu instid0(SALU_CYCLE_1)
	s_mov_b32 s0, exec_lo
	ds_store_b32 v133, v14
	s_wait_dscnt 0x0
	s_barrier_signal -1
	s_barrier_wait -1
	v_cmpx_gt_u32_e32 12, v0
	s_cbranch_execz .LBB31_604
; %bb.595:
	v_cmp_ne_u32_e32 vcc_lo, 1, v36
	s_cbranch_vccnz .LBB31_597
; %bb.596:
	v_cmp_eq_u32_e32 vcc_lo, 1, v0
	ds_load_b32 v35, v133
	v_cndmask_b32_e32 v34, v2, v3, vcc_lo
	v_cmp_eq_u32_e32 vcc_lo, 2, v0
	s_delay_alu instid0(VALU_DEP_2) | instskip(SKIP_1) | instid1(VALU_DEP_2)
	v_cndmask_b32_e32 v34, v34, v4, vcc_lo
	v_cmp_eq_u32_e32 vcc_lo, 3, v0
	v_cndmask_b32_e32 v34, v34, v5, vcc_lo
	v_cmp_eq_u32_e32 vcc_lo, 4, v0
	s_delay_alu instid0(VALU_DEP_2) | instskip(SKIP_1) | instid1(VALU_DEP_2)
	v_cndmask_b32_e32 v34, v34, v6, vcc_lo
	v_cmp_eq_u32_e32 vcc_lo, 5, v0
	v_cndmask_b32_e32 v34, v34, v7, vcc_lo
	v_cmp_eq_u32_e32 vcc_lo, 6, v0
	s_delay_alu instid0(VALU_DEP_2) | instskip(SKIP_1) | instid1(VALU_DEP_2)
	v_cndmask_b32_e32 v34, v34, v8, vcc_lo
	v_cmp_eq_u32_e32 vcc_lo, 7, v0
	v_cndmask_b32_e32 v34, v34, v9, vcc_lo
	v_cmp_eq_u32_e32 vcc_lo, 8, v0
	s_delay_alu instid0(VALU_DEP_2) | instskip(SKIP_1) | instid1(VALU_DEP_2)
	v_cndmask_b32_e32 v34, v34, v10, vcc_lo
	v_cmp_eq_u32_e32 vcc_lo, 9, v0
	v_cndmask_b32_e32 v34, v34, v11, vcc_lo
	v_cmp_eq_u32_e32 vcc_lo, 10, v0
	s_delay_alu instid0(VALU_DEP_2) | instskip(SKIP_1) | instid1(VALU_DEP_2)
	v_cndmask_b32_e32 v34, v34, v12, vcc_lo
	v_cmp_eq_u32_e32 vcc_lo, 11, v0
	v_cndmask_b32_e32 v34, v34, v13, vcc_lo
	v_cmp_eq_u32_e32 vcc_lo, 12, v0
	s_delay_alu instid0(VALU_DEP_2) | instskip(SKIP_1) | instid1(VALU_DEP_2)
	v_cndmask_b32_e32 v34, v34, v14, vcc_lo
	v_cmp_eq_u32_e32 vcc_lo, 13, v0
	v_cndmask_b32_e32 v34, v34, v15, vcc_lo
	v_cmp_eq_u32_e32 vcc_lo, 14, v0
	s_delay_alu instid0(VALU_DEP_2) | instskip(SKIP_1) | instid1(VALU_DEP_2)
	v_cndmask_b32_e32 v34, v34, v16, vcc_lo
	v_cmp_eq_u32_e32 vcc_lo, 15, v0
	v_cndmask_b32_e32 v34, v34, v17, vcc_lo
	v_cmp_eq_u32_e32 vcc_lo, 16, v0
	s_delay_alu instid0(VALU_DEP_2) | instskip(SKIP_1) | instid1(VALU_DEP_2)
	v_cndmask_b32_e32 v34, v34, v18, vcc_lo
	v_cmp_eq_u32_e32 vcc_lo, 17, v0
	v_cndmask_b32_e32 v34, v34, v19, vcc_lo
	v_cmp_eq_u32_e32 vcc_lo, 18, v0
	s_delay_alu instid0(VALU_DEP_2) | instskip(SKIP_1) | instid1(VALU_DEP_2)
	v_cndmask_b32_e32 v34, v34, v20, vcc_lo
	v_cmp_eq_u32_e32 vcc_lo, 19, v0
	v_cndmask_b32_e32 v34, v34, v21, vcc_lo
	v_cmp_eq_u32_e32 vcc_lo, 20, v0
	s_delay_alu instid0(VALU_DEP_2) | instskip(SKIP_1) | instid1(VALU_DEP_2)
	v_cndmask_b32_e32 v34, v34, v22, vcc_lo
	v_cmp_eq_u32_e32 vcc_lo, 21, v0
	v_cndmask_b32_e32 v34, v34, v23, vcc_lo
	v_cmp_eq_u32_e32 vcc_lo, 22, v0
	s_delay_alu instid0(VALU_DEP_2) | instskip(SKIP_1) | instid1(VALU_DEP_2)
	v_cndmask_b32_e32 v34, v34, v24, vcc_lo
	v_cmp_eq_u32_e32 vcc_lo, 23, v0
	v_cndmask_b32_e32 v34, v34, v25, vcc_lo
	v_cmp_eq_u32_e32 vcc_lo, 24, v0
	s_delay_alu instid0(VALU_DEP_2) | instskip(SKIP_1) | instid1(VALU_DEP_2)
	v_cndmask_b32_e32 v34, v34, v26, vcc_lo
	v_cmp_eq_u32_e32 vcc_lo, 25, v0
	v_cndmask_b32_e32 v34, v34, v27, vcc_lo
	v_cmp_eq_u32_e32 vcc_lo, 26, v0
	s_delay_alu instid0(VALU_DEP_2) | instskip(SKIP_1) | instid1(VALU_DEP_2)
	v_cndmask_b32_e32 v34, v34, v28, vcc_lo
	v_cmp_eq_u32_e32 vcc_lo, 27, v0
	v_cndmask_b32_e32 v34, v34, v29, vcc_lo
	v_cmp_eq_u32_e32 vcc_lo, 28, v0
	s_delay_alu instid0(VALU_DEP_2) | instskip(SKIP_1) | instid1(VALU_DEP_2)
	v_cndmask_b32_e32 v34, v34, v30, vcc_lo
	v_cmp_eq_u32_e32 vcc_lo, 29, v0
	v_cndmask_b32_e32 v34, v34, v31, vcc_lo
	v_cmp_eq_u32_e32 vcc_lo, 30, v0
	s_delay_alu instid0(VALU_DEP_2) | instskip(SKIP_1) | instid1(VALU_DEP_2)
	v_cndmask_b32_e32 v34, v34, v32, vcc_lo
	v_cmp_eq_u32_e32 vcc_lo, 31, v0
	v_cndmask_b32_e32 v34, v34, v33, vcc_lo
	s_wait_dscnt 0x0
	s_delay_alu instid0(VALU_DEP_1)
	v_mul_f32_e32 v37, v34, v35
	s_cbranch_execz .LBB31_598
	s_branch .LBB31_599
.LBB31_597:
                                        ; implicit-def: $vgpr37
.LBB31_598:
	ds_load_b32 v37, v133
.LBB31_599:
	s_mov_b32 s1, exec_lo
	v_cmpx_ne_u32_e32 11, v0
	s_cbranch_execz .LBB31_603
; %bb.600:
	v_mov_b64_e32 v[34:35], v[0:1]
	v_lshl_add_u32 v38, v0, 2, 0x84
	s_mov_b32 s2, 0
.LBB31_601:                             ; =>This Inner Loop Header: Depth=1
	s_delay_alu instid0(VALU_DEP_2)
	v_add_nc_u64_e32 v[34:35], 1, v[34:35]
	ds_load_b32 v40, v38
	v_add_nc_u32_e32 v38, 4, v38
	v_cmp_eq_u32_e32 vcc_lo, 1, v34
	v_cndmask_b32_e32 v39, v2, v3, vcc_lo
	v_cmp_eq_u32_e32 vcc_lo, 2, v34
	s_delay_alu instid0(VALU_DEP_2) | instskip(SKIP_1) | instid1(VALU_DEP_2)
	v_cndmask_b32_e32 v39, v39, v4, vcc_lo
	v_cmp_eq_u32_e32 vcc_lo, 3, v34
	v_cndmask_b32_e32 v39, v39, v5, vcc_lo
	v_cmp_eq_u32_e32 vcc_lo, 4, v34
	s_delay_alu instid0(VALU_DEP_2) | instskip(SKIP_1) | instid1(VALU_DEP_2)
	v_cndmask_b32_e32 v39, v39, v6, vcc_lo
	;; [unrolled: 5-line block ×15, first 2 shown]
	v_cmp_eq_u32_e32 vcc_lo, 31, v34
	v_cndmask_b32_e32 v39, v39, v33, vcc_lo
	v_cmp_lt_u32_e32 vcc_lo, 10, v34
	s_wait_dscnt 0x0
	s_delay_alu instid0(VALU_DEP_2) | instskip(SKIP_1) | instid1(SALU_CYCLE_1)
	v_fmac_f32_e32 v37, v39, v40
	s_or_b32 s2, vcc_lo, s2
	s_and_not1_b32 exec_lo, exec_lo, s2
	s_cbranch_execnz .LBB31_601
; %bb.602:
	s_or_b32 exec_lo, exec_lo, s2
.LBB31_603:
	s_delay_alu instid0(SALU_CYCLE_1)
	s_or_b32 exec_lo, exec_lo, s1
	v_mov_b32_e32 v14, 0
	ds_load_b32 v14, v14 offset:48
	s_wait_dscnt 0x0
	v_mul_f32_e32 v14, v37, v14
.LBB31_604:
	s_or_b32 exec_lo, exec_lo, s0
	s_delay_alu instid0(SALU_CYCLE_1)
	s_mov_b32 s0, exec_lo
	ds_store_b32 v133, v15
	s_wait_dscnt 0x0
	s_barrier_signal -1
	s_barrier_wait -1
	v_cmpx_gt_u32_e32 13, v0
	s_cbranch_execz .LBB31_614
; %bb.605:
	v_cmp_ne_u32_e32 vcc_lo, 1, v36
	s_cbranch_vccnz .LBB31_607
; %bb.606:
	v_cmp_eq_u32_e32 vcc_lo, 1, v0
	ds_load_b32 v35, v133
	v_cndmask_b32_e32 v34, v2, v3, vcc_lo
	v_cmp_eq_u32_e32 vcc_lo, 2, v0
	s_delay_alu instid0(VALU_DEP_2) | instskip(SKIP_1) | instid1(VALU_DEP_2)
	v_cndmask_b32_e32 v34, v34, v4, vcc_lo
	v_cmp_eq_u32_e32 vcc_lo, 3, v0
	v_cndmask_b32_e32 v34, v34, v5, vcc_lo
	v_cmp_eq_u32_e32 vcc_lo, 4, v0
	s_delay_alu instid0(VALU_DEP_2) | instskip(SKIP_1) | instid1(VALU_DEP_2)
	v_cndmask_b32_e32 v34, v34, v6, vcc_lo
	v_cmp_eq_u32_e32 vcc_lo, 5, v0
	;; [unrolled: 5-line block ×15, first 2 shown]
	v_cndmask_b32_e32 v34, v34, v33, vcc_lo
	s_wait_dscnt 0x0
	s_delay_alu instid0(VALU_DEP_1)
	v_mul_f32_e32 v37, v34, v35
	s_cbranch_execz .LBB31_608
	s_branch .LBB31_609
.LBB31_607:
                                        ; implicit-def: $vgpr37
.LBB31_608:
	ds_load_b32 v37, v133
.LBB31_609:
	s_mov_b32 s1, exec_lo
	v_cmpx_ne_u32_e32 12, v0
	s_cbranch_execz .LBB31_613
; %bb.610:
	v_mov_b64_e32 v[34:35], v[0:1]
	v_lshl_add_u32 v38, v0, 2, 0x84
	s_mov_b32 s2, 0
.LBB31_611:                             ; =>This Inner Loop Header: Depth=1
	s_delay_alu instid0(VALU_DEP_2)
	v_add_nc_u64_e32 v[34:35], 1, v[34:35]
	ds_load_b32 v40, v38
	v_add_nc_u32_e32 v38, 4, v38
	v_cmp_eq_u32_e32 vcc_lo, 1, v34
	v_cndmask_b32_e32 v39, v2, v3, vcc_lo
	v_cmp_eq_u32_e32 vcc_lo, 2, v34
	s_delay_alu instid0(VALU_DEP_2) | instskip(SKIP_1) | instid1(VALU_DEP_2)
	v_cndmask_b32_e32 v39, v39, v4, vcc_lo
	v_cmp_eq_u32_e32 vcc_lo, 3, v34
	v_cndmask_b32_e32 v39, v39, v5, vcc_lo
	v_cmp_eq_u32_e32 vcc_lo, 4, v34
	s_delay_alu instid0(VALU_DEP_2) | instskip(SKIP_1) | instid1(VALU_DEP_2)
	v_cndmask_b32_e32 v39, v39, v6, vcc_lo
	;; [unrolled: 5-line block ×15, first 2 shown]
	v_cmp_eq_u32_e32 vcc_lo, 31, v34
	v_cndmask_b32_e32 v39, v39, v33, vcc_lo
	v_cmp_lt_u32_e32 vcc_lo, 11, v34
	s_wait_dscnt 0x0
	s_delay_alu instid0(VALU_DEP_2) | instskip(SKIP_1) | instid1(SALU_CYCLE_1)
	v_fmac_f32_e32 v37, v39, v40
	s_or_b32 s2, vcc_lo, s2
	s_and_not1_b32 exec_lo, exec_lo, s2
	s_cbranch_execnz .LBB31_611
; %bb.612:
	s_or_b32 exec_lo, exec_lo, s2
.LBB31_613:
	s_delay_alu instid0(SALU_CYCLE_1)
	s_or_b32 exec_lo, exec_lo, s1
	v_mov_b32_e32 v15, 0
	ds_load_b32 v15, v15 offset:52
	s_wait_dscnt 0x0
	v_mul_f32_e32 v15, v37, v15
.LBB31_614:
	s_or_b32 exec_lo, exec_lo, s0
	s_delay_alu instid0(SALU_CYCLE_1)
	s_mov_b32 s0, exec_lo
	ds_store_b32 v133, v16
	s_wait_dscnt 0x0
	s_barrier_signal -1
	s_barrier_wait -1
	v_cmpx_gt_u32_e32 14, v0
	s_cbranch_execz .LBB31_624
; %bb.615:
	v_cmp_ne_u32_e32 vcc_lo, 1, v36
	s_cbranch_vccnz .LBB31_617
; %bb.616:
	v_cmp_eq_u32_e32 vcc_lo, 1, v0
	ds_load_b32 v35, v133
	v_cndmask_b32_e32 v34, v2, v3, vcc_lo
	v_cmp_eq_u32_e32 vcc_lo, 2, v0
	s_delay_alu instid0(VALU_DEP_2) | instskip(SKIP_1) | instid1(VALU_DEP_2)
	v_cndmask_b32_e32 v34, v34, v4, vcc_lo
	v_cmp_eq_u32_e32 vcc_lo, 3, v0
	v_cndmask_b32_e32 v34, v34, v5, vcc_lo
	v_cmp_eq_u32_e32 vcc_lo, 4, v0
	s_delay_alu instid0(VALU_DEP_2) | instskip(SKIP_1) | instid1(VALU_DEP_2)
	v_cndmask_b32_e32 v34, v34, v6, vcc_lo
	v_cmp_eq_u32_e32 vcc_lo, 5, v0
	;; [unrolled: 5-line block ×15, first 2 shown]
	v_cndmask_b32_e32 v34, v34, v33, vcc_lo
	s_wait_dscnt 0x0
	s_delay_alu instid0(VALU_DEP_1)
	v_mul_f32_e32 v37, v34, v35
	s_cbranch_execz .LBB31_618
	s_branch .LBB31_619
.LBB31_617:
                                        ; implicit-def: $vgpr37
.LBB31_618:
	ds_load_b32 v37, v133
.LBB31_619:
	s_mov_b32 s1, exec_lo
	v_cmpx_ne_u32_e32 13, v0
	s_cbranch_execz .LBB31_623
; %bb.620:
	v_mov_b64_e32 v[34:35], v[0:1]
	v_lshl_add_u32 v38, v0, 2, 0x84
	s_mov_b32 s2, 0
.LBB31_621:                             ; =>This Inner Loop Header: Depth=1
	s_delay_alu instid0(VALU_DEP_2)
	v_add_nc_u64_e32 v[34:35], 1, v[34:35]
	ds_load_b32 v40, v38
	v_add_nc_u32_e32 v38, 4, v38
	v_cmp_eq_u32_e32 vcc_lo, 1, v34
	v_cndmask_b32_e32 v39, v2, v3, vcc_lo
	v_cmp_eq_u32_e32 vcc_lo, 2, v34
	s_delay_alu instid0(VALU_DEP_2) | instskip(SKIP_1) | instid1(VALU_DEP_2)
	v_cndmask_b32_e32 v39, v39, v4, vcc_lo
	v_cmp_eq_u32_e32 vcc_lo, 3, v34
	v_cndmask_b32_e32 v39, v39, v5, vcc_lo
	v_cmp_eq_u32_e32 vcc_lo, 4, v34
	s_delay_alu instid0(VALU_DEP_2) | instskip(SKIP_1) | instid1(VALU_DEP_2)
	v_cndmask_b32_e32 v39, v39, v6, vcc_lo
	;; [unrolled: 5-line block ×15, first 2 shown]
	v_cmp_eq_u32_e32 vcc_lo, 31, v34
	v_cndmask_b32_e32 v39, v39, v33, vcc_lo
	v_cmp_lt_u32_e32 vcc_lo, 12, v34
	s_wait_dscnt 0x0
	s_delay_alu instid0(VALU_DEP_2) | instskip(SKIP_1) | instid1(SALU_CYCLE_1)
	v_fmac_f32_e32 v37, v39, v40
	s_or_b32 s2, vcc_lo, s2
	s_and_not1_b32 exec_lo, exec_lo, s2
	s_cbranch_execnz .LBB31_621
; %bb.622:
	s_or_b32 exec_lo, exec_lo, s2
.LBB31_623:
	s_delay_alu instid0(SALU_CYCLE_1)
	s_or_b32 exec_lo, exec_lo, s1
	v_mov_b32_e32 v16, 0
	ds_load_b32 v16, v16 offset:56
	s_wait_dscnt 0x0
	v_mul_f32_e32 v16, v37, v16
.LBB31_624:
	s_or_b32 exec_lo, exec_lo, s0
	s_delay_alu instid0(SALU_CYCLE_1)
	s_mov_b32 s0, exec_lo
	ds_store_b32 v133, v17
	s_wait_dscnt 0x0
	s_barrier_signal -1
	s_barrier_wait -1
	v_cmpx_gt_u32_e32 15, v0
	s_cbranch_execz .LBB31_634
; %bb.625:
	v_cmp_ne_u32_e32 vcc_lo, 1, v36
	s_cbranch_vccnz .LBB31_627
; %bb.626:
	v_cmp_eq_u32_e32 vcc_lo, 1, v0
	ds_load_b32 v35, v133
	v_cndmask_b32_e32 v34, v2, v3, vcc_lo
	v_cmp_eq_u32_e32 vcc_lo, 2, v0
	s_delay_alu instid0(VALU_DEP_2) | instskip(SKIP_1) | instid1(VALU_DEP_2)
	v_cndmask_b32_e32 v34, v34, v4, vcc_lo
	v_cmp_eq_u32_e32 vcc_lo, 3, v0
	v_cndmask_b32_e32 v34, v34, v5, vcc_lo
	v_cmp_eq_u32_e32 vcc_lo, 4, v0
	s_delay_alu instid0(VALU_DEP_2) | instskip(SKIP_1) | instid1(VALU_DEP_2)
	v_cndmask_b32_e32 v34, v34, v6, vcc_lo
	v_cmp_eq_u32_e32 vcc_lo, 5, v0
	;; [unrolled: 5-line block ×15, first 2 shown]
	v_cndmask_b32_e32 v34, v34, v33, vcc_lo
	s_wait_dscnt 0x0
	s_delay_alu instid0(VALU_DEP_1)
	v_mul_f32_e32 v37, v34, v35
	s_cbranch_execz .LBB31_628
	s_branch .LBB31_629
.LBB31_627:
                                        ; implicit-def: $vgpr37
.LBB31_628:
	ds_load_b32 v37, v133
.LBB31_629:
	s_mov_b32 s1, exec_lo
	v_cmpx_ne_u32_e32 14, v0
	s_cbranch_execz .LBB31_633
; %bb.630:
	v_mov_b64_e32 v[34:35], v[0:1]
	v_lshl_add_u32 v38, v0, 2, 0x84
	s_mov_b32 s2, 0
.LBB31_631:                             ; =>This Inner Loop Header: Depth=1
	s_delay_alu instid0(VALU_DEP_2)
	v_add_nc_u64_e32 v[34:35], 1, v[34:35]
	ds_load_b32 v40, v38
	v_add_nc_u32_e32 v38, 4, v38
	v_cmp_eq_u32_e32 vcc_lo, 1, v34
	v_cndmask_b32_e32 v39, v2, v3, vcc_lo
	v_cmp_eq_u32_e32 vcc_lo, 2, v34
	s_delay_alu instid0(VALU_DEP_2) | instskip(SKIP_1) | instid1(VALU_DEP_2)
	v_cndmask_b32_e32 v39, v39, v4, vcc_lo
	v_cmp_eq_u32_e32 vcc_lo, 3, v34
	v_cndmask_b32_e32 v39, v39, v5, vcc_lo
	v_cmp_eq_u32_e32 vcc_lo, 4, v34
	s_delay_alu instid0(VALU_DEP_2) | instskip(SKIP_1) | instid1(VALU_DEP_2)
	v_cndmask_b32_e32 v39, v39, v6, vcc_lo
	;; [unrolled: 5-line block ×15, first 2 shown]
	v_cmp_eq_u32_e32 vcc_lo, 31, v34
	v_cndmask_b32_e32 v39, v39, v33, vcc_lo
	v_cmp_lt_u32_e32 vcc_lo, 13, v34
	s_wait_dscnt 0x0
	s_delay_alu instid0(VALU_DEP_2) | instskip(SKIP_1) | instid1(SALU_CYCLE_1)
	v_fmac_f32_e32 v37, v39, v40
	s_or_b32 s2, vcc_lo, s2
	s_and_not1_b32 exec_lo, exec_lo, s2
	s_cbranch_execnz .LBB31_631
; %bb.632:
	s_or_b32 exec_lo, exec_lo, s2
.LBB31_633:
	s_delay_alu instid0(SALU_CYCLE_1)
	s_or_b32 exec_lo, exec_lo, s1
	v_mov_b32_e32 v17, 0
	ds_load_b32 v17, v17 offset:60
	s_wait_dscnt 0x0
	v_mul_f32_e32 v17, v37, v17
.LBB31_634:
	s_or_b32 exec_lo, exec_lo, s0
	s_delay_alu instid0(SALU_CYCLE_1)
	s_mov_b32 s0, exec_lo
	ds_store_b32 v133, v18
	s_wait_dscnt 0x0
	s_barrier_signal -1
	s_barrier_wait -1
	v_cmpx_gt_u32_e32 16, v0
	s_cbranch_execz .LBB31_644
; %bb.635:
	v_cmp_ne_u32_e32 vcc_lo, 1, v36
	s_cbranch_vccnz .LBB31_637
; %bb.636:
	v_cmp_eq_u32_e32 vcc_lo, 1, v0
	ds_load_b32 v35, v133
	v_cndmask_b32_e32 v34, v2, v3, vcc_lo
	v_cmp_eq_u32_e32 vcc_lo, 2, v0
	s_delay_alu instid0(VALU_DEP_2) | instskip(SKIP_1) | instid1(VALU_DEP_2)
	v_cndmask_b32_e32 v34, v34, v4, vcc_lo
	v_cmp_eq_u32_e32 vcc_lo, 3, v0
	v_cndmask_b32_e32 v34, v34, v5, vcc_lo
	v_cmp_eq_u32_e32 vcc_lo, 4, v0
	s_delay_alu instid0(VALU_DEP_2) | instskip(SKIP_1) | instid1(VALU_DEP_2)
	v_cndmask_b32_e32 v34, v34, v6, vcc_lo
	v_cmp_eq_u32_e32 vcc_lo, 5, v0
	;; [unrolled: 5-line block ×15, first 2 shown]
	v_cndmask_b32_e32 v34, v34, v33, vcc_lo
	s_wait_dscnt 0x0
	s_delay_alu instid0(VALU_DEP_1)
	v_mul_f32_e32 v37, v34, v35
	s_cbranch_execz .LBB31_638
	s_branch .LBB31_639
.LBB31_637:
                                        ; implicit-def: $vgpr37
.LBB31_638:
	ds_load_b32 v37, v133
.LBB31_639:
	s_mov_b32 s1, exec_lo
	v_cmpx_ne_u32_e32 15, v0
	s_cbranch_execz .LBB31_643
; %bb.640:
	v_mov_b64_e32 v[34:35], v[0:1]
	v_lshl_add_u32 v38, v0, 2, 0x84
	s_mov_b32 s2, 0
.LBB31_641:                             ; =>This Inner Loop Header: Depth=1
	s_delay_alu instid0(VALU_DEP_2)
	v_add_nc_u64_e32 v[34:35], 1, v[34:35]
	ds_load_b32 v40, v38
	v_add_nc_u32_e32 v38, 4, v38
	v_cmp_eq_u32_e32 vcc_lo, 1, v34
	v_cndmask_b32_e32 v39, v2, v3, vcc_lo
	v_cmp_eq_u32_e32 vcc_lo, 2, v34
	s_delay_alu instid0(VALU_DEP_2) | instskip(SKIP_1) | instid1(VALU_DEP_2)
	v_cndmask_b32_e32 v39, v39, v4, vcc_lo
	v_cmp_eq_u32_e32 vcc_lo, 3, v34
	v_cndmask_b32_e32 v39, v39, v5, vcc_lo
	v_cmp_eq_u32_e32 vcc_lo, 4, v34
	s_delay_alu instid0(VALU_DEP_2) | instskip(SKIP_1) | instid1(VALU_DEP_2)
	v_cndmask_b32_e32 v39, v39, v6, vcc_lo
	v_cmp_eq_u32_e32 vcc_lo, 5, v34
	v_cndmask_b32_e32 v39, v39, v7, vcc_lo
	v_cmp_eq_u32_e32 vcc_lo, 6, v34
	s_delay_alu instid0(VALU_DEP_2) | instskip(SKIP_1) | instid1(VALU_DEP_2)
	v_cndmask_b32_e32 v39, v39, v8, vcc_lo
	v_cmp_eq_u32_e32 vcc_lo, 7, v34
	v_cndmask_b32_e32 v39, v39, v9, vcc_lo
	v_cmp_eq_u32_e32 vcc_lo, 8, v34
	s_delay_alu instid0(VALU_DEP_2) | instskip(SKIP_1) | instid1(VALU_DEP_2)
	v_cndmask_b32_e32 v39, v39, v10, vcc_lo
	v_cmp_eq_u32_e32 vcc_lo, 9, v34
	v_cndmask_b32_e32 v39, v39, v11, vcc_lo
	v_cmp_eq_u32_e32 vcc_lo, 10, v34
	s_delay_alu instid0(VALU_DEP_2) | instskip(SKIP_1) | instid1(VALU_DEP_2)
	v_cndmask_b32_e32 v39, v39, v12, vcc_lo
	v_cmp_eq_u32_e32 vcc_lo, 11, v34
	v_cndmask_b32_e32 v39, v39, v13, vcc_lo
	v_cmp_eq_u32_e32 vcc_lo, 12, v34
	s_delay_alu instid0(VALU_DEP_2) | instskip(SKIP_1) | instid1(VALU_DEP_2)
	v_cndmask_b32_e32 v39, v39, v14, vcc_lo
	v_cmp_eq_u32_e32 vcc_lo, 13, v34
	v_cndmask_b32_e32 v39, v39, v15, vcc_lo
	v_cmp_eq_u32_e32 vcc_lo, 14, v34
	s_delay_alu instid0(VALU_DEP_2) | instskip(SKIP_1) | instid1(VALU_DEP_2)
	v_cndmask_b32_e32 v39, v39, v16, vcc_lo
	v_cmp_eq_u32_e32 vcc_lo, 15, v34
	v_cndmask_b32_e32 v39, v39, v17, vcc_lo
	v_cmp_eq_u32_e32 vcc_lo, 16, v34
	s_delay_alu instid0(VALU_DEP_2) | instskip(SKIP_1) | instid1(VALU_DEP_2)
	v_cndmask_b32_e32 v39, v39, v18, vcc_lo
	v_cmp_eq_u32_e32 vcc_lo, 17, v34
	v_cndmask_b32_e32 v39, v39, v19, vcc_lo
	v_cmp_eq_u32_e32 vcc_lo, 18, v34
	s_delay_alu instid0(VALU_DEP_2) | instskip(SKIP_1) | instid1(VALU_DEP_2)
	v_cndmask_b32_e32 v39, v39, v20, vcc_lo
	v_cmp_eq_u32_e32 vcc_lo, 19, v34
	v_cndmask_b32_e32 v39, v39, v21, vcc_lo
	v_cmp_eq_u32_e32 vcc_lo, 20, v34
	s_delay_alu instid0(VALU_DEP_2) | instskip(SKIP_1) | instid1(VALU_DEP_2)
	v_cndmask_b32_e32 v39, v39, v22, vcc_lo
	v_cmp_eq_u32_e32 vcc_lo, 21, v34
	v_cndmask_b32_e32 v39, v39, v23, vcc_lo
	v_cmp_eq_u32_e32 vcc_lo, 22, v34
	s_delay_alu instid0(VALU_DEP_2) | instskip(SKIP_1) | instid1(VALU_DEP_2)
	v_cndmask_b32_e32 v39, v39, v24, vcc_lo
	v_cmp_eq_u32_e32 vcc_lo, 23, v34
	v_cndmask_b32_e32 v39, v39, v25, vcc_lo
	v_cmp_eq_u32_e32 vcc_lo, 24, v34
	s_delay_alu instid0(VALU_DEP_2) | instskip(SKIP_1) | instid1(VALU_DEP_2)
	v_cndmask_b32_e32 v39, v39, v26, vcc_lo
	v_cmp_eq_u32_e32 vcc_lo, 25, v34
	v_cndmask_b32_e32 v39, v39, v27, vcc_lo
	v_cmp_eq_u32_e32 vcc_lo, 26, v34
	s_delay_alu instid0(VALU_DEP_2) | instskip(SKIP_1) | instid1(VALU_DEP_2)
	v_cndmask_b32_e32 v39, v39, v28, vcc_lo
	v_cmp_eq_u32_e32 vcc_lo, 27, v34
	v_cndmask_b32_e32 v39, v39, v29, vcc_lo
	v_cmp_eq_u32_e32 vcc_lo, 28, v34
	s_delay_alu instid0(VALU_DEP_2) | instskip(SKIP_1) | instid1(VALU_DEP_2)
	v_cndmask_b32_e32 v39, v39, v30, vcc_lo
	v_cmp_eq_u32_e32 vcc_lo, 29, v34
	v_cndmask_b32_e32 v39, v39, v31, vcc_lo
	v_cmp_eq_u32_e32 vcc_lo, 30, v34
	s_delay_alu instid0(VALU_DEP_2) | instskip(SKIP_1) | instid1(VALU_DEP_2)
	v_cndmask_b32_e32 v39, v39, v32, vcc_lo
	v_cmp_eq_u32_e32 vcc_lo, 31, v34
	v_cndmask_b32_e32 v39, v39, v33, vcc_lo
	v_cmp_lt_u32_e32 vcc_lo, 14, v34
	s_wait_dscnt 0x0
	s_delay_alu instid0(VALU_DEP_2) | instskip(SKIP_1) | instid1(SALU_CYCLE_1)
	v_fmac_f32_e32 v37, v39, v40
	s_or_b32 s2, vcc_lo, s2
	s_and_not1_b32 exec_lo, exec_lo, s2
	s_cbranch_execnz .LBB31_641
; %bb.642:
	s_or_b32 exec_lo, exec_lo, s2
.LBB31_643:
	s_delay_alu instid0(SALU_CYCLE_1)
	s_or_b32 exec_lo, exec_lo, s1
	v_mov_b32_e32 v18, 0
	ds_load_b32 v18, v18 offset:64
	s_wait_dscnt 0x0
	v_mul_f32_e32 v18, v37, v18
.LBB31_644:
	s_or_b32 exec_lo, exec_lo, s0
	s_delay_alu instid0(SALU_CYCLE_1)
	s_mov_b32 s0, exec_lo
	ds_store_b32 v133, v19
	s_wait_dscnt 0x0
	s_barrier_signal -1
	s_barrier_wait -1
	v_cmpx_gt_u32_e32 17, v0
	s_cbranch_execz .LBB31_654
; %bb.645:
	v_cmp_ne_u32_e32 vcc_lo, 1, v36
	s_cbranch_vccnz .LBB31_647
; %bb.646:
	v_cmp_eq_u32_e32 vcc_lo, 1, v0
	ds_load_b32 v35, v133
	v_cndmask_b32_e32 v34, v2, v3, vcc_lo
	v_cmp_eq_u32_e32 vcc_lo, 2, v0
	s_delay_alu instid0(VALU_DEP_2) | instskip(SKIP_1) | instid1(VALU_DEP_2)
	v_cndmask_b32_e32 v34, v34, v4, vcc_lo
	v_cmp_eq_u32_e32 vcc_lo, 3, v0
	v_cndmask_b32_e32 v34, v34, v5, vcc_lo
	v_cmp_eq_u32_e32 vcc_lo, 4, v0
	s_delay_alu instid0(VALU_DEP_2) | instskip(SKIP_1) | instid1(VALU_DEP_2)
	v_cndmask_b32_e32 v34, v34, v6, vcc_lo
	v_cmp_eq_u32_e32 vcc_lo, 5, v0
	;; [unrolled: 5-line block ×15, first 2 shown]
	v_cndmask_b32_e32 v34, v34, v33, vcc_lo
	s_wait_dscnt 0x0
	s_delay_alu instid0(VALU_DEP_1)
	v_mul_f32_e32 v37, v34, v35
	s_cbranch_execz .LBB31_648
	s_branch .LBB31_649
.LBB31_647:
                                        ; implicit-def: $vgpr37
.LBB31_648:
	ds_load_b32 v37, v133
.LBB31_649:
	s_mov_b32 s1, exec_lo
	v_cmpx_ne_u32_e32 16, v0
	s_cbranch_execz .LBB31_653
; %bb.650:
	v_mov_b64_e32 v[34:35], v[0:1]
	v_lshl_add_u32 v38, v0, 2, 0x84
	s_mov_b32 s2, 0
.LBB31_651:                             ; =>This Inner Loop Header: Depth=1
	s_delay_alu instid0(VALU_DEP_2)
	v_add_nc_u64_e32 v[34:35], 1, v[34:35]
	ds_load_b32 v40, v38
	v_add_nc_u32_e32 v38, 4, v38
	v_cmp_eq_u32_e32 vcc_lo, 1, v34
	v_cndmask_b32_e32 v39, v2, v3, vcc_lo
	v_cmp_eq_u32_e32 vcc_lo, 2, v34
	s_delay_alu instid0(VALU_DEP_2) | instskip(SKIP_1) | instid1(VALU_DEP_2)
	v_cndmask_b32_e32 v39, v39, v4, vcc_lo
	v_cmp_eq_u32_e32 vcc_lo, 3, v34
	v_cndmask_b32_e32 v39, v39, v5, vcc_lo
	v_cmp_eq_u32_e32 vcc_lo, 4, v34
	s_delay_alu instid0(VALU_DEP_2) | instskip(SKIP_1) | instid1(VALU_DEP_2)
	v_cndmask_b32_e32 v39, v39, v6, vcc_lo
	;; [unrolled: 5-line block ×15, first 2 shown]
	v_cmp_eq_u32_e32 vcc_lo, 31, v34
	v_cndmask_b32_e32 v39, v39, v33, vcc_lo
	v_cmp_lt_u32_e32 vcc_lo, 15, v34
	s_wait_dscnt 0x0
	s_delay_alu instid0(VALU_DEP_2) | instskip(SKIP_1) | instid1(SALU_CYCLE_1)
	v_fmac_f32_e32 v37, v39, v40
	s_or_b32 s2, vcc_lo, s2
	s_and_not1_b32 exec_lo, exec_lo, s2
	s_cbranch_execnz .LBB31_651
; %bb.652:
	s_or_b32 exec_lo, exec_lo, s2
.LBB31_653:
	s_delay_alu instid0(SALU_CYCLE_1)
	s_or_b32 exec_lo, exec_lo, s1
	v_mov_b32_e32 v19, 0
	ds_load_b32 v19, v19 offset:68
	s_wait_dscnt 0x0
	v_mul_f32_e32 v19, v37, v19
.LBB31_654:
	s_or_b32 exec_lo, exec_lo, s0
	s_delay_alu instid0(SALU_CYCLE_1)
	s_mov_b32 s0, exec_lo
	ds_store_b32 v133, v20
	s_wait_dscnt 0x0
	s_barrier_signal -1
	s_barrier_wait -1
	v_cmpx_gt_u32_e32 18, v0
	s_cbranch_execz .LBB31_664
; %bb.655:
	v_cmp_ne_u32_e32 vcc_lo, 1, v36
	s_cbranch_vccnz .LBB31_657
; %bb.656:
	v_cmp_eq_u32_e32 vcc_lo, 1, v0
	ds_load_b32 v35, v133
	v_cndmask_b32_e32 v34, v2, v3, vcc_lo
	v_cmp_eq_u32_e32 vcc_lo, 2, v0
	s_delay_alu instid0(VALU_DEP_2) | instskip(SKIP_1) | instid1(VALU_DEP_2)
	v_cndmask_b32_e32 v34, v34, v4, vcc_lo
	v_cmp_eq_u32_e32 vcc_lo, 3, v0
	v_cndmask_b32_e32 v34, v34, v5, vcc_lo
	v_cmp_eq_u32_e32 vcc_lo, 4, v0
	s_delay_alu instid0(VALU_DEP_2) | instskip(SKIP_1) | instid1(VALU_DEP_2)
	v_cndmask_b32_e32 v34, v34, v6, vcc_lo
	v_cmp_eq_u32_e32 vcc_lo, 5, v0
	;; [unrolled: 5-line block ×15, first 2 shown]
	v_cndmask_b32_e32 v34, v34, v33, vcc_lo
	s_wait_dscnt 0x0
	s_delay_alu instid0(VALU_DEP_1)
	v_mul_f32_e32 v37, v34, v35
	s_cbranch_execz .LBB31_658
	s_branch .LBB31_659
.LBB31_657:
                                        ; implicit-def: $vgpr37
.LBB31_658:
	ds_load_b32 v37, v133
.LBB31_659:
	s_mov_b32 s1, exec_lo
	v_cmpx_ne_u32_e32 17, v0
	s_cbranch_execz .LBB31_663
; %bb.660:
	v_mov_b64_e32 v[34:35], v[0:1]
	v_lshl_add_u32 v38, v0, 2, 0x84
	s_mov_b32 s2, 0
.LBB31_661:                             ; =>This Inner Loop Header: Depth=1
	s_delay_alu instid0(VALU_DEP_2)
	v_add_nc_u64_e32 v[34:35], 1, v[34:35]
	ds_load_b32 v40, v38
	v_add_nc_u32_e32 v38, 4, v38
	v_cmp_eq_u32_e32 vcc_lo, 1, v34
	v_cndmask_b32_e32 v39, v2, v3, vcc_lo
	v_cmp_eq_u32_e32 vcc_lo, 2, v34
	s_delay_alu instid0(VALU_DEP_2) | instskip(SKIP_1) | instid1(VALU_DEP_2)
	v_cndmask_b32_e32 v39, v39, v4, vcc_lo
	v_cmp_eq_u32_e32 vcc_lo, 3, v34
	v_cndmask_b32_e32 v39, v39, v5, vcc_lo
	v_cmp_eq_u32_e32 vcc_lo, 4, v34
	s_delay_alu instid0(VALU_DEP_2) | instskip(SKIP_1) | instid1(VALU_DEP_2)
	v_cndmask_b32_e32 v39, v39, v6, vcc_lo
	;; [unrolled: 5-line block ×15, first 2 shown]
	v_cmp_eq_u32_e32 vcc_lo, 31, v34
	v_cndmask_b32_e32 v39, v39, v33, vcc_lo
	v_cmp_lt_u32_e32 vcc_lo, 16, v34
	s_wait_dscnt 0x0
	s_delay_alu instid0(VALU_DEP_2) | instskip(SKIP_1) | instid1(SALU_CYCLE_1)
	v_fmac_f32_e32 v37, v39, v40
	s_or_b32 s2, vcc_lo, s2
	s_and_not1_b32 exec_lo, exec_lo, s2
	s_cbranch_execnz .LBB31_661
; %bb.662:
	s_or_b32 exec_lo, exec_lo, s2
.LBB31_663:
	s_delay_alu instid0(SALU_CYCLE_1)
	s_or_b32 exec_lo, exec_lo, s1
	v_mov_b32_e32 v20, 0
	ds_load_b32 v20, v20 offset:72
	s_wait_dscnt 0x0
	v_mul_f32_e32 v20, v37, v20
.LBB31_664:
	s_or_b32 exec_lo, exec_lo, s0
	s_delay_alu instid0(SALU_CYCLE_1)
	s_mov_b32 s0, exec_lo
	ds_store_b32 v133, v21
	s_wait_dscnt 0x0
	s_barrier_signal -1
	s_barrier_wait -1
	v_cmpx_gt_u32_e32 19, v0
	s_cbranch_execz .LBB31_674
; %bb.665:
	v_cmp_ne_u32_e32 vcc_lo, 1, v36
	s_cbranch_vccnz .LBB31_667
; %bb.666:
	v_cmp_eq_u32_e32 vcc_lo, 1, v0
	ds_load_b32 v35, v133
	v_cndmask_b32_e32 v34, v2, v3, vcc_lo
	v_cmp_eq_u32_e32 vcc_lo, 2, v0
	s_delay_alu instid0(VALU_DEP_2) | instskip(SKIP_1) | instid1(VALU_DEP_2)
	v_cndmask_b32_e32 v34, v34, v4, vcc_lo
	v_cmp_eq_u32_e32 vcc_lo, 3, v0
	v_cndmask_b32_e32 v34, v34, v5, vcc_lo
	v_cmp_eq_u32_e32 vcc_lo, 4, v0
	s_delay_alu instid0(VALU_DEP_2) | instskip(SKIP_1) | instid1(VALU_DEP_2)
	v_cndmask_b32_e32 v34, v34, v6, vcc_lo
	v_cmp_eq_u32_e32 vcc_lo, 5, v0
	v_cndmask_b32_e32 v34, v34, v7, vcc_lo
	v_cmp_eq_u32_e32 vcc_lo, 6, v0
	s_delay_alu instid0(VALU_DEP_2) | instskip(SKIP_1) | instid1(VALU_DEP_2)
	v_cndmask_b32_e32 v34, v34, v8, vcc_lo
	v_cmp_eq_u32_e32 vcc_lo, 7, v0
	v_cndmask_b32_e32 v34, v34, v9, vcc_lo
	v_cmp_eq_u32_e32 vcc_lo, 8, v0
	s_delay_alu instid0(VALU_DEP_2) | instskip(SKIP_1) | instid1(VALU_DEP_2)
	v_cndmask_b32_e32 v34, v34, v10, vcc_lo
	v_cmp_eq_u32_e32 vcc_lo, 9, v0
	v_cndmask_b32_e32 v34, v34, v11, vcc_lo
	v_cmp_eq_u32_e32 vcc_lo, 10, v0
	s_delay_alu instid0(VALU_DEP_2) | instskip(SKIP_1) | instid1(VALU_DEP_2)
	v_cndmask_b32_e32 v34, v34, v12, vcc_lo
	v_cmp_eq_u32_e32 vcc_lo, 11, v0
	v_cndmask_b32_e32 v34, v34, v13, vcc_lo
	v_cmp_eq_u32_e32 vcc_lo, 12, v0
	s_delay_alu instid0(VALU_DEP_2) | instskip(SKIP_1) | instid1(VALU_DEP_2)
	v_cndmask_b32_e32 v34, v34, v14, vcc_lo
	v_cmp_eq_u32_e32 vcc_lo, 13, v0
	v_cndmask_b32_e32 v34, v34, v15, vcc_lo
	v_cmp_eq_u32_e32 vcc_lo, 14, v0
	s_delay_alu instid0(VALU_DEP_2) | instskip(SKIP_1) | instid1(VALU_DEP_2)
	v_cndmask_b32_e32 v34, v34, v16, vcc_lo
	v_cmp_eq_u32_e32 vcc_lo, 15, v0
	v_cndmask_b32_e32 v34, v34, v17, vcc_lo
	v_cmp_eq_u32_e32 vcc_lo, 16, v0
	s_delay_alu instid0(VALU_DEP_2) | instskip(SKIP_1) | instid1(VALU_DEP_2)
	v_cndmask_b32_e32 v34, v34, v18, vcc_lo
	v_cmp_eq_u32_e32 vcc_lo, 17, v0
	v_cndmask_b32_e32 v34, v34, v19, vcc_lo
	v_cmp_eq_u32_e32 vcc_lo, 18, v0
	s_delay_alu instid0(VALU_DEP_2) | instskip(SKIP_1) | instid1(VALU_DEP_2)
	v_cndmask_b32_e32 v34, v34, v20, vcc_lo
	v_cmp_eq_u32_e32 vcc_lo, 19, v0
	v_cndmask_b32_e32 v34, v34, v21, vcc_lo
	v_cmp_eq_u32_e32 vcc_lo, 20, v0
	s_delay_alu instid0(VALU_DEP_2) | instskip(SKIP_1) | instid1(VALU_DEP_2)
	v_cndmask_b32_e32 v34, v34, v22, vcc_lo
	v_cmp_eq_u32_e32 vcc_lo, 21, v0
	v_cndmask_b32_e32 v34, v34, v23, vcc_lo
	v_cmp_eq_u32_e32 vcc_lo, 22, v0
	s_delay_alu instid0(VALU_DEP_2) | instskip(SKIP_1) | instid1(VALU_DEP_2)
	v_cndmask_b32_e32 v34, v34, v24, vcc_lo
	v_cmp_eq_u32_e32 vcc_lo, 23, v0
	v_cndmask_b32_e32 v34, v34, v25, vcc_lo
	v_cmp_eq_u32_e32 vcc_lo, 24, v0
	s_delay_alu instid0(VALU_DEP_2) | instskip(SKIP_1) | instid1(VALU_DEP_2)
	v_cndmask_b32_e32 v34, v34, v26, vcc_lo
	v_cmp_eq_u32_e32 vcc_lo, 25, v0
	v_cndmask_b32_e32 v34, v34, v27, vcc_lo
	v_cmp_eq_u32_e32 vcc_lo, 26, v0
	s_delay_alu instid0(VALU_DEP_2) | instskip(SKIP_1) | instid1(VALU_DEP_2)
	v_cndmask_b32_e32 v34, v34, v28, vcc_lo
	v_cmp_eq_u32_e32 vcc_lo, 27, v0
	v_cndmask_b32_e32 v34, v34, v29, vcc_lo
	v_cmp_eq_u32_e32 vcc_lo, 28, v0
	s_delay_alu instid0(VALU_DEP_2) | instskip(SKIP_1) | instid1(VALU_DEP_2)
	v_cndmask_b32_e32 v34, v34, v30, vcc_lo
	v_cmp_eq_u32_e32 vcc_lo, 29, v0
	v_cndmask_b32_e32 v34, v34, v31, vcc_lo
	v_cmp_eq_u32_e32 vcc_lo, 30, v0
	s_delay_alu instid0(VALU_DEP_2) | instskip(SKIP_1) | instid1(VALU_DEP_2)
	v_cndmask_b32_e32 v34, v34, v32, vcc_lo
	v_cmp_eq_u32_e32 vcc_lo, 31, v0
	v_cndmask_b32_e32 v34, v34, v33, vcc_lo
	s_wait_dscnt 0x0
	s_delay_alu instid0(VALU_DEP_1)
	v_mul_f32_e32 v37, v34, v35
	s_cbranch_execz .LBB31_668
	s_branch .LBB31_669
.LBB31_667:
                                        ; implicit-def: $vgpr37
.LBB31_668:
	ds_load_b32 v37, v133
.LBB31_669:
	s_mov_b32 s1, exec_lo
	v_cmpx_ne_u32_e32 18, v0
	s_cbranch_execz .LBB31_673
; %bb.670:
	v_mov_b64_e32 v[34:35], v[0:1]
	v_lshl_add_u32 v38, v0, 2, 0x84
	s_mov_b32 s2, 0
.LBB31_671:                             ; =>This Inner Loop Header: Depth=1
	s_delay_alu instid0(VALU_DEP_2)
	v_add_nc_u64_e32 v[34:35], 1, v[34:35]
	ds_load_b32 v40, v38
	v_add_nc_u32_e32 v38, 4, v38
	v_cmp_eq_u32_e32 vcc_lo, 1, v34
	v_cndmask_b32_e32 v39, v2, v3, vcc_lo
	v_cmp_eq_u32_e32 vcc_lo, 2, v34
	s_delay_alu instid0(VALU_DEP_2) | instskip(SKIP_1) | instid1(VALU_DEP_2)
	v_cndmask_b32_e32 v39, v39, v4, vcc_lo
	v_cmp_eq_u32_e32 vcc_lo, 3, v34
	v_cndmask_b32_e32 v39, v39, v5, vcc_lo
	v_cmp_eq_u32_e32 vcc_lo, 4, v34
	s_delay_alu instid0(VALU_DEP_2) | instskip(SKIP_1) | instid1(VALU_DEP_2)
	v_cndmask_b32_e32 v39, v39, v6, vcc_lo
	;; [unrolled: 5-line block ×15, first 2 shown]
	v_cmp_eq_u32_e32 vcc_lo, 31, v34
	v_cndmask_b32_e32 v39, v39, v33, vcc_lo
	v_cmp_lt_u32_e32 vcc_lo, 17, v34
	s_wait_dscnt 0x0
	s_delay_alu instid0(VALU_DEP_2) | instskip(SKIP_1) | instid1(SALU_CYCLE_1)
	v_fmac_f32_e32 v37, v39, v40
	s_or_b32 s2, vcc_lo, s2
	s_and_not1_b32 exec_lo, exec_lo, s2
	s_cbranch_execnz .LBB31_671
; %bb.672:
	s_or_b32 exec_lo, exec_lo, s2
.LBB31_673:
	s_delay_alu instid0(SALU_CYCLE_1)
	s_or_b32 exec_lo, exec_lo, s1
	v_mov_b32_e32 v21, 0
	ds_load_b32 v21, v21 offset:76
	s_wait_dscnt 0x0
	v_mul_f32_e32 v21, v37, v21
.LBB31_674:
	s_or_b32 exec_lo, exec_lo, s0
	s_delay_alu instid0(SALU_CYCLE_1)
	s_mov_b32 s0, exec_lo
	ds_store_b32 v133, v22
	s_wait_dscnt 0x0
	s_barrier_signal -1
	s_barrier_wait -1
	v_cmpx_gt_u32_e32 20, v0
	s_cbranch_execz .LBB31_684
; %bb.675:
	v_cmp_ne_u32_e32 vcc_lo, 1, v36
	s_cbranch_vccnz .LBB31_677
; %bb.676:
	v_cmp_eq_u32_e32 vcc_lo, 1, v0
	ds_load_b32 v35, v133
	v_cndmask_b32_e32 v34, v2, v3, vcc_lo
	v_cmp_eq_u32_e32 vcc_lo, 2, v0
	s_delay_alu instid0(VALU_DEP_2) | instskip(SKIP_1) | instid1(VALU_DEP_2)
	v_cndmask_b32_e32 v34, v34, v4, vcc_lo
	v_cmp_eq_u32_e32 vcc_lo, 3, v0
	v_cndmask_b32_e32 v34, v34, v5, vcc_lo
	v_cmp_eq_u32_e32 vcc_lo, 4, v0
	s_delay_alu instid0(VALU_DEP_2) | instskip(SKIP_1) | instid1(VALU_DEP_2)
	v_cndmask_b32_e32 v34, v34, v6, vcc_lo
	v_cmp_eq_u32_e32 vcc_lo, 5, v0
	;; [unrolled: 5-line block ×15, first 2 shown]
	v_cndmask_b32_e32 v34, v34, v33, vcc_lo
	s_wait_dscnt 0x0
	s_delay_alu instid0(VALU_DEP_1)
	v_mul_f32_e32 v37, v34, v35
	s_cbranch_execz .LBB31_678
	s_branch .LBB31_679
.LBB31_677:
                                        ; implicit-def: $vgpr37
.LBB31_678:
	ds_load_b32 v37, v133
.LBB31_679:
	s_mov_b32 s1, exec_lo
	v_cmpx_ne_u32_e32 19, v0
	s_cbranch_execz .LBB31_683
; %bb.680:
	v_mov_b64_e32 v[34:35], v[0:1]
	v_lshl_add_u32 v38, v0, 2, 0x84
	s_mov_b32 s2, 0
.LBB31_681:                             ; =>This Inner Loop Header: Depth=1
	s_delay_alu instid0(VALU_DEP_2)
	v_add_nc_u64_e32 v[34:35], 1, v[34:35]
	ds_load_b32 v40, v38
	v_add_nc_u32_e32 v38, 4, v38
	v_cmp_eq_u32_e32 vcc_lo, 1, v34
	v_cndmask_b32_e32 v39, v2, v3, vcc_lo
	v_cmp_eq_u32_e32 vcc_lo, 2, v34
	s_delay_alu instid0(VALU_DEP_2) | instskip(SKIP_1) | instid1(VALU_DEP_2)
	v_cndmask_b32_e32 v39, v39, v4, vcc_lo
	v_cmp_eq_u32_e32 vcc_lo, 3, v34
	v_cndmask_b32_e32 v39, v39, v5, vcc_lo
	v_cmp_eq_u32_e32 vcc_lo, 4, v34
	s_delay_alu instid0(VALU_DEP_2) | instskip(SKIP_1) | instid1(VALU_DEP_2)
	v_cndmask_b32_e32 v39, v39, v6, vcc_lo
	;; [unrolled: 5-line block ×15, first 2 shown]
	v_cmp_eq_u32_e32 vcc_lo, 31, v34
	v_cndmask_b32_e32 v39, v39, v33, vcc_lo
	v_cmp_lt_u32_e32 vcc_lo, 18, v34
	s_wait_dscnt 0x0
	s_delay_alu instid0(VALU_DEP_2) | instskip(SKIP_1) | instid1(SALU_CYCLE_1)
	v_fmac_f32_e32 v37, v39, v40
	s_or_b32 s2, vcc_lo, s2
	s_and_not1_b32 exec_lo, exec_lo, s2
	s_cbranch_execnz .LBB31_681
; %bb.682:
	s_or_b32 exec_lo, exec_lo, s2
.LBB31_683:
	s_delay_alu instid0(SALU_CYCLE_1)
	s_or_b32 exec_lo, exec_lo, s1
	v_mov_b32_e32 v22, 0
	ds_load_b32 v22, v22 offset:80
	s_wait_dscnt 0x0
	v_mul_f32_e32 v22, v37, v22
.LBB31_684:
	s_or_b32 exec_lo, exec_lo, s0
	s_delay_alu instid0(SALU_CYCLE_1)
	s_mov_b32 s0, exec_lo
	ds_store_b32 v133, v23
	s_wait_dscnt 0x0
	s_barrier_signal -1
	s_barrier_wait -1
	v_cmpx_gt_u32_e32 21, v0
	s_cbranch_execz .LBB31_694
; %bb.685:
	v_cmp_ne_u32_e32 vcc_lo, 1, v36
	s_cbranch_vccnz .LBB31_687
; %bb.686:
	v_cmp_eq_u32_e32 vcc_lo, 1, v0
	ds_load_b32 v35, v133
	v_cndmask_b32_e32 v34, v2, v3, vcc_lo
	v_cmp_eq_u32_e32 vcc_lo, 2, v0
	s_delay_alu instid0(VALU_DEP_2) | instskip(SKIP_1) | instid1(VALU_DEP_2)
	v_cndmask_b32_e32 v34, v34, v4, vcc_lo
	v_cmp_eq_u32_e32 vcc_lo, 3, v0
	v_cndmask_b32_e32 v34, v34, v5, vcc_lo
	v_cmp_eq_u32_e32 vcc_lo, 4, v0
	s_delay_alu instid0(VALU_DEP_2) | instskip(SKIP_1) | instid1(VALU_DEP_2)
	v_cndmask_b32_e32 v34, v34, v6, vcc_lo
	v_cmp_eq_u32_e32 vcc_lo, 5, v0
	;; [unrolled: 5-line block ×15, first 2 shown]
	v_cndmask_b32_e32 v34, v34, v33, vcc_lo
	s_wait_dscnt 0x0
	s_delay_alu instid0(VALU_DEP_1)
	v_mul_f32_e32 v37, v34, v35
	s_cbranch_execz .LBB31_688
	s_branch .LBB31_689
.LBB31_687:
                                        ; implicit-def: $vgpr37
.LBB31_688:
	ds_load_b32 v37, v133
.LBB31_689:
	s_mov_b32 s1, exec_lo
	v_cmpx_ne_u32_e32 20, v0
	s_cbranch_execz .LBB31_693
; %bb.690:
	v_mov_b64_e32 v[34:35], v[0:1]
	v_lshl_add_u32 v38, v0, 2, 0x84
	s_mov_b32 s2, 0
.LBB31_691:                             ; =>This Inner Loop Header: Depth=1
	s_delay_alu instid0(VALU_DEP_2)
	v_add_nc_u64_e32 v[34:35], 1, v[34:35]
	ds_load_b32 v40, v38
	v_add_nc_u32_e32 v38, 4, v38
	v_cmp_eq_u32_e32 vcc_lo, 1, v34
	v_cndmask_b32_e32 v39, v2, v3, vcc_lo
	v_cmp_eq_u32_e32 vcc_lo, 2, v34
	s_delay_alu instid0(VALU_DEP_2) | instskip(SKIP_1) | instid1(VALU_DEP_2)
	v_cndmask_b32_e32 v39, v39, v4, vcc_lo
	v_cmp_eq_u32_e32 vcc_lo, 3, v34
	v_cndmask_b32_e32 v39, v39, v5, vcc_lo
	v_cmp_eq_u32_e32 vcc_lo, 4, v34
	s_delay_alu instid0(VALU_DEP_2) | instskip(SKIP_1) | instid1(VALU_DEP_2)
	v_cndmask_b32_e32 v39, v39, v6, vcc_lo
	;; [unrolled: 5-line block ×15, first 2 shown]
	v_cmp_eq_u32_e32 vcc_lo, 31, v34
	v_cndmask_b32_e32 v39, v39, v33, vcc_lo
	v_cmp_lt_u32_e32 vcc_lo, 19, v34
	s_wait_dscnt 0x0
	s_delay_alu instid0(VALU_DEP_2) | instskip(SKIP_1) | instid1(SALU_CYCLE_1)
	v_fmac_f32_e32 v37, v39, v40
	s_or_b32 s2, vcc_lo, s2
	s_and_not1_b32 exec_lo, exec_lo, s2
	s_cbranch_execnz .LBB31_691
; %bb.692:
	s_or_b32 exec_lo, exec_lo, s2
.LBB31_693:
	s_delay_alu instid0(SALU_CYCLE_1)
	s_or_b32 exec_lo, exec_lo, s1
	v_mov_b32_e32 v23, 0
	ds_load_b32 v23, v23 offset:84
	s_wait_dscnt 0x0
	v_mul_f32_e32 v23, v37, v23
.LBB31_694:
	s_or_b32 exec_lo, exec_lo, s0
	s_delay_alu instid0(SALU_CYCLE_1)
	s_mov_b32 s0, exec_lo
	ds_store_b32 v133, v24
	s_wait_dscnt 0x0
	s_barrier_signal -1
	s_barrier_wait -1
	v_cmpx_gt_u32_e32 22, v0
	s_cbranch_execz .LBB31_704
; %bb.695:
	v_cmp_ne_u32_e32 vcc_lo, 1, v36
	s_cbranch_vccnz .LBB31_697
; %bb.696:
	v_cmp_eq_u32_e32 vcc_lo, 1, v0
	ds_load_b32 v35, v133
	v_cndmask_b32_e32 v34, v2, v3, vcc_lo
	v_cmp_eq_u32_e32 vcc_lo, 2, v0
	s_delay_alu instid0(VALU_DEP_2) | instskip(SKIP_1) | instid1(VALU_DEP_2)
	v_cndmask_b32_e32 v34, v34, v4, vcc_lo
	v_cmp_eq_u32_e32 vcc_lo, 3, v0
	v_cndmask_b32_e32 v34, v34, v5, vcc_lo
	v_cmp_eq_u32_e32 vcc_lo, 4, v0
	s_delay_alu instid0(VALU_DEP_2) | instskip(SKIP_1) | instid1(VALU_DEP_2)
	v_cndmask_b32_e32 v34, v34, v6, vcc_lo
	v_cmp_eq_u32_e32 vcc_lo, 5, v0
	;; [unrolled: 5-line block ×15, first 2 shown]
	v_cndmask_b32_e32 v34, v34, v33, vcc_lo
	s_wait_dscnt 0x0
	s_delay_alu instid0(VALU_DEP_1)
	v_mul_f32_e32 v37, v34, v35
	s_cbranch_execz .LBB31_698
	s_branch .LBB31_699
.LBB31_697:
                                        ; implicit-def: $vgpr37
.LBB31_698:
	ds_load_b32 v37, v133
.LBB31_699:
	s_mov_b32 s1, exec_lo
	v_cmpx_ne_u32_e32 21, v0
	s_cbranch_execz .LBB31_703
; %bb.700:
	v_mov_b64_e32 v[34:35], v[0:1]
	v_lshl_add_u32 v38, v0, 2, 0x84
	s_mov_b32 s2, 0
.LBB31_701:                             ; =>This Inner Loop Header: Depth=1
	s_delay_alu instid0(VALU_DEP_2)
	v_add_nc_u64_e32 v[34:35], 1, v[34:35]
	ds_load_b32 v40, v38
	v_add_nc_u32_e32 v38, 4, v38
	v_cmp_eq_u32_e32 vcc_lo, 1, v34
	v_cndmask_b32_e32 v39, v2, v3, vcc_lo
	v_cmp_eq_u32_e32 vcc_lo, 2, v34
	s_delay_alu instid0(VALU_DEP_2) | instskip(SKIP_1) | instid1(VALU_DEP_2)
	v_cndmask_b32_e32 v39, v39, v4, vcc_lo
	v_cmp_eq_u32_e32 vcc_lo, 3, v34
	v_cndmask_b32_e32 v39, v39, v5, vcc_lo
	v_cmp_eq_u32_e32 vcc_lo, 4, v34
	s_delay_alu instid0(VALU_DEP_2) | instskip(SKIP_1) | instid1(VALU_DEP_2)
	v_cndmask_b32_e32 v39, v39, v6, vcc_lo
	v_cmp_eq_u32_e32 vcc_lo, 5, v34
	v_cndmask_b32_e32 v39, v39, v7, vcc_lo
	v_cmp_eq_u32_e32 vcc_lo, 6, v34
	s_delay_alu instid0(VALU_DEP_2) | instskip(SKIP_1) | instid1(VALU_DEP_2)
	v_cndmask_b32_e32 v39, v39, v8, vcc_lo
	v_cmp_eq_u32_e32 vcc_lo, 7, v34
	v_cndmask_b32_e32 v39, v39, v9, vcc_lo
	v_cmp_eq_u32_e32 vcc_lo, 8, v34
	s_delay_alu instid0(VALU_DEP_2) | instskip(SKIP_1) | instid1(VALU_DEP_2)
	v_cndmask_b32_e32 v39, v39, v10, vcc_lo
	v_cmp_eq_u32_e32 vcc_lo, 9, v34
	v_cndmask_b32_e32 v39, v39, v11, vcc_lo
	v_cmp_eq_u32_e32 vcc_lo, 10, v34
	s_delay_alu instid0(VALU_DEP_2) | instskip(SKIP_1) | instid1(VALU_DEP_2)
	v_cndmask_b32_e32 v39, v39, v12, vcc_lo
	v_cmp_eq_u32_e32 vcc_lo, 11, v34
	v_cndmask_b32_e32 v39, v39, v13, vcc_lo
	v_cmp_eq_u32_e32 vcc_lo, 12, v34
	s_delay_alu instid0(VALU_DEP_2) | instskip(SKIP_1) | instid1(VALU_DEP_2)
	v_cndmask_b32_e32 v39, v39, v14, vcc_lo
	v_cmp_eq_u32_e32 vcc_lo, 13, v34
	v_cndmask_b32_e32 v39, v39, v15, vcc_lo
	v_cmp_eq_u32_e32 vcc_lo, 14, v34
	s_delay_alu instid0(VALU_DEP_2) | instskip(SKIP_1) | instid1(VALU_DEP_2)
	v_cndmask_b32_e32 v39, v39, v16, vcc_lo
	v_cmp_eq_u32_e32 vcc_lo, 15, v34
	v_cndmask_b32_e32 v39, v39, v17, vcc_lo
	v_cmp_eq_u32_e32 vcc_lo, 16, v34
	s_delay_alu instid0(VALU_DEP_2) | instskip(SKIP_1) | instid1(VALU_DEP_2)
	v_cndmask_b32_e32 v39, v39, v18, vcc_lo
	v_cmp_eq_u32_e32 vcc_lo, 17, v34
	v_cndmask_b32_e32 v39, v39, v19, vcc_lo
	v_cmp_eq_u32_e32 vcc_lo, 18, v34
	s_delay_alu instid0(VALU_DEP_2) | instskip(SKIP_1) | instid1(VALU_DEP_2)
	v_cndmask_b32_e32 v39, v39, v20, vcc_lo
	v_cmp_eq_u32_e32 vcc_lo, 19, v34
	v_cndmask_b32_e32 v39, v39, v21, vcc_lo
	v_cmp_eq_u32_e32 vcc_lo, 20, v34
	s_delay_alu instid0(VALU_DEP_2) | instskip(SKIP_1) | instid1(VALU_DEP_2)
	v_cndmask_b32_e32 v39, v39, v22, vcc_lo
	v_cmp_eq_u32_e32 vcc_lo, 21, v34
	v_cndmask_b32_e32 v39, v39, v23, vcc_lo
	v_cmp_eq_u32_e32 vcc_lo, 22, v34
	s_delay_alu instid0(VALU_DEP_2) | instskip(SKIP_1) | instid1(VALU_DEP_2)
	v_cndmask_b32_e32 v39, v39, v24, vcc_lo
	v_cmp_eq_u32_e32 vcc_lo, 23, v34
	v_cndmask_b32_e32 v39, v39, v25, vcc_lo
	v_cmp_eq_u32_e32 vcc_lo, 24, v34
	s_delay_alu instid0(VALU_DEP_2) | instskip(SKIP_1) | instid1(VALU_DEP_2)
	v_cndmask_b32_e32 v39, v39, v26, vcc_lo
	v_cmp_eq_u32_e32 vcc_lo, 25, v34
	v_cndmask_b32_e32 v39, v39, v27, vcc_lo
	v_cmp_eq_u32_e32 vcc_lo, 26, v34
	s_delay_alu instid0(VALU_DEP_2) | instskip(SKIP_1) | instid1(VALU_DEP_2)
	v_cndmask_b32_e32 v39, v39, v28, vcc_lo
	v_cmp_eq_u32_e32 vcc_lo, 27, v34
	v_cndmask_b32_e32 v39, v39, v29, vcc_lo
	v_cmp_eq_u32_e32 vcc_lo, 28, v34
	s_delay_alu instid0(VALU_DEP_2) | instskip(SKIP_1) | instid1(VALU_DEP_2)
	v_cndmask_b32_e32 v39, v39, v30, vcc_lo
	v_cmp_eq_u32_e32 vcc_lo, 29, v34
	v_cndmask_b32_e32 v39, v39, v31, vcc_lo
	v_cmp_eq_u32_e32 vcc_lo, 30, v34
	s_delay_alu instid0(VALU_DEP_2) | instskip(SKIP_1) | instid1(VALU_DEP_2)
	v_cndmask_b32_e32 v39, v39, v32, vcc_lo
	v_cmp_eq_u32_e32 vcc_lo, 31, v34
	v_cndmask_b32_e32 v39, v39, v33, vcc_lo
	v_cmp_lt_u32_e32 vcc_lo, 20, v34
	s_wait_dscnt 0x0
	s_delay_alu instid0(VALU_DEP_2) | instskip(SKIP_1) | instid1(SALU_CYCLE_1)
	v_fmac_f32_e32 v37, v39, v40
	s_or_b32 s2, vcc_lo, s2
	s_and_not1_b32 exec_lo, exec_lo, s2
	s_cbranch_execnz .LBB31_701
; %bb.702:
	s_or_b32 exec_lo, exec_lo, s2
.LBB31_703:
	s_delay_alu instid0(SALU_CYCLE_1)
	s_or_b32 exec_lo, exec_lo, s1
	v_mov_b32_e32 v24, 0
	ds_load_b32 v24, v24 offset:88
	s_wait_dscnt 0x0
	v_mul_f32_e32 v24, v37, v24
.LBB31_704:
	s_or_b32 exec_lo, exec_lo, s0
	s_delay_alu instid0(SALU_CYCLE_1)
	s_mov_b32 s0, exec_lo
	ds_store_b32 v133, v25
	s_wait_dscnt 0x0
	s_barrier_signal -1
	s_barrier_wait -1
	v_cmpx_gt_u32_e32 23, v0
	s_cbranch_execz .LBB31_714
; %bb.705:
	v_cmp_ne_u32_e32 vcc_lo, 1, v36
	s_cbranch_vccnz .LBB31_707
; %bb.706:
	v_cmp_eq_u32_e32 vcc_lo, 1, v0
	ds_load_b32 v35, v133
	v_cndmask_b32_e32 v34, v2, v3, vcc_lo
	v_cmp_eq_u32_e32 vcc_lo, 2, v0
	s_delay_alu instid0(VALU_DEP_2) | instskip(SKIP_1) | instid1(VALU_DEP_2)
	v_cndmask_b32_e32 v34, v34, v4, vcc_lo
	v_cmp_eq_u32_e32 vcc_lo, 3, v0
	v_cndmask_b32_e32 v34, v34, v5, vcc_lo
	v_cmp_eq_u32_e32 vcc_lo, 4, v0
	s_delay_alu instid0(VALU_DEP_2) | instskip(SKIP_1) | instid1(VALU_DEP_2)
	v_cndmask_b32_e32 v34, v34, v6, vcc_lo
	v_cmp_eq_u32_e32 vcc_lo, 5, v0
	v_cndmask_b32_e32 v34, v34, v7, vcc_lo
	v_cmp_eq_u32_e32 vcc_lo, 6, v0
	s_delay_alu instid0(VALU_DEP_2) | instskip(SKIP_1) | instid1(VALU_DEP_2)
	v_cndmask_b32_e32 v34, v34, v8, vcc_lo
	v_cmp_eq_u32_e32 vcc_lo, 7, v0
	v_cndmask_b32_e32 v34, v34, v9, vcc_lo
	v_cmp_eq_u32_e32 vcc_lo, 8, v0
	s_delay_alu instid0(VALU_DEP_2) | instskip(SKIP_1) | instid1(VALU_DEP_2)
	v_cndmask_b32_e32 v34, v34, v10, vcc_lo
	v_cmp_eq_u32_e32 vcc_lo, 9, v0
	v_cndmask_b32_e32 v34, v34, v11, vcc_lo
	v_cmp_eq_u32_e32 vcc_lo, 10, v0
	s_delay_alu instid0(VALU_DEP_2) | instskip(SKIP_1) | instid1(VALU_DEP_2)
	v_cndmask_b32_e32 v34, v34, v12, vcc_lo
	v_cmp_eq_u32_e32 vcc_lo, 11, v0
	v_cndmask_b32_e32 v34, v34, v13, vcc_lo
	v_cmp_eq_u32_e32 vcc_lo, 12, v0
	s_delay_alu instid0(VALU_DEP_2) | instskip(SKIP_1) | instid1(VALU_DEP_2)
	v_cndmask_b32_e32 v34, v34, v14, vcc_lo
	v_cmp_eq_u32_e32 vcc_lo, 13, v0
	v_cndmask_b32_e32 v34, v34, v15, vcc_lo
	v_cmp_eq_u32_e32 vcc_lo, 14, v0
	s_delay_alu instid0(VALU_DEP_2) | instskip(SKIP_1) | instid1(VALU_DEP_2)
	v_cndmask_b32_e32 v34, v34, v16, vcc_lo
	v_cmp_eq_u32_e32 vcc_lo, 15, v0
	v_cndmask_b32_e32 v34, v34, v17, vcc_lo
	v_cmp_eq_u32_e32 vcc_lo, 16, v0
	s_delay_alu instid0(VALU_DEP_2) | instskip(SKIP_1) | instid1(VALU_DEP_2)
	v_cndmask_b32_e32 v34, v34, v18, vcc_lo
	v_cmp_eq_u32_e32 vcc_lo, 17, v0
	v_cndmask_b32_e32 v34, v34, v19, vcc_lo
	v_cmp_eq_u32_e32 vcc_lo, 18, v0
	s_delay_alu instid0(VALU_DEP_2) | instskip(SKIP_1) | instid1(VALU_DEP_2)
	v_cndmask_b32_e32 v34, v34, v20, vcc_lo
	v_cmp_eq_u32_e32 vcc_lo, 19, v0
	v_cndmask_b32_e32 v34, v34, v21, vcc_lo
	v_cmp_eq_u32_e32 vcc_lo, 20, v0
	s_delay_alu instid0(VALU_DEP_2) | instskip(SKIP_1) | instid1(VALU_DEP_2)
	v_cndmask_b32_e32 v34, v34, v22, vcc_lo
	v_cmp_eq_u32_e32 vcc_lo, 21, v0
	v_cndmask_b32_e32 v34, v34, v23, vcc_lo
	v_cmp_eq_u32_e32 vcc_lo, 22, v0
	s_delay_alu instid0(VALU_DEP_2) | instskip(SKIP_1) | instid1(VALU_DEP_2)
	v_cndmask_b32_e32 v34, v34, v24, vcc_lo
	v_cmp_eq_u32_e32 vcc_lo, 23, v0
	v_cndmask_b32_e32 v34, v34, v25, vcc_lo
	v_cmp_eq_u32_e32 vcc_lo, 24, v0
	s_delay_alu instid0(VALU_DEP_2) | instskip(SKIP_1) | instid1(VALU_DEP_2)
	v_cndmask_b32_e32 v34, v34, v26, vcc_lo
	v_cmp_eq_u32_e32 vcc_lo, 25, v0
	v_cndmask_b32_e32 v34, v34, v27, vcc_lo
	v_cmp_eq_u32_e32 vcc_lo, 26, v0
	s_delay_alu instid0(VALU_DEP_2) | instskip(SKIP_1) | instid1(VALU_DEP_2)
	v_cndmask_b32_e32 v34, v34, v28, vcc_lo
	v_cmp_eq_u32_e32 vcc_lo, 27, v0
	v_cndmask_b32_e32 v34, v34, v29, vcc_lo
	v_cmp_eq_u32_e32 vcc_lo, 28, v0
	s_delay_alu instid0(VALU_DEP_2) | instskip(SKIP_1) | instid1(VALU_DEP_2)
	v_cndmask_b32_e32 v34, v34, v30, vcc_lo
	v_cmp_eq_u32_e32 vcc_lo, 29, v0
	v_cndmask_b32_e32 v34, v34, v31, vcc_lo
	v_cmp_eq_u32_e32 vcc_lo, 30, v0
	s_delay_alu instid0(VALU_DEP_2) | instskip(SKIP_1) | instid1(VALU_DEP_2)
	v_cndmask_b32_e32 v34, v34, v32, vcc_lo
	v_cmp_eq_u32_e32 vcc_lo, 31, v0
	v_cndmask_b32_e32 v34, v34, v33, vcc_lo
	s_wait_dscnt 0x0
	s_delay_alu instid0(VALU_DEP_1)
	v_mul_f32_e32 v37, v34, v35
	s_cbranch_execz .LBB31_708
	s_branch .LBB31_709
.LBB31_707:
                                        ; implicit-def: $vgpr37
.LBB31_708:
	ds_load_b32 v37, v133
.LBB31_709:
	s_mov_b32 s1, exec_lo
	v_cmpx_ne_u32_e32 22, v0
	s_cbranch_execz .LBB31_713
; %bb.710:
	v_mov_b64_e32 v[34:35], v[0:1]
	v_lshl_add_u32 v38, v0, 2, 0x84
	s_mov_b32 s2, 0
.LBB31_711:                             ; =>This Inner Loop Header: Depth=1
	s_delay_alu instid0(VALU_DEP_2)
	v_add_nc_u64_e32 v[34:35], 1, v[34:35]
	ds_load_b32 v40, v38
	v_add_nc_u32_e32 v38, 4, v38
	v_cmp_eq_u32_e32 vcc_lo, 1, v34
	v_cndmask_b32_e32 v39, v2, v3, vcc_lo
	v_cmp_eq_u32_e32 vcc_lo, 2, v34
	s_delay_alu instid0(VALU_DEP_2) | instskip(SKIP_1) | instid1(VALU_DEP_2)
	v_cndmask_b32_e32 v39, v39, v4, vcc_lo
	v_cmp_eq_u32_e32 vcc_lo, 3, v34
	v_cndmask_b32_e32 v39, v39, v5, vcc_lo
	v_cmp_eq_u32_e32 vcc_lo, 4, v34
	s_delay_alu instid0(VALU_DEP_2) | instskip(SKIP_1) | instid1(VALU_DEP_2)
	v_cndmask_b32_e32 v39, v39, v6, vcc_lo
	;; [unrolled: 5-line block ×15, first 2 shown]
	v_cmp_eq_u32_e32 vcc_lo, 31, v34
	v_cndmask_b32_e32 v39, v39, v33, vcc_lo
	v_cmp_lt_u32_e32 vcc_lo, 21, v34
	s_wait_dscnt 0x0
	s_delay_alu instid0(VALU_DEP_2) | instskip(SKIP_1) | instid1(SALU_CYCLE_1)
	v_fmac_f32_e32 v37, v39, v40
	s_or_b32 s2, vcc_lo, s2
	s_and_not1_b32 exec_lo, exec_lo, s2
	s_cbranch_execnz .LBB31_711
; %bb.712:
	s_or_b32 exec_lo, exec_lo, s2
.LBB31_713:
	s_delay_alu instid0(SALU_CYCLE_1)
	s_or_b32 exec_lo, exec_lo, s1
	v_mov_b32_e32 v25, 0
	ds_load_b32 v25, v25 offset:92
	s_wait_dscnt 0x0
	v_mul_f32_e32 v25, v37, v25
.LBB31_714:
	s_or_b32 exec_lo, exec_lo, s0
	s_delay_alu instid0(SALU_CYCLE_1)
	s_mov_b32 s0, exec_lo
	ds_store_b32 v133, v26
	s_wait_dscnt 0x0
	s_barrier_signal -1
	s_barrier_wait -1
	v_cmpx_gt_u32_e32 24, v0
	s_cbranch_execz .LBB31_724
; %bb.715:
	v_cmp_ne_u32_e32 vcc_lo, 1, v36
	s_cbranch_vccnz .LBB31_717
; %bb.716:
	v_cmp_eq_u32_e32 vcc_lo, 1, v0
	ds_load_b32 v35, v133
	v_cndmask_b32_e32 v34, v2, v3, vcc_lo
	v_cmp_eq_u32_e32 vcc_lo, 2, v0
	s_delay_alu instid0(VALU_DEP_2) | instskip(SKIP_1) | instid1(VALU_DEP_2)
	v_cndmask_b32_e32 v34, v34, v4, vcc_lo
	v_cmp_eq_u32_e32 vcc_lo, 3, v0
	v_cndmask_b32_e32 v34, v34, v5, vcc_lo
	v_cmp_eq_u32_e32 vcc_lo, 4, v0
	s_delay_alu instid0(VALU_DEP_2) | instskip(SKIP_1) | instid1(VALU_DEP_2)
	v_cndmask_b32_e32 v34, v34, v6, vcc_lo
	v_cmp_eq_u32_e32 vcc_lo, 5, v0
	;; [unrolled: 5-line block ×15, first 2 shown]
	v_cndmask_b32_e32 v34, v34, v33, vcc_lo
	s_wait_dscnt 0x0
	s_delay_alu instid0(VALU_DEP_1)
	v_mul_f32_e32 v37, v34, v35
	s_cbranch_execz .LBB31_718
	s_branch .LBB31_719
.LBB31_717:
                                        ; implicit-def: $vgpr37
.LBB31_718:
	ds_load_b32 v37, v133
.LBB31_719:
	s_mov_b32 s1, exec_lo
	v_cmpx_ne_u32_e32 23, v0
	s_cbranch_execz .LBB31_723
; %bb.720:
	v_mov_b64_e32 v[34:35], v[0:1]
	v_lshl_add_u32 v38, v0, 2, 0x84
	s_mov_b32 s2, 0
.LBB31_721:                             ; =>This Inner Loop Header: Depth=1
	s_delay_alu instid0(VALU_DEP_2)
	v_add_nc_u64_e32 v[34:35], 1, v[34:35]
	ds_load_b32 v40, v38
	v_add_nc_u32_e32 v38, 4, v38
	v_cmp_eq_u32_e32 vcc_lo, 1, v34
	v_cndmask_b32_e32 v39, v2, v3, vcc_lo
	v_cmp_eq_u32_e32 vcc_lo, 2, v34
	s_delay_alu instid0(VALU_DEP_2) | instskip(SKIP_1) | instid1(VALU_DEP_2)
	v_cndmask_b32_e32 v39, v39, v4, vcc_lo
	v_cmp_eq_u32_e32 vcc_lo, 3, v34
	v_cndmask_b32_e32 v39, v39, v5, vcc_lo
	v_cmp_eq_u32_e32 vcc_lo, 4, v34
	s_delay_alu instid0(VALU_DEP_2) | instskip(SKIP_1) | instid1(VALU_DEP_2)
	v_cndmask_b32_e32 v39, v39, v6, vcc_lo
	;; [unrolled: 5-line block ×15, first 2 shown]
	v_cmp_eq_u32_e32 vcc_lo, 31, v34
	v_cndmask_b32_e32 v39, v39, v33, vcc_lo
	v_cmp_lt_u32_e32 vcc_lo, 22, v34
	s_wait_dscnt 0x0
	s_delay_alu instid0(VALU_DEP_2) | instskip(SKIP_1) | instid1(SALU_CYCLE_1)
	v_fmac_f32_e32 v37, v39, v40
	s_or_b32 s2, vcc_lo, s2
	s_and_not1_b32 exec_lo, exec_lo, s2
	s_cbranch_execnz .LBB31_721
; %bb.722:
	s_or_b32 exec_lo, exec_lo, s2
.LBB31_723:
	s_delay_alu instid0(SALU_CYCLE_1)
	s_or_b32 exec_lo, exec_lo, s1
	v_mov_b32_e32 v26, 0
	ds_load_b32 v26, v26 offset:96
	s_wait_dscnt 0x0
	v_mul_f32_e32 v26, v37, v26
.LBB31_724:
	s_or_b32 exec_lo, exec_lo, s0
	s_delay_alu instid0(SALU_CYCLE_1)
	s_mov_b32 s0, exec_lo
	ds_store_b32 v133, v27
	s_wait_dscnt 0x0
	s_barrier_signal -1
	s_barrier_wait -1
	v_cmpx_gt_u32_e32 25, v0
	s_cbranch_execz .LBB31_734
; %bb.725:
	v_cmp_ne_u32_e32 vcc_lo, 1, v36
	s_cbranch_vccnz .LBB31_727
; %bb.726:
	v_cmp_eq_u32_e32 vcc_lo, 1, v0
	ds_load_b32 v35, v133
	v_cndmask_b32_e32 v34, v2, v3, vcc_lo
	v_cmp_eq_u32_e32 vcc_lo, 2, v0
	s_delay_alu instid0(VALU_DEP_2) | instskip(SKIP_1) | instid1(VALU_DEP_2)
	v_cndmask_b32_e32 v34, v34, v4, vcc_lo
	v_cmp_eq_u32_e32 vcc_lo, 3, v0
	v_cndmask_b32_e32 v34, v34, v5, vcc_lo
	v_cmp_eq_u32_e32 vcc_lo, 4, v0
	s_delay_alu instid0(VALU_DEP_2) | instskip(SKIP_1) | instid1(VALU_DEP_2)
	v_cndmask_b32_e32 v34, v34, v6, vcc_lo
	v_cmp_eq_u32_e32 vcc_lo, 5, v0
	;; [unrolled: 5-line block ×15, first 2 shown]
	v_cndmask_b32_e32 v34, v34, v33, vcc_lo
	s_wait_dscnt 0x0
	s_delay_alu instid0(VALU_DEP_1)
	v_mul_f32_e32 v37, v34, v35
	s_cbranch_execz .LBB31_728
	s_branch .LBB31_729
.LBB31_727:
                                        ; implicit-def: $vgpr37
.LBB31_728:
	ds_load_b32 v37, v133
.LBB31_729:
	s_mov_b32 s1, exec_lo
	v_cmpx_ne_u32_e32 24, v0
	s_cbranch_execz .LBB31_733
; %bb.730:
	v_mov_b64_e32 v[34:35], v[0:1]
	v_lshl_add_u32 v38, v0, 2, 0x84
	s_mov_b32 s2, 0
.LBB31_731:                             ; =>This Inner Loop Header: Depth=1
	s_delay_alu instid0(VALU_DEP_2)
	v_add_nc_u64_e32 v[34:35], 1, v[34:35]
	ds_load_b32 v40, v38
	v_add_nc_u32_e32 v38, 4, v38
	v_cmp_eq_u32_e32 vcc_lo, 1, v34
	v_cndmask_b32_e32 v39, v2, v3, vcc_lo
	v_cmp_eq_u32_e32 vcc_lo, 2, v34
	s_delay_alu instid0(VALU_DEP_2) | instskip(SKIP_1) | instid1(VALU_DEP_2)
	v_cndmask_b32_e32 v39, v39, v4, vcc_lo
	v_cmp_eq_u32_e32 vcc_lo, 3, v34
	v_cndmask_b32_e32 v39, v39, v5, vcc_lo
	v_cmp_eq_u32_e32 vcc_lo, 4, v34
	s_delay_alu instid0(VALU_DEP_2) | instskip(SKIP_1) | instid1(VALU_DEP_2)
	v_cndmask_b32_e32 v39, v39, v6, vcc_lo
	;; [unrolled: 5-line block ×15, first 2 shown]
	v_cmp_eq_u32_e32 vcc_lo, 31, v34
	v_cndmask_b32_e32 v39, v39, v33, vcc_lo
	v_cmp_lt_u32_e32 vcc_lo, 23, v34
	s_wait_dscnt 0x0
	s_delay_alu instid0(VALU_DEP_2) | instskip(SKIP_1) | instid1(SALU_CYCLE_1)
	v_fmac_f32_e32 v37, v39, v40
	s_or_b32 s2, vcc_lo, s2
	s_and_not1_b32 exec_lo, exec_lo, s2
	s_cbranch_execnz .LBB31_731
; %bb.732:
	s_or_b32 exec_lo, exec_lo, s2
.LBB31_733:
	s_delay_alu instid0(SALU_CYCLE_1)
	s_or_b32 exec_lo, exec_lo, s1
	v_mov_b32_e32 v27, 0
	ds_load_b32 v27, v27 offset:100
	s_wait_dscnt 0x0
	v_mul_f32_e32 v27, v37, v27
.LBB31_734:
	s_or_b32 exec_lo, exec_lo, s0
	s_delay_alu instid0(SALU_CYCLE_1)
	s_mov_b32 s0, exec_lo
	ds_store_b32 v133, v28
	s_wait_dscnt 0x0
	s_barrier_signal -1
	s_barrier_wait -1
	v_cmpx_gt_u32_e32 26, v0
	s_cbranch_execz .LBB31_744
; %bb.735:
	v_cmp_ne_u32_e32 vcc_lo, 1, v36
	s_cbranch_vccnz .LBB31_737
; %bb.736:
	v_cmp_eq_u32_e32 vcc_lo, 1, v0
	ds_load_b32 v35, v133
	v_cndmask_b32_e32 v34, v2, v3, vcc_lo
	v_cmp_eq_u32_e32 vcc_lo, 2, v0
	s_delay_alu instid0(VALU_DEP_2) | instskip(SKIP_1) | instid1(VALU_DEP_2)
	v_cndmask_b32_e32 v34, v34, v4, vcc_lo
	v_cmp_eq_u32_e32 vcc_lo, 3, v0
	v_cndmask_b32_e32 v34, v34, v5, vcc_lo
	v_cmp_eq_u32_e32 vcc_lo, 4, v0
	s_delay_alu instid0(VALU_DEP_2) | instskip(SKIP_1) | instid1(VALU_DEP_2)
	v_cndmask_b32_e32 v34, v34, v6, vcc_lo
	v_cmp_eq_u32_e32 vcc_lo, 5, v0
	;; [unrolled: 5-line block ×15, first 2 shown]
	v_cndmask_b32_e32 v34, v34, v33, vcc_lo
	s_wait_dscnt 0x0
	s_delay_alu instid0(VALU_DEP_1)
	v_mul_f32_e32 v37, v34, v35
	s_cbranch_execz .LBB31_738
	s_branch .LBB31_739
.LBB31_737:
                                        ; implicit-def: $vgpr37
.LBB31_738:
	ds_load_b32 v37, v133
.LBB31_739:
	s_mov_b32 s1, exec_lo
	v_cmpx_ne_u32_e32 25, v0
	s_cbranch_execz .LBB31_743
; %bb.740:
	v_mov_b64_e32 v[34:35], v[0:1]
	v_lshl_add_u32 v38, v0, 2, 0x84
	s_mov_b32 s2, 0
.LBB31_741:                             ; =>This Inner Loop Header: Depth=1
	s_delay_alu instid0(VALU_DEP_2)
	v_add_nc_u64_e32 v[34:35], 1, v[34:35]
	ds_load_b32 v40, v38
	v_add_nc_u32_e32 v38, 4, v38
	v_cmp_eq_u32_e32 vcc_lo, 1, v34
	v_cndmask_b32_e32 v39, v2, v3, vcc_lo
	v_cmp_eq_u32_e32 vcc_lo, 2, v34
	s_delay_alu instid0(VALU_DEP_2) | instskip(SKIP_1) | instid1(VALU_DEP_2)
	v_cndmask_b32_e32 v39, v39, v4, vcc_lo
	v_cmp_eq_u32_e32 vcc_lo, 3, v34
	v_cndmask_b32_e32 v39, v39, v5, vcc_lo
	v_cmp_eq_u32_e32 vcc_lo, 4, v34
	s_delay_alu instid0(VALU_DEP_2) | instskip(SKIP_1) | instid1(VALU_DEP_2)
	v_cndmask_b32_e32 v39, v39, v6, vcc_lo
	;; [unrolled: 5-line block ×15, first 2 shown]
	v_cmp_eq_u32_e32 vcc_lo, 31, v34
	v_cndmask_b32_e32 v39, v39, v33, vcc_lo
	v_cmp_lt_u32_e32 vcc_lo, 24, v34
	s_wait_dscnt 0x0
	s_delay_alu instid0(VALU_DEP_2) | instskip(SKIP_1) | instid1(SALU_CYCLE_1)
	v_fmac_f32_e32 v37, v39, v40
	s_or_b32 s2, vcc_lo, s2
	s_and_not1_b32 exec_lo, exec_lo, s2
	s_cbranch_execnz .LBB31_741
; %bb.742:
	s_or_b32 exec_lo, exec_lo, s2
.LBB31_743:
	s_delay_alu instid0(SALU_CYCLE_1)
	s_or_b32 exec_lo, exec_lo, s1
	v_mov_b32_e32 v28, 0
	ds_load_b32 v28, v28 offset:104
	s_wait_dscnt 0x0
	v_mul_f32_e32 v28, v37, v28
.LBB31_744:
	s_or_b32 exec_lo, exec_lo, s0
	s_delay_alu instid0(SALU_CYCLE_1)
	s_mov_b32 s0, exec_lo
	ds_store_b32 v133, v29
	s_wait_dscnt 0x0
	s_barrier_signal -1
	s_barrier_wait -1
	v_cmpx_gt_u32_e32 27, v0
	s_cbranch_execz .LBB31_754
; %bb.745:
	v_cmp_ne_u32_e32 vcc_lo, 1, v36
	s_cbranch_vccnz .LBB31_747
; %bb.746:
	v_cmp_eq_u32_e32 vcc_lo, 1, v0
	ds_load_b32 v35, v133
	v_cndmask_b32_e32 v34, v2, v3, vcc_lo
	v_cmp_eq_u32_e32 vcc_lo, 2, v0
	s_delay_alu instid0(VALU_DEP_2) | instskip(SKIP_1) | instid1(VALU_DEP_2)
	v_cndmask_b32_e32 v34, v34, v4, vcc_lo
	v_cmp_eq_u32_e32 vcc_lo, 3, v0
	v_cndmask_b32_e32 v34, v34, v5, vcc_lo
	v_cmp_eq_u32_e32 vcc_lo, 4, v0
	s_delay_alu instid0(VALU_DEP_2) | instskip(SKIP_1) | instid1(VALU_DEP_2)
	v_cndmask_b32_e32 v34, v34, v6, vcc_lo
	v_cmp_eq_u32_e32 vcc_lo, 5, v0
	;; [unrolled: 5-line block ×15, first 2 shown]
	v_cndmask_b32_e32 v34, v34, v33, vcc_lo
	s_wait_dscnt 0x0
	s_delay_alu instid0(VALU_DEP_1)
	v_mul_f32_e32 v37, v34, v35
	s_cbranch_execz .LBB31_748
	s_branch .LBB31_749
.LBB31_747:
                                        ; implicit-def: $vgpr37
.LBB31_748:
	ds_load_b32 v37, v133
.LBB31_749:
	s_mov_b32 s1, exec_lo
	v_cmpx_ne_u32_e32 26, v0
	s_cbranch_execz .LBB31_753
; %bb.750:
	v_mov_b64_e32 v[34:35], v[0:1]
	v_lshl_add_u32 v38, v0, 2, 0x84
	s_mov_b32 s2, 0
.LBB31_751:                             ; =>This Inner Loop Header: Depth=1
	s_delay_alu instid0(VALU_DEP_2)
	v_add_nc_u64_e32 v[34:35], 1, v[34:35]
	ds_load_b32 v40, v38
	v_add_nc_u32_e32 v38, 4, v38
	v_cmp_eq_u32_e32 vcc_lo, 1, v34
	v_cndmask_b32_e32 v39, v2, v3, vcc_lo
	v_cmp_eq_u32_e32 vcc_lo, 2, v34
	s_delay_alu instid0(VALU_DEP_2) | instskip(SKIP_1) | instid1(VALU_DEP_2)
	v_cndmask_b32_e32 v39, v39, v4, vcc_lo
	v_cmp_eq_u32_e32 vcc_lo, 3, v34
	v_cndmask_b32_e32 v39, v39, v5, vcc_lo
	v_cmp_eq_u32_e32 vcc_lo, 4, v34
	s_delay_alu instid0(VALU_DEP_2) | instskip(SKIP_1) | instid1(VALU_DEP_2)
	v_cndmask_b32_e32 v39, v39, v6, vcc_lo
	;; [unrolled: 5-line block ×15, first 2 shown]
	v_cmp_eq_u32_e32 vcc_lo, 31, v34
	v_cndmask_b32_e32 v39, v39, v33, vcc_lo
	v_cmp_lt_u32_e32 vcc_lo, 25, v34
	s_wait_dscnt 0x0
	s_delay_alu instid0(VALU_DEP_2) | instskip(SKIP_1) | instid1(SALU_CYCLE_1)
	v_fmac_f32_e32 v37, v39, v40
	s_or_b32 s2, vcc_lo, s2
	s_and_not1_b32 exec_lo, exec_lo, s2
	s_cbranch_execnz .LBB31_751
; %bb.752:
	s_or_b32 exec_lo, exec_lo, s2
.LBB31_753:
	s_delay_alu instid0(SALU_CYCLE_1)
	s_or_b32 exec_lo, exec_lo, s1
	v_mov_b32_e32 v29, 0
	ds_load_b32 v29, v29 offset:108
	s_wait_dscnt 0x0
	v_mul_f32_e32 v29, v37, v29
.LBB31_754:
	s_or_b32 exec_lo, exec_lo, s0
	s_delay_alu instid0(SALU_CYCLE_1)
	s_mov_b32 s0, exec_lo
	ds_store_b32 v133, v30
	s_wait_dscnt 0x0
	s_barrier_signal -1
	s_barrier_wait -1
	v_cmpx_gt_u32_e32 28, v0
	s_cbranch_execz .LBB31_764
; %bb.755:
	v_cmp_ne_u32_e32 vcc_lo, 1, v36
	s_cbranch_vccnz .LBB31_757
; %bb.756:
	v_cmp_eq_u32_e32 vcc_lo, 1, v0
	ds_load_b32 v35, v133
	v_cndmask_b32_e32 v34, v2, v3, vcc_lo
	v_cmp_eq_u32_e32 vcc_lo, 2, v0
	s_delay_alu instid0(VALU_DEP_2) | instskip(SKIP_1) | instid1(VALU_DEP_2)
	v_cndmask_b32_e32 v34, v34, v4, vcc_lo
	v_cmp_eq_u32_e32 vcc_lo, 3, v0
	v_cndmask_b32_e32 v34, v34, v5, vcc_lo
	v_cmp_eq_u32_e32 vcc_lo, 4, v0
	s_delay_alu instid0(VALU_DEP_2) | instskip(SKIP_1) | instid1(VALU_DEP_2)
	v_cndmask_b32_e32 v34, v34, v6, vcc_lo
	v_cmp_eq_u32_e32 vcc_lo, 5, v0
	;; [unrolled: 5-line block ×15, first 2 shown]
	v_cndmask_b32_e32 v34, v34, v33, vcc_lo
	s_wait_dscnt 0x0
	s_delay_alu instid0(VALU_DEP_1)
	v_mul_f32_e32 v37, v34, v35
	s_cbranch_execz .LBB31_758
	s_branch .LBB31_759
.LBB31_757:
                                        ; implicit-def: $vgpr37
.LBB31_758:
	ds_load_b32 v37, v133
.LBB31_759:
	s_mov_b32 s1, exec_lo
	v_cmpx_ne_u32_e32 27, v0
	s_cbranch_execz .LBB31_763
; %bb.760:
	v_mov_b64_e32 v[34:35], v[0:1]
	v_lshl_add_u32 v38, v0, 2, 0x84
	s_mov_b32 s2, 0
.LBB31_761:                             ; =>This Inner Loop Header: Depth=1
	s_delay_alu instid0(VALU_DEP_2)
	v_add_nc_u64_e32 v[34:35], 1, v[34:35]
	ds_load_b32 v40, v38
	v_add_nc_u32_e32 v38, 4, v38
	v_cmp_eq_u32_e32 vcc_lo, 1, v34
	v_cndmask_b32_e32 v39, v2, v3, vcc_lo
	v_cmp_eq_u32_e32 vcc_lo, 2, v34
	s_delay_alu instid0(VALU_DEP_2) | instskip(SKIP_1) | instid1(VALU_DEP_2)
	v_cndmask_b32_e32 v39, v39, v4, vcc_lo
	v_cmp_eq_u32_e32 vcc_lo, 3, v34
	v_cndmask_b32_e32 v39, v39, v5, vcc_lo
	v_cmp_eq_u32_e32 vcc_lo, 4, v34
	s_delay_alu instid0(VALU_DEP_2) | instskip(SKIP_1) | instid1(VALU_DEP_2)
	v_cndmask_b32_e32 v39, v39, v6, vcc_lo
	;; [unrolled: 5-line block ×15, first 2 shown]
	v_cmp_eq_u32_e32 vcc_lo, 31, v34
	v_cndmask_b32_e32 v39, v39, v33, vcc_lo
	v_cmp_lt_u32_e32 vcc_lo, 26, v34
	s_wait_dscnt 0x0
	s_delay_alu instid0(VALU_DEP_2) | instskip(SKIP_1) | instid1(SALU_CYCLE_1)
	v_fmac_f32_e32 v37, v39, v40
	s_or_b32 s2, vcc_lo, s2
	s_and_not1_b32 exec_lo, exec_lo, s2
	s_cbranch_execnz .LBB31_761
; %bb.762:
	s_or_b32 exec_lo, exec_lo, s2
.LBB31_763:
	s_delay_alu instid0(SALU_CYCLE_1)
	s_or_b32 exec_lo, exec_lo, s1
	v_mov_b32_e32 v30, 0
	ds_load_b32 v30, v30 offset:112
	s_wait_dscnt 0x0
	v_mul_f32_e32 v30, v37, v30
.LBB31_764:
	s_or_b32 exec_lo, exec_lo, s0
	s_delay_alu instid0(SALU_CYCLE_1)
	s_mov_b32 s0, exec_lo
	ds_store_b32 v133, v31
	s_wait_dscnt 0x0
	s_barrier_signal -1
	s_barrier_wait -1
	v_cmpx_gt_u32_e32 29, v0
	s_cbranch_execz .LBB31_774
; %bb.765:
	v_cmp_ne_u32_e32 vcc_lo, 1, v36
	s_cbranch_vccnz .LBB31_767
; %bb.766:
	v_cmp_eq_u32_e32 vcc_lo, 1, v0
	ds_load_b32 v35, v133
	v_cndmask_b32_e32 v34, v2, v3, vcc_lo
	v_cmp_eq_u32_e32 vcc_lo, 2, v0
	s_delay_alu instid0(VALU_DEP_2) | instskip(SKIP_1) | instid1(VALU_DEP_2)
	v_cndmask_b32_e32 v34, v34, v4, vcc_lo
	v_cmp_eq_u32_e32 vcc_lo, 3, v0
	v_cndmask_b32_e32 v34, v34, v5, vcc_lo
	v_cmp_eq_u32_e32 vcc_lo, 4, v0
	s_delay_alu instid0(VALU_DEP_2) | instskip(SKIP_1) | instid1(VALU_DEP_2)
	v_cndmask_b32_e32 v34, v34, v6, vcc_lo
	v_cmp_eq_u32_e32 vcc_lo, 5, v0
	;; [unrolled: 5-line block ×15, first 2 shown]
	v_cndmask_b32_e32 v34, v34, v33, vcc_lo
	s_wait_dscnt 0x0
	s_delay_alu instid0(VALU_DEP_1)
	v_mul_f32_e32 v37, v34, v35
	s_cbranch_execz .LBB31_768
	s_branch .LBB31_769
.LBB31_767:
                                        ; implicit-def: $vgpr37
.LBB31_768:
	ds_load_b32 v37, v133
.LBB31_769:
	s_mov_b32 s1, exec_lo
	v_cmpx_ne_u32_e32 28, v0
	s_cbranch_execz .LBB31_773
; %bb.770:
	v_mov_b64_e32 v[34:35], v[0:1]
	v_lshl_add_u32 v38, v0, 2, 0x84
	s_mov_b32 s2, 0
.LBB31_771:                             ; =>This Inner Loop Header: Depth=1
	s_delay_alu instid0(VALU_DEP_2)
	v_add_nc_u64_e32 v[34:35], 1, v[34:35]
	ds_load_b32 v40, v38
	v_add_nc_u32_e32 v38, 4, v38
	v_cmp_eq_u32_e32 vcc_lo, 1, v34
	v_cndmask_b32_e32 v39, v2, v3, vcc_lo
	v_cmp_eq_u32_e32 vcc_lo, 2, v34
	s_delay_alu instid0(VALU_DEP_2) | instskip(SKIP_1) | instid1(VALU_DEP_2)
	v_cndmask_b32_e32 v39, v39, v4, vcc_lo
	v_cmp_eq_u32_e32 vcc_lo, 3, v34
	v_cndmask_b32_e32 v39, v39, v5, vcc_lo
	v_cmp_eq_u32_e32 vcc_lo, 4, v34
	s_delay_alu instid0(VALU_DEP_2) | instskip(SKIP_1) | instid1(VALU_DEP_2)
	v_cndmask_b32_e32 v39, v39, v6, vcc_lo
	;; [unrolled: 5-line block ×15, first 2 shown]
	v_cmp_eq_u32_e32 vcc_lo, 31, v34
	v_cndmask_b32_e32 v39, v39, v33, vcc_lo
	v_cmp_lt_u32_e32 vcc_lo, 27, v34
	s_wait_dscnt 0x0
	s_delay_alu instid0(VALU_DEP_2) | instskip(SKIP_1) | instid1(SALU_CYCLE_1)
	v_fmac_f32_e32 v37, v39, v40
	s_or_b32 s2, vcc_lo, s2
	s_and_not1_b32 exec_lo, exec_lo, s2
	s_cbranch_execnz .LBB31_771
; %bb.772:
	s_or_b32 exec_lo, exec_lo, s2
.LBB31_773:
	s_delay_alu instid0(SALU_CYCLE_1)
	s_or_b32 exec_lo, exec_lo, s1
	v_mov_b32_e32 v31, 0
	ds_load_b32 v31, v31 offset:116
	s_wait_dscnt 0x0
	v_mul_f32_e32 v31, v37, v31
.LBB31_774:
	s_or_b32 exec_lo, exec_lo, s0
	v_cmp_gt_u32_e64 s0, 30, v0
	ds_store_b32 v133, v32
	s_wait_dscnt 0x0
	s_barrier_signal -1
	s_barrier_wait -1
	s_and_saveexec_b32 s1, s0
	s_cbranch_execz .LBB31_784
; %bb.775:
	v_cmp_ne_u32_e32 vcc_lo, 1, v36
	s_cbranch_vccnz .LBB31_777
; %bb.776:
	v_cmp_eq_u32_e32 vcc_lo, 1, v0
	ds_load_b32 v35, v133
	v_cndmask_b32_e32 v34, v2, v3, vcc_lo
	v_cmp_eq_u32_e32 vcc_lo, 2, v0
	s_delay_alu instid0(VALU_DEP_2) | instskip(SKIP_1) | instid1(VALU_DEP_2)
	v_cndmask_b32_e32 v34, v34, v4, vcc_lo
	v_cmp_eq_u32_e32 vcc_lo, 3, v0
	v_cndmask_b32_e32 v34, v34, v5, vcc_lo
	v_cmp_eq_u32_e32 vcc_lo, 4, v0
	s_delay_alu instid0(VALU_DEP_2) | instskip(SKIP_1) | instid1(VALU_DEP_2)
	v_cndmask_b32_e32 v34, v34, v6, vcc_lo
	v_cmp_eq_u32_e32 vcc_lo, 5, v0
	;; [unrolled: 5-line block ×15, first 2 shown]
	v_cndmask_b32_e32 v34, v34, v33, vcc_lo
	s_wait_dscnt 0x0
	s_delay_alu instid0(VALU_DEP_1)
	v_mul_f32_e32 v37, v34, v35
	s_cbranch_execz .LBB31_778
	s_branch .LBB31_779
.LBB31_777:
                                        ; implicit-def: $vgpr37
.LBB31_778:
	ds_load_b32 v37, v133
.LBB31_779:
	s_mov_b32 s2, exec_lo
	v_cmpx_ne_u32_e32 29, v0
	s_cbranch_execz .LBB31_783
; %bb.780:
	v_mov_b64_e32 v[34:35], v[0:1]
	v_lshl_add_u32 v38, v0, 2, 0x84
	s_mov_b32 s3, 0
.LBB31_781:                             ; =>This Inner Loop Header: Depth=1
	s_delay_alu instid0(VALU_DEP_2)
	v_add_nc_u64_e32 v[34:35], 1, v[34:35]
	ds_load_b32 v40, v38
	v_add_nc_u32_e32 v38, 4, v38
	v_cmp_eq_u32_e32 vcc_lo, 1, v34
	v_cndmask_b32_e32 v39, v2, v3, vcc_lo
	v_cmp_eq_u32_e32 vcc_lo, 2, v34
	s_delay_alu instid0(VALU_DEP_2) | instskip(SKIP_1) | instid1(VALU_DEP_2)
	v_cndmask_b32_e32 v39, v39, v4, vcc_lo
	v_cmp_eq_u32_e32 vcc_lo, 3, v34
	v_cndmask_b32_e32 v39, v39, v5, vcc_lo
	v_cmp_eq_u32_e32 vcc_lo, 4, v34
	s_delay_alu instid0(VALU_DEP_2) | instskip(SKIP_1) | instid1(VALU_DEP_2)
	v_cndmask_b32_e32 v39, v39, v6, vcc_lo
	;; [unrolled: 5-line block ×15, first 2 shown]
	v_cmp_eq_u32_e32 vcc_lo, 31, v34
	v_cndmask_b32_e32 v39, v39, v33, vcc_lo
	v_cmp_lt_u32_e32 vcc_lo, 28, v34
	s_wait_dscnt 0x0
	s_delay_alu instid0(VALU_DEP_2) | instskip(SKIP_1) | instid1(SALU_CYCLE_1)
	v_fmac_f32_e32 v37, v39, v40
	s_or_b32 s3, vcc_lo, s3
	s_and_not1_b32 exec_lo, exec_lo, s3
	s_cbranch_execnz .LBB31_781
; %bb.782:
	s_or_b32 exec_lo, exec_lo, s3
.LBB31_783:
	s_delay_alu instid0(SALU_CYCLE_1)
	s_or_b32 exec_lo, exec_lo, s2
	v_mov_b32_e32 v32, 0
	ds_load_b32 v32, v32 offset:120
	s_wait_dscnt 0x0
	v_mul_f32_e32 v32, v37, v32
.LBB31_784:
	s_or_b32 exec_lo, exec_lo, s1
	s_delay_alu instid0(SALU_CYCLE_1)
	s_mov_b32 s1, exec_lo
	ds_store_b32 v133, v33
	s_wait_dscnt 0x0
	s_barrier_signal -1
	s_barrier_wait -1
	v_cmpx_ne_u32_e32 31, v0
	s_cbranch_execz .LBB31_794
; %bb.785:
	v_cmp_ne_u32_e32 vcc_lo, 1, v36
	s_cbranch_vccnz .LBB31_787
; %bb.786:
	v_cmp_eq_u32_e32 vcc_lo, 1, v0
	ds_load_b32 v35, v133
	v_cndmask_b32_e32 v34, v2, v3, vcc_lo
	v_cmp_eq_u32_e32 vcc_lo, 2, v0
	s_delay_alu instid0(VALU_DEP_2) | instskip(SKIP_1) | instid1(VALU_DEP_2)
	v_cndmask_b32_e32 v34, v34, v4, vcc_lo
	v_cmp_eq_u32_e32 vcc_lo, 3, v0
	v_cndmask_b32_e32 v34, v34, v5, vcc_lo
	v_cmp_eq_u32_e32 vcc_lo, 4, v0
	s_delay_alu instid0(VALU_DEP_2) | instskip(SKIP_1) | instid1(VALU_DEP_2)
	v_cndmask_b32_e32 v34, v34, v6, vcc_lo
	v_cmp_eq_u32_e32 vcc_lo, 5, v0
	v_cndmask_b32_e32 v34, v34, v7, vcc_lo
	v_cmp_eq_u32_e32 vcc_lo, 6, v0
	s_delay_alu instid0(VALU_DEP_2) | instskip(SKIP_1) | instid1(VALU_DEP_2)
	v_cndmask_b32_e32 v34, v34, v8, vcc_lo
	v_cmp_eq_u32_e32 vcc_lo, 7, v0
	v_cndmask_b32_e32 v34, v34, v9, vcc_lo
	v_cmp_eq_u32_e32 vcc_lo, 8, v0
	s_delay_alu instid0(VALU_DEP_2) | instskip(SKIP_1) | instid1(VALU_DEP_2)
	v_cndmask_b32_e32 v34, v34, v10, vcc_lo
	v_cmp_eq_u32_e32 vcc_lo, 9, v0
	v_cndmask_b32_e32 v34, v34, v11, vcc_lo
	v_cmp_eq_u32_e32 vcc_lo, 10, v0
	s_delay_alu instid0(VALU_DEP_2) | instskip(SKIP_1) | instid1(VALU_DEP_2)
	v_cndmask_b32_e32 v34, v34, v12, vcc_lo
	v_cmp_eq_u32_e32 vcc_lo, 11, v0
	v_cndmask_b32_e32 v34, v34, v13, vcc_lo
	v_cmp_eq_u32_e32 vcc_lo, 12, v0
	s_delay_alu instid0(VALU_DEP_2) | instskip(SKIP_1) | instid1(VALU_DEP_2)
	v_cndmask_b32_e32 v34, v34, v14, vcc_lo
	v_cmp_eq_u32_e32 vcc_lo, 13, v0
	v_cndmask_b32_e32 v34, v34, v15, vcc_lo
	v_cmp_eq_u32_e32 vcc_lo, 14, v0
	s_delay_alu instid0(VALU_DEP_2) | instskip(SKIP_1) | instid1(VALU_DEP_2)
	v_cndmask_b32_e32 v34, v34, v16, vcc_lo
	v_cmp_eq_u32_e32 vcc_lo, 15, v0
	v_cndmask_b32_e32 v34, v34, v17, vcc_lo
	v_cmp_eq_u32_e32 vcc_lo, 16, v0
	s_delay_alu instid0(VALU_DEP_2) | instskip(SKIP_1) | instid1(VALU_DEP_2)
	v_cndmask_b32_e32 v34, v34, v18, vcc_lo
	v_cmp_eq_u32_e32 vcc_lo, 17, v0
	v_cndmask_b32_e32 v34, v34, v19, vcc_lo
	v_cmp_eq_u32_e32 vcc_lo, 18, v0
	s_delay_alu instid0(VALU_DEP_2) | instskip(SKIP_1) | instid1(VALU_DEP_2)
	v_cndmask_b32_e32 v34, v34, v20, vcc_lo
	v_cmp_eq_u32_e32 vcc_lo, 19, v0
	v_cndmask_b32_e32 v34, v34, v21, vcc_lo
	v_cmp_eq_u32_e32 vcc_lo, 20, v0
	s_delay_alu instid0(VALU_DEP_2) | instskip(SKIP_1) | instid1(VALU_DEP_2)
	v_cndmask_b32_e32 v34, v34, v22, vcc_lo
	v_cmp_eq_u32_e32 vcc_lo, 21, v0
	v_cndmask_b32_e32 v34, v34, v23, vcc_lo
	v_cmp_eq_u32_e32 vcc_lo, 22, v0
	s_delay_alu instid0(VALU_DEP_2) | instskip(SKIP_1) | instid1(VALU_DEP_2)
	v_cndmask_b32_e32 v34, v34, v24, vcc_lo
	v_cmp_eq_u32_e32 vcc_lo, 23, v0
	v_cndmask_b32_e32 v34, v34, v25, vcc_lo
	v_cmp_eq_u32_e32 vcc_lo, 24, v0
	s_delay_alu instid0(VALU_DEP_2) | instskip(SKIP_1) | instid1(VALU_DEP_2)
	v_cndmask_b32_e32 v34, v34, v26, vcc_lo
	v_cmp_eq_u32_e32 vcc_lo, 25, v0
	v_cndmask_b32_e32 v34, v34, v27, vcc_lo
	v_cmp_eq_u32_e32 vcc_lo, 26, v0
	s_delay_alu instid0(VALU_DEP_2) | instskip(SKIP_1) | instid1(VALU_DEP_2)
	v_cndmask_b32_e32 v34, v34, v28, vcc_lo
	v_cmp_eq_u32_e32 vcc_lo, 27, v0
	v_cndmask_b32_e32 v34, v34, v29, vcc_lo
	v_cmp_eq_u32_e32 vcc_lo, 28, v0
	s_delay_alu instid0(VALU_DEP_2) | instskip(SKIP_1) | instid1(VALU_DEP_2)
	v_cndmask_b32_e32 v34, v34, v30, vcc_lo
	v_cmp_eq_u32_e32 vcc_lo, 29, v0
	v_cndmask_b32_e32 v34, v34, v31, vcc_lo
	v_cmp_eq_u32_e32 vcc_lo, 30, v0
	s_delay_alu instid0(VALU_DEP_2) | instskip(SKIP_1) | instid1(VALU_DEP_2)
	v_cndmask_b32_e32 v34, v34, v32, vcc_lo
	v_cmp_eq_u32_e32 vcc_lo, 31, v0
	v_cndmask_b32_e32 v34, v34, v33, vcc_lo
	s_wait_dscnt 0x0
	s_delay_alu instid0(VALU_DEP_1)
	v_mul_f32_e32 v34, v34, v35
	s_cbranch_execz .LBB31_788
	s_branch .LBB31_789
.LBB31_787:
                                        ; implicit-def: $vgpr34
.LBB31_788:
	ds_load_b32 v34, v133
.LBB31_789:
	s_and_saveexec_b32 s2, s0
	s_cbranch_execz .LBB31_793
; %bb.790:
	v_lshl_add_u32 v35, v0, 2, 0x84
	s_mov_b32 s0, 0
.LBB31_791:                             ; =>This Inner Loop Header: Depth=1
	v_add_nc_u64_e32 v[0:1], 1, v[0:1]
	ds_load_b32 v37, v35
	v_add_nc_u32_e32 v35, 4, v35
	v_cmp_eq_u32_e32 vcc_lo, 1, v0
	v_cndmask_b32_e32 v36, v2, v3, vcc_lo
	v_cmp_eq_u32_e32 vcc_lo, 2, v0
	s_delay_alu instid0(VALU_DEP_2) | instskip(SKIP_1) | instid1(VALU_DEP_2)
	v_cndmask_b32_e32 v36, v36, v4, vcc_lo
	v_cmp_eq_u32_e32 vcc_lo, 3, v0
	v_cndmask_b32_e32 v36, v36, v5, vcc_lo
	v_cmp_eq_u32_e32 vcc_lo, 4, v0
	s_delay_alu instid0(VALU_DEP_2) | instskip(SKIP_1) | instid1(VALU_DEP_2)
	v_cndmask_b32_e32 v36, v36, v6, vcc_lo
	;; [unrolled: 5-line block ×15, first 2 shown]
	v_cmp_eq_u32_e32 vcc_lo, 31, v0
	v_cndmask_b32_e32 v36, v36, v33, vcc_lo
	v_cmp_lt_u32_e32 vcc_lo, 29, v0
	s_wait_dscnt 0x0
	s_delay_alu instid0(VALU_DEP_2) | instskip(SKIP_1) | instid1(SALU_CYCLE_1)
	v_fmac_f32_e32 v34, v36, v37
	s_or_b32 s0, vcc_lo, s0
	s_and_not1_b32 exec_lo, exec_lo, s0
	s_cbranch_execnz .LBB31_791
; %bb.792:
	s_or_b32 exec_lo, exec_lo, s0
.LBB31_793:
	s_delay_alu instid0(SALU_CYCLE_1)
	s_or_b32 exec_lo, exec_lo, s2
	v_mov_b32_e32 v0, 0
	ds_load_b32 v0, v0 offset:124
	s_wait_dscnt 0x0
	v_mul_f32_e32 v33, v34, v0
.LBB31_794:
	s_or_b32 exec_lo, exec_lo, s1
	s_delay_alu instid0(VALU_DEP_1)
	v_mov_b64_e32 v[64:65], v[32:33]
	v_mov_b64_e32 v[62:63], v[30:31]
	;; [unrolled: 1-line block ×16, first 2 shown]
.LBB31_795:
	s_wait_xcnt 0x7
	v_lshl_add_u64 v[0:1], v[66:67], 2, s[34:35]
	s_wait_loadcnt 0x7
	v_lshl_add_u64 v[2:3], v[68:69], 2, s[34:35]
	v_lshl_add_u64 v[4:5], v[70:71], 2, s[34:35]
	;; [unrolled: 1-line block ×12, first 2 shown]
	s_wait_loadcnt 0x6
	v_lshl_add_u64 v[26:27], v[92:93], 2, s[34:35]
	s_wait_loadcnt 0x4
	v_lshl_add_u64 v[28:29], v[94:95], 2, s[34:35]
	;; [unrolled: 2-line block ×4, first 2 shown]
	v_lshl_add_u64 v[66:67], v[100:101], 2, s[34:35]
	v_lshl_add_u64 v[68:69], v[102:103], 2, s[34:35]
	;; [unrolled: 1-line block ×13, first 2 shown]
	s_clause 0x1f
	global_store_b32 v[110:111], v34, off
	global_store_b32 v[114:115], v35, off
	;; [unrolled: 1-line block ×32, first 2 shown]
.LBB31_796:
	s_sendmsg sendmsg(MSG_DEALLOC_VGPRS)
	s_endpgm
	.section	.rodata,"a",@progbits
	.p2align	6, 0x0
	.amdhsa_kernel _ZN9rocsolver6v33100L18trti2_kernel_smallILi32EfPfEEv13rocblas_fill_17rocblas_diagonal_T1_iil
		.amdhsa_group_segment_fixed_size 256
		.amdhsa_private_segment_fixed_size 0
		.amdhsa_kernarg_size 32
		.amdhsa_user_sgpr_count 2
		.amdhsa_user_sgpr_dispatch_ptr 0
		.amdhsa_user_sgpr_queue_ptr 0
		.amdhsa_user_sgpr_kernarg_segment_ptr 1
		.amdhsa_user_sgpr_dispatch_id 0
		.amdhsa_user_sgpr_kernarg_preload_length 0
		.amdhsa_user_sgpr_kernarg_preload_offset 0
		.amdhsa_user_sgpr_private_segment_size 0
		.amdhsa_wavefront_size32 1
		.amdhsa_uses_dynamic_stack 0
		.amdhsa_enable_private_segment 0
		.amdhsa_system_sgpr_workgroup_id_x 1
		.amdhsa_system_sgpr_workgroup_id_y 0
		.amdhsa_system_sgpr_workgroup_id_z 0
		.amdhsa_system_sgpr_workgroup_info 0
		.amdhsa_system_vgpr_workitem_id 0
		.amdhsa_next_free_vgpr 144
		.amdhsa_next_free_sgpr 44
		.amdhsa_named_barrier_count 0
		.amdhsa_reserve_vcc 1
		.amdhsa_float_round_mode_32 0
		.amdhsa_float_round_mode_16_64 0
		.amdhsa_float_denorm_mode_32 3
		.amdhsa_float_denorm_mode_16_64 3
		.amdhsa_fp16_overflow 0
		.amdhsa_memory_ordered 1
		.amdhsa_forward_progress 1
		.amdhsa_inst_pref_size 255
		.amdhsa_round_robin_scheduling 0
		.amdhsa_exception_fp_ieee_invalid_op 0
		.amdhsa_exception_fp_denorm_src 0
		.amdhsa_exception_fp_ieee_div_zero 0
		.amdhsa_exception_fp_ieee_overflow 0
		.amdhsa_exception_fp_ieee_underflow 0
		.amdhsa_exception_fp_ieee_inexact 0
		.amdhsa_exception_int_div_zero 0
	.end_amdhsa_kernel
	.section	.text._ZN9rocsolver6v33100L18trti2_kernel_smallILi32EfPfEEv13rocblas_fill_17rocblas_diagonal_T1_iil,"axG",@progbits,_ZN9rocsolver6v33100L18trti2_kernel_smallILi32EfPfEEv13rocblas_fill_17rocblas_diagonal_T1_iil,comdat
.Lfunc_end31:
	.size	_ZN9rocsolver6v33100L18trti2_kernel_smallILi32EfPfEEv13rocblas_fill_17rocblas_diagonal_T1_iil, .Lfunc_end31-_ZN9rocsolver6v33100L18trti2_kernel_smallILi32EfPfEEv13rocblas_fill_17rocblas_diagonal_T1_iil
                                        ; -- End function
	.set _ZN9rocsolver6v33100L18trti2_kernel_smallILi32EfPfEEv13rocblas_fill_17rocblas_diagonal_T1_iil.num_vgpr, 144
	.set _ZN9rocsolver6v33100L18trti2_kernel_smallILi32EfPfEEv13rocblas_fill_17rocblas_diagonal_T1_iil.num_agpr, 0
	.set _ZN9rocsolver6v33100L18trti2_kernel_smallILi32EfPfEEv13rocblas_fill_17rocblas_diagonal_T1_iil.numbered_sgpr, 44
	.set _ZN9rocsolver6v33100L18trti2_kernel_smallILi32EfPfEEv13rocblas_fill_17rocblas_diagonal_T1_iil.num_named_barrier, 0
	.set _ZN9rocsolver6v33100L18trti2_kernel_smallILi32EfPfEEv13rocblas_fill_17rocblas_diagonal_T1_iil.private_seg_size, 0
	.set _ZN9rocsolver6v33100L18trti2_kernel_smallILi32EfPfEEv13rocblas_fill_17rocblas_diagonal_T1_iil.uses_vcc, 1
	.set _ZN9rocsolver6v33100L18trti2_kernel_smallILi32EfPfEEv13rocblas_fill_17rocblas_diagonal_T1_iil.uses_flat_scratch, 0
	.set _ZN9rocsolver6v33100L18trti2_kernel_smallILi32EfPfEEv13rocblas_fill_17rocblas_diagonal_T1_iil.has_dyn_sized_stack, 0
	.set _ZN9rocsolver6v33100L18trti2_kernel_smallILi32EfPfEEv13rocblas_fill_17rocblas_diagonal_T1_iil.has_recursion, 0
	.set _ZN9rocsolver6v33100L18trti2_kernel_smallILi32EfPfEEv13rocblas_fill_17rocblas_diagonal_T1_iil.has_indirect_call, 0
	.section	.AMDGPU.csdata,"",@progbits
; Kernel info:
; codeLenInByte = 61824
; TotalNumSgprs: 46
; NumVgprs: 144
; ScratchSize: 0
; MemoryBound: 0
; FloatMode: 240
; IeeeMode: 1
; LDSByteSize: 256 bytes/workgroup (compile time only)
; SGPRBlocks: 0
; VGPRBlocks: 8
; NumSGPRsForWavesPerEU: 46
; NumVGPRsForWavesPerEU: 144
; NamedBarCnt: 0
; Occupancy: 7
; WaveLimiterHint : 0
; COMPUTE_PGM_RSRC2:SCRATCH_EN: 0
; COMPUTE_PGM_RSRC2:USER_SGPR: 2
; COMPUTE_PGM_RSRC2:TRAP_HANDLER: 0
; COMPUTE_PGM_RSRC2:TGID_X_EN: 1
; COMPUTE_PGM_RSRC2:TGID_Y_EN: 0
; COMPUTE_PGM_RSRC2:TGID_Z_EN: 0
; COMPUTE_PGM_RSRC2:TIDIG_COMP_CNT: 0
	.section	.text._ZN9rocsolver6v33100L18trti2_kernel_smallILi33EfPfEEv13rocblas_fill_17rocblas_diagonal_T1_iil,"axG",@progbits,_ZN9rocsolver6v33100L18trti2_kernel_smallILi33EfPfEEv13rocblas_fill_17rocblas_diagonal_T1_iil,comdat
	.globl	_ZN9rocsolver6v33100L18trti2_kernel_smallILi33EfPfEEv13rocblas_fill_17rocblas_diagonal_T1_iil ; -- Begin function _ZN9rocsolver6v33100L18trti2_kernel_smallILi33EfPfEEv13rocblas_fill_17rocblas_diagonal_T1_iil
	.p2align	8
	.type	_ZN9rocsolver6v33100L18trti2_kernel_smallILi33EfPfEEv13rocblas_fill_17rocblas_diagonal_T1_iil,@function
_ZN9rocsolver6v33100L18trti2_kernel_smallILi33EfPfEEv13rocblas_fill_17rocblas_diagonal_T1_iil: ; @_ZN9rocsolver6v33100L18trti2_kernel_smallILi33EfPfEEv13rocblas_fill_17rocblas_diagonal_T1_iil
; %bb.0:
	v_and_b32_e32 v90, 0x3ff, v0
	s_mov_b32 s4, exec_lo
	s_delay_alu instid0(VALU_DEP_1)
	v_cmpx_gt_u32_e32 33, v90
	s_cbranch_execz .LBB32_630
; %bb.1:
	s_load_b256 s[4:11], s[2:3], 0x0
	s_load_b64 s[12:13], s[0:1], 0x4
	s_wait_xcnt 0x0
	s_bfe_u32 s0, ttmp6, 0x4000c
	s_and_b32 s1, ttmp6, 15
	s_add_co_i32 s0, s0, 1
	s_getreg_b32 s2, hwreg(HW_REG_IB_STS2, 6, 4)
	s_mul_i32 s0, ttmp9, s0
	v_bfe_u32 v1, v0, 10, 10
	s_add_co_i32 s0, s1, s0
	v_dual_mov_b32 v7, 0 :: v_dual_lshlrev_b32 v6, 2, v90
	v_mov_b32_e32 v69, -1.0
	s_wait_kmcnt 0x0
	v_add3_u32 v8, s9, s9, v90
	s_lshr_b32 s12, s12, 16
	s_ashr_i32 s1, s8, 31
	s_cmp_eq_u32 s2, 0
	s_mul_i32 s12, s12, s13
	v_add_nc_u32_e32 v10, s9, v8
	s_cselect_b32 s2, ttmp9, s0
	s_mov_b32 s0, s8
	s_ashr_i32 s3, s2, 31
	s_lshl_b64 s[0:1], s[0:1], 2
	v_add_nc_u32_e32 v12, s9, v10
	s_mul_u64 s[2:3], s[10:11], s[2:3]
	v_mul_u32_u24_e32 v1, s13, v1
	s_lshl_b64 s[2:3], s[2:3], 2
	v_mul_u32_u24_e32 v9, s12, v90
	v_add_nc_u32_e32 v14, s9, v12
	s_add_nc_u64 s[2:3], s[6:7], s[2:3]
	s_delay_alu instid0(SALU_CYCLE_1) | instskip(SKIP_1) | instid1(VALU_DEP_1)
	s_add_nc_u64 s[2:3], s[2:3], s[0:1]
	s_mov_b32 s0, s9
	v_add_nc_u32_e32 v16, s9, v14
	v_add_nc_u64_e32 v[2:3], s[2:3], v[6:7]
	s_ashr_i32 s1, s9, 31
	s_clause 0x2
	global_load_b32 v62, v90, s[2:3] scale_offset
	global_load_b32 v64, v8, s[2:3] scale_offset
	;; [unrolled: 1-line block ×3, first 2 shown]
	v_add_nc_u32_e32 v18, s9, v16
	v_bfe_u32 v7, v0, 20, 10
	s_cmp_lg_u32 s5, 0x84
	v_lshl_add_u64 v[4:5], s[0:1], 2, v[2:3]
	s_cselect_b32 s6, -1, 0
	v_add_nc_u32_e32 v20, s9, v18
	s_clause 0x3
	global_load_b32 v70, v12, s[2:3] scale_offset
	global_load_b32 v71, v14, s[2:3] scale_offset
	global_load_b32 v63, v[4:5], off
	global_load_b32 v72, v16, s[2:3] scale_offset
	v_add3_u32 v68, v9, v1, v7
	v_dual_ashrrev_i32 v9, 31, v8 :: v_dual_ashrrev_i32 v19, 31, v18
	v_add_nc_u32_e32 v22, s9, v20
	v_ashrrev_i32_e32 v13, 31, v12
	s_delay_alu instid0(VALU_DEP_4)
	v_mul_lo_u32 v91, 0x84, v68
	s_cmp_eq_u32 s5, 0x84
	v_ashrrev_i32_e32 v11, 31, v10
	v_add_nc_u32_e32 v24, s9, v22
	s_clause 0x3
	global_load_b32 v73, v18, s[2:3] scale_offset
	global_load_b32 v74, v20, s[2:3] scale_offset
	;; [unrolled: 1-line block ×4, first 2 shown]
	v_ashrrev_i32_e32 v23, 31, v22
	v_dual_ashrrev_i32 v15, 31, v14 :: v_dual_add_nc_u32 v26, s9, v24
	v_add_nc_u32_e32 v7, 0x120, v91
	s_delay_alu instid0(VALU_DEP_2) | instskip(NEXT) | instid1(VALU_DEP_1)
	v_add_nc_u32_e32 v28, s9, v26
	v_add_nc_u32_e32 v30, s9, v28
	s_delay_alu instid0(VALU_DEP_1) | instskip(NEXT) | instid1(VALU_DEP_1)
	v_dual_add_nc_u32 v32, s9, v30 :: v_dual_ashrrev_i32 v17, 31, v16
	v_dual_ashrrev_i32 v27, 31, v26 :: v_dual_add_nc_u32 v34, s9, v32
	s_delay_alu instid0(VALU_DEP_1)
	v_dual_ashrrev_i32 v25, 31, v24 :: v_dual_ashrrev_i32 v35, 31, v34
	v_add_nc_u32_e32 v36, s9, v34
	s_clause 0x3
	global_load_b32 v77, v26, s[2:3] scale_offset
	global_load_b32 v78, v28, s[2:3] scale_offset
	;; [unrolled: 1-line block ×4, first 2 shown]
	v_dual_ashrrev_i32 v21, 31, v20 :: v_dual_ashrrev_i32 v31, 31, v30
	v_add_nc_u32_e32 v38, s9, v36
	s_delay_alu instid0(VALU_DEP_1) | instskip(NEXT) | instid1(VALU_DEP_1)
	v_add_nc_u32_e32 v40, s9, v38
	v_add_nc_u32_e32 v42, s9, v40
	s_delay_alu instid0(VALU_DEP_1) | instskip(NEXT) | instid1(VALU_DEP_1)
	v_dual_add_nc_u32 v44, s9, v42 :: v_dual_ashrrev_i32 v29, 31, v28
	v_dual_ashrrev_i32 v39, 31, v38 :: v_dual_add_nc_u32 v46, s9, v44
	s_delay_alu instid0(VALU_DEP_1)
	v_dual_ashrrev_i32 v37, 31, v36 :: v_dual_ashrrev_i32 v47, 31, v46
	v_add_nc_u32_e32 v48, s9, v46
	s_clause 0x4
	global_load_b32 v81, v34, s[2:3] scale_offset
	global_load_b32 v82, v36, s[2:3] scale_offset
	;; [unrolled: 1-line block ×5, first 2 shown]
	v_dual_ashrrev_i32 v33, 31, v32 :: v_dual_ashrrev_i32 v43, 31, v42
	v_add_nc_u32_e32 v50, s9, v48
	s_delay_alu instid0(VALU_DEP_1) | instskip(NEXT) | instid1(VALU_DEP_1)
	v_add_nc_u32_e32 v52, s9, v50
	v_add_nc_u32_e32 v0, s9, v52
	s_delay_alu instid0(VALU_DEP_1) | instskip(NEXT) | instid1(VALU_DEP_1)
	v_add_nc_u32_e32 v54, s9, v0
	v_dual_ashrrev_i32 v45, 31, v44 :: v_dual_ashrrev_i32 v55, 31, v54
	v_dual_add_nc_u32 v56, s9, v54 :: v_dual_ashrrev_i32 v41, 31, v40
	s_delay_alu instid0(VALU_DEP_1) | instskip(NEXT) | instid1(VALU_DEP_1)
	v_dual_ashrrev_i32 v51, 31, v50 :: v_dual_add_nc_u32 v58, s9, v56
	v_dual_ashrrev_i32 v57, 31, v56 :: v_dual_add_nc_u32 v60, s9, v58
	s_delay_alu instid0(VALU_DEP_1)
	v_ashrrev_i32_e32 v61, 31, v60
	s_wait_loadcnt 0xe
	ds_store_b128 v91, v[62:65] offset:288
	v_add_nc_u32_e32 v62, s9, v60
	s_clause 0x3
	global_load_b32 v86, v44, s[2:3] scale_offset
	global_load_b32 v87, v46, s[2:3] scale_offset
	global_load_b32 v88, v48, s[2:3] scale_offset
	global_load_b32 v89, v50, s[2:3] scale_offset
	v_dual_ashrrev_i32 v53, 31, v52 :: v_dual_ashrrev_i32 v63, 31, v62
	v_dual_add_nc_u32 v64, s9, v62 :: v_dual_ashrrev_i32 v49, 31, v48
	v_ashrrev_i32_e32 v59, 31, v58
	s_wait_loadcnt 0x10
	ds_store_b128 v91, v[70:73] offset:304
	global_load_b32 v70, v52, s[2:3] scale_offset
	v_add_nc_u32_e32 v66, s9, v64
	v_ashrrev_i32_e32 v1, 31, v0
	s_delay_alu instid0(VALU_DEP_2)
	v_dual_ashrrev_i32 v65, 31, v64 :: v_dual_ashrrev_i32 v67, 31, v66
	s_wait_loadcnt 0xd
	ds_store_b128 v91, v[74:77] offset:320
	s_clause 0x2
	global_load_b32 v71, v0, s[2:3] scale_offset
	global_load_b32 v72, v54, s[2:3] scale_offset
	;; [unrolled: 1-line block ×3, first 2 shown]
	s_wait_loadcnt 0xc
	ds_store_b128 v91, v[78:81] offset:336
	s_wait_loadcnt 0x8
	ds_store_b128 v91, v[82:85] offset:352
	s_clause 0x4
	global_load_b32 v74, v58, s[2:3] scale_offset
	global_load_b32 v75, v60, s[2:3] scale_offset
	;; [unrolled: 1-line block ×5, first 2 shown]
	s_wait_loadcnt 0x9
	ds_store_b128 v91, v[86:89] offset:368
	s_wait_loadcnt 0x5
	ds_store_b128 v91, v[70:73] offset:384
	;; [unrolled: 2-line block ×3, first 2 shown]
	s_wait_loadcnt 0x0
	ds_store_b32 v91, v78 offset:416
	s_cbranch_scc1 .LBB32_3
; %bb.2:
	v_lshl_add_u32 v70, v90, 2, v7
	ds_load_b32 v69, v70
	s_wait_dscnt 0x0
	v_div_scale_f32 v71, null, v69, v69, 1.0
	s_delay_alu instid0(VALU_DEP_1) | instskip(SKIP_1) | instid1(TRANS32_DEP_1)
	v_rcp_f32_e32 v72, v71
	v_nop
	v_fma_f32 v73, -v71, v72, 1.0
	s_delay_alu instid0(VALU_DEP_1) | instskip(SKIP_1) | instid1(VALU_DEP_1)
	v_fmac_f32_e32 v72, v73, v72
	v_div_scale_f32 v73, vcc_lo, 1.0, v69, 1.0
	v_mul_f32_e32 v74, v73, v72
	s_delay_alu instid0(VALU_DEP_1) | instskip(NEXT) | instid1(VALU_DEP_1)
	v_fma_f32 v75, -v71, v74, v73
	v_fmac_f32_e32 v74, v75, v72
	s_delay_alu instid0(VALU_DEP_1) | instskip(NEXT) | instid1(VALU_DEP_1)
	v_fma_f32 v71, -v71, v74, v73
	v_div_fmas_f32 v71, v71, v72, v74
	s_delay_alu instid0(VALU_DEP_1) | instskip(NEXT) | instid1(VALU_DEP_1)
	v_div_fixup_f32 v71, v71, v69, 1.0
	v_xor_b32_e32 v69, 0x80000000, v71
	ds_store_b32 v70, v71
.LBB32_3:
	v_add_nc_u32_e32 v92, 0x90, v6
	v_add_nc_u32_e32 v93, v7, v6
	s_cmp_eq_u32 s4, 0x79
	s_mov_b32 s1, -1
	ds_store_b32 v6, v69
	s_cbranch_scc1 .LBB32_317
; %bb.4:
	ds_load_b32 v69, v7 offset:124
	v_cmp_eq_u32_e64 s0, 32, v90
	s_wait_dscnt 0x0
	ds_store_b32 v92, v69
	s_wait_dscnt 0x0
	s_barrier_signal -1
	s_barrier_wait -1
	s_and_saveexec_b32 s1, s0
	s_cbranch_execz .LBB32_10
; %bb.5:
	s_and_b32 vcc_lo, exec_lo, s6
	s_cbranch_vccz .LBB32_7
; %bb.6:
	ds_load_b32 v69, v93
	ds_load_b32 v70, v92
	s_wait_dscnt 0x0
	v_mul_f32_e32 v69, v69, v70
	s_cbranch_execz .LBB32_8
	s_branch .LBB32_9
.LBB32_7:
                                        ; implicit-def: $vgpr69
.LBB32_8:
	ds_load_b32 v69, v92
.LBB32_9:
	v_mov_b32_e32 v70, 0
	ds_load_b32 v70, v70 offset:124
	s_wait_dscnt 0x0
	v_mul_f32_e32 v69, v69, v70
	ds_store_b32 v7, v69 offset:124
.LBB32_10:
	s_or_b32 exec_lo, exec_lo, s1
	ds_load_b32 v69, v7 offset:120
	v_cmp_lt_u32_e64 s1, 30, v90
	s_wait_dscnt 0x0
	ds_store_b32 v92, v69
	s_wait_dscnt 0x0
	s_barrier_signal -1
	s_barrier_wait -1
	s_and_saveexec_b32 s4, s1
	s_cbranch_execz .LBB32_16
; %bb.11:
	s_and_not1_b32 vcc_lo, exec_lo, s6
	s_cbranch_vccnz .LBB32_13
; %bb.12:
	ds_load_b32 v69, v93
	ds_load_b32 v70, v92
	s_wait_dscnt 0x0
	v_mul_f32_e32 v69, v69, v70
	s_cbranch_execz .LBB32_14
	s_branch .LBB32_15
.LBB32_13:
                                        ; implicit-def: $vgpr69
.LBB32_14:
	ds_load_b32 v69, v92
.LBB32_15:
	v_mov_b32_e32 v70, 0
	ds_load_b32 v72, v7 offset:124
	ds_load_2addr_b32 v[70:71], v70 offset0:30 offset1:67
	s_wait_dscnt 0x0
	v_fma_f32 v71, v72, v71, v69
	s_delay_alu instid0(VALU_DEP_1) | instskip(NEXT) | instid1(VALU_DEP_1)
	v_cndmask_b32_e64 v69, v69, v71, s0
	v_mul_f32_e32 v69, v69, v70
	ds_store_b32 v7, v69 offset:120
.LBB32_16:
	s_or_b32 exec_lo, exec_lo, s4
	ds_load_b32 v69, v7 offset:116
	v_cmp_lt_u32_e64 s0, 29, v90
	s_wait_dscnt 0x0
	ds_store_b32 v92, v69
	s_wait_dscnt 0x0
	s_barrier_signal -1
	s_barrier_wait -1
	s_and_saveexec_b32 s4, s0
	s_cbranch_execz .LBB32_26
; %bb.17:
	s_and_not1_b32 vcc_lo, exec_lo, s6
	s_cbranch_vccnz .LBB32_19
; %bb.18:
	ds_load_b32 v69, v93
	ds_load_b32 v70, v92
	s_wait_dscnt 0x0
	v_mul_f32_e32 v69, v69, v70
	s_cbranch_execz .LBB32_20
	s_branch .LBB32_21
.LBB32_19:
                                        ; implicit-def: $vgpr69
.LBB32_20:
	ds_load_b32 v69, v92
.LBB32_21:
	s_and_saveexec_b32 s5, s1
	s_cbranch_execz .LBB32_25
; %bb.22:
	s_movk_i32 s1, 0x84
	v_subrev_nc_u32_e32 v71, 30, v90
	v_mad_u32 v70, v68, s1, 0x198
	s_movk_i32 s7, 0x108
	s_mov_b32 s1, 0
.LBB32_23:                              ; =>This Inner Loop Header: Depth=1
	s_delay_alu instid0(VALU_DEP_2)
	v_dual_mov_b32 v72, s7 :: v_dual_add_nc_u32 v71, -1, v71
	s_add_co_i32 s7, s7, 4
	ds_load_b32 v73, v70
	ds_load_b32 v72, v72
	v_add_nc_u32_e32 v70, 4, v70
	v_cmp_eq_u32_e32 vcc_lo, 0, v71
	s_or_b32 s1, vcc_lo, s1
	s_wait_dscnt 0x0
	v_fmac_f32_e32 v69, v73, v72
	s_and_not1_b32 exec_lo, exec_lo, s1
	s_cbranch_execnz .LBB32_23
; %bb.24:
	s_or_b32 exec_lo, exec_lo, s1
.LBB32_25:
	s_delay_alu instid0(SALU_CYCLE_1)
	s_or_b32 exec_lo, exec_lo, s5
	v_mov_b32_e32 v70, 0
	ds_load_b32 v70, v70 offset:116
	s_wait_dscnt 0x0
	v_mul_f32_e32 v69, v69, v70
	ds_store_b32 v7, v69 offset:116
.LBB32_26:
	s_or_b32 exec_lo, exec_lo, s4
	ds_load_b32 v69, v7 offset:112
	v_cmp_lt_u32_e64 s1, 28, v90
	s_wait_dscnt 0x0
	ds_store_b32 v92, v69
	s_wait_dscnt 0x0
	s_barrier_signal -1
	s_barrier_wait -1
	s_and_saveexec_b32 s4, s1
	s_cbranch_execz .LBB32_36
; %bb.27:
	s_and_not1_b32 vcc_lo, exec_lo, s6
	s_cbranch_vccnz .LBB32_29
; %bb.28:
	ds_load_b32 v69, v93
	ds_load_b32 v70, v92
	s_wait_dscnt 0x0
	v_mul_f32_e32 v69, v69, v70
	s_cbranch_execz .LBB32_30
	s_branch .LBB32_31
.LBB32_29:
                                        ; implicit-def: $vgpr69
.LBB32_30:
	ds_load_b32 v69, v92
.LBB32_31:
	s_and_saveexec_b32 s5, s0
	s_cbranch_execz .LBB32_35
; %bb.32:
	s_movk_i32 s0, 0x84
	v_subrev_nc_u32_e32 v71, 29, v90
	v_mad_u32 v70, v68, s0, 0x194
	s_movk_i32 s7, 0x104
	s_mov_b32 s0, 0
.LBB32_33:                              ; =>This Inner Loop Header: Depth=1
	s_delay_alu instid0(VALU_DEP_2)
	v_dual_mov_b32 v72, s7 :: v_dual_add_nc_u32 v71, -1, v71
	s_add_co_i32 s7, s7, 4
	ds_load_b32 v73, v70
	ds_load_b32 v72, v72
	v_add_nc_u32_e32 v70, 4, v70
	v_cmp_eq_u32_e32 vcc_lo, 0, v71
	s_or_b32 s0, vcc_lo, s0
	s_wait_dscnt 0x0
	v_fmac_f32_e32 v69, v73, v72
	s_and_not1_b32 exec_lo, exec_lo, s0
	s_cbranch_execnz .LBB32_33
; %bb.34:
	s_or_b32 exec_lo, exec_lo, s0
.LBB32_35:
	s_delay_alu instid0(SALU_CYCLE_1)
	s_or_b32 exec_lo, exec_lo, s5
	v_mov_b32_e32 v70, 0
	ds_load_b32 v70, v70 offset:112
	s_wait_dscnt 0x0
	v_mul_f32_e32 v69, v69, v70
	ds_store_b32 v7, v69 offset:112
.LBB32_36:
	;; [unrolled: 57-line block ×8, first 2 shown]
	s_or_b32 exec_lo, exec_lo, s4
	ds_load_b32 v69, v7 offset:84
	v_cmp_lt_u32_e64 s0, 21, v90
	s_wait_dscnt 0x0
	ds_store_b32 v92, v69
	s_wait_dscnt 0x0
	s_barrier_signal -1
	s_barrier_wait -1
	s_and_saveexec_b32 s4, s0
	s_cbranch_execz .LBB32_106
; %bb.97:
	s_and_not1_b32 vcc_lo, exec_lo, s6
	s_cbranch_vccnz .LBB32_99
; %bb.98:
	ds_load_b32 v69, v93
	ds_load_b32 v70, v92
	s_wait_dscnt 0x0
	v_mul_f32_e32 v69, v69, v70
	s_cbranch_execz .LBB32_100
	s_branch .LBB32_101
.LBB32_99:
                                        ; implicit-def: $vgpr69
.LBB32_100:
	ds_load_b32 v69, v92
.LBB32_101:
	s_and_saveexec_b32 s5, s1
	s_cbranch_execz .LBB32_105
; %bb.102:
	s_movk_i32 s1, 0x84
	v_subrev_nc_u32_e32 v71, 22, v90
	v_mad_u32 v70, v68, s1, 0x178
	s_movk_i32 s7, 0xe8
	s_mov_b32 s1, 0
.LBB32_103:                             ; =>This Inner Loop Header: Depth=1
	s_delay_alu instid0(VALU_DEP_2)
	v_dual_mov_b32 v72, s7 :: v_dual_add_nc_u32 v71, -1, v71
	s_add_co_i32 s7, s7, 4
	ds_load_b32 v73, v70
	ds_load_b32 v72, v72
	v_add_nc_u32_e32 v70, 4, v70
	v_cmp_eq_u32_e32 vcc_lo, 0, v71
	s_or_b32 s1, vcc_lo, s1
	s_wait_dscnt 0x0
	v_fmac_f32_e32 v69, v73, v72
	s_and_not1_b32 exec_lo, exec_lo, s1
	s_cbranch_execnz .LBB32_103
; %bb.104:
	s_or_b32 exec_lo, exec_lo, s1
.LBB32_105:
	s_delay_alu instid0(SALU_CYCLE_1)
	s_or_b32 exec_lo, exec_lo, s5
	v_mov_b32_e32 v70, 0
	ds_load_b32 v70, v70 offset:84
	s_wait_dscnt 0x0
	v_mul_f32_e32 v69, v69, v70
	ds_store_b32 v7, v69 offset:84
.LBB32_106:
	s_or_b32 exec_lo, exec_lo, s4
	ds_load_b32 v69, v7 offset:80
	v_cmp_lt_u32_e64 s1, 20, v90
	s_wait_dscnt 0x0
	ds_store_b32 v92, v69
	s_wait_dscnt 0x0
	s_barrier_signal -1
	s_barrier_wait -1
	s_and_saveexec_b32 s4, s1
	s_cbranch_execz .LBB32_116
; %bb.107:
	s_and_not1_b32 vcc_lo, exec_lo, s6
	s_cbranch_vccnz .LBB32_109
; %bb.108:
	ds_load_b32 v69, v93
	ds_load_b32 v70, v92
	s_wait_dscnt 0x0
	v_mul_f32_e32 v69, v69, v70
	s_cbranch_execz .LBB32_110
	s_branch .LBB32_111
.LBB32_109:
                                        ; implicit-def: $vgpr69
.LBB32_110:
	ds_load_b32 v69, v92
.LBB32_111:
	s_and_saveexec_b32 s5, s0
	s_cbranch_execz .LBB32_115
; %bb.112:
	s_movk_i32 s0, 0x84
	v_subrev_nc_u32_e32 v71, 21, v90
	v_mad_u32 v70, v68, s0, 0x174
	s_movk_i32 s7, 0xe4
	s_mov_b32 s0, 0
.LBB32_113:                             ; =>This Inner Loop Header: Depth=1
	s_delay_alu instid0(VALU_DEP_2)
	v_dual_mov_b32 v72, s7 :: v_dual_add_nc_u32 v71, -1, v71
	s_add_co_i32 s7, s7, 4
	ds_load_b32 v73, v70
	ds_load_b32 v72, v72
	v_add_nc_u32_e32 v70, 4, v70
	v_cmp_eq_u32_e32 vcc_lo, 0, v71
	s_or_b32 s0, vcc_lo, s0
	s_wait_dscnt 0x0
	v_fmac_f32_e32 v69, v73, v72
	s_and_not1_b32 exec_lo, exec_lo, s0
	s_cbranch_execnz .LBB32_113
; %bb.114:
	s_or_b32 exec_lo, exec_lo, s0
.LBB32_115:
	s_delay_alu instid0(SALU_CYCLE_1)
	s_or_b32 exec_lo, exec_lo, s5
	v_mov_b32_e32 v70, 0
	ds_load_b32 v70, v70 offset:80
	s_wait_dscnt 0x0
	v_mul_f32_e32 v69, v69, v70
	ds_store_b32 v7, v69 offset:80
.LBB32_116:
	;; [unrolled: 57-line block ×6, first 2 shown]
	s_or_b32 exec_lo, exec_lo, s4
	ds_load_b32 v69, v7 offset:60
	v_cmp_lt_u32_e64 s0, 15, v90
	s_wait_dscnt 0x0
	ds_store_b32 v92, v69
	s_wait_dscnt 0x0
	s_barrier_signal -1
	s_barrier_wait -1
	s_and_saveexec_b32 s4, s0
	s_cbranch_execz .LBB32_166
; %bb.157:
	s_and_not1_b32 vcc_lo, exec_lo, s6
	s_cbranch_vccnz .LBB32_159
; %bb.158:
	ds_load_b32 v69, v93
	ds_load_b32 v70, v92
	s_wait_dscnt 0x0
	v_mul_f32_e32 v69, v69, v70
	s_cbranch_execz .LBB32_160
	s_branch .LBB32_161
.LBB32_159:
                                        ; implicit-def: $vgpr69
.LBB32_160:
	ds_load_b32 v69, v92
.LBB32_161:
	s_and_saveexec_b32 s5, s1
	s_cbranch_execz .LBB32_165
; %bb.162:
	s_movk_i32 s1, 0x84
	v_add_nc_u32_e32 v71, -16, v90
	v_mad_u32 v70, v68, s1, 0x160
	s_movk_i32 s7, 0xd0
	s_mov_b32 s1, 0
.LBB32_163:                             ; =>This Inner Loop Header: Depth=1
	s_delay_alu instid0(VALU_DEP_2)
	v_dual_mov_b32 v72, s7 :: v_dual_add_nc_u32 v71, -1, v71
	s_add_co_i32 s7, s7, 4
	ds_load_b32 v73, v70
	ds_load_b32 v72, v72
	v_add_nc_u32_e32 v70, 4, v70
	v_cmp_eq_u32_e32 vcc_lo, 0, v71
	s_or_b32 s1, vcc_lo, s1
	s_wait_dscnt 0x0
	v_fmac_f32_e32 v69, v73, v72
	s_and_not1_b32 exec_lo, exec_lo, s1
	s_cbranch_execnz .LBB32_163
; %bb.164:
	s_or_b32 exec_lo, exec_lo, s1
.LBB32_165:
	s_delay_alu instid0(SALU_CYCLE_1)
	s_or_b32 exec_lo, exec_lo, s5
	v_mov_b32_e32 v70, 0
	ds_load_b32 v70, v70 offset:60
	s_wait_dscnt 0x0
	v_mul_f32_e32 v69, v69, v70
	ds_store_b32 v7, v69 offset:60
.LBB32_166:
	s_or_b32 exec_lo, exec_lo, s4
	ds_load_b32 v69, v7 offset:56
	v_cmp_lt_u32_e64 s1, 14, v90
	s_wait_dscnt 0x0
	ds_store_b32 v92, v69
	s_wait_dscnt 0x0
	s_barrier_signal -1
	s_barrier_wait -1
	s_and_saveexec_b32 s4, s1
	s_cbranch_execz .LBB32_176
; %bb.167:
	s_and_not1_b32 vcc_lo, exec_lo, s6
	s_cbranch_vccnz .LBB32_169
; %bb.168:
	ds_load_b32 v69, v93
	ds_load_b32 v70, v92
	s_wait_dscnt 0x0
	v_mul_f32_e32 v69, v69, v70
	s_cbranch_execz .LBB32_170
	s_branch .LBB32_171
.LBB32_169:
                                        ; implicit-def: $vgpr69
.LBB32_170:
	ds_load_b32 v69, v92
.LBB32_171:
	s_and_saveexec_b32 s5, s0
	s_cbranch_execz .LBB32_175
; %bb.172:
	s_movk_i32 s0, 0x84
	v_add_nc_u32_e32 v71, -15, v90
	v_mad_u32 v70, v68, s0, 0x15c
	s_movk_i32 s7, 0xcc
	s_mov_b32 s0, 0
.LBB32_173:                             ; =>This Inner Loop Header: Depth=1
	s_delay_alu instid0(VALU_DEP_2)
	v_dual_mov_b32 v72, s7 :: v_dual_add_nc_u32 v71, -1, v71
	s_add_co_i32 s7, s7, 4
	ds_load_b32 v73, v70
	ds_load_b32 v72, v72
	v_add_nc_u32_e32 v70, 4, v70
	v_cmp_eq_u32_e32 vcc_lo, 0, v71
	s_or_b32 s0, vcc_lo, s0
	s_wait_dscnt 0x0
	v_fmac_f32_e32 v69, v73, v72
	s_and_not1_b32 exec_lo, exec_lo, s0
	s_cbranch_execnz .LBB32_173
; %bb.174:
	s_or_b32 exec_lo, exec_lo, s0
.LBB32_175:
	s_delay_alu instid0(SALU_CYCLE_1)
	s_or_b32 exec_lo, exec_lo, s5
	v_mov_b32_e32 v70, 0
	ds_load_b32 v70, v70 offset:56
	s_wait_dscnt 0x0
	v_mul_f32_e32 v69, v69, v70
	ds_store_b32 v7, v69 offset:56
.LBB32_176:
	s_or_b32 exec_lo, exec_lo, s4
	ds_load_b32 v69, v7 offset:52
	v_cmp_lt_u32_e64 s0, 13, v90
	s_wait_dscnt 0x0
	ds_store_b32 v92, v69
	s_wait_dscnt 0x0
	s_barrier_signal -1
	s_barrier_wait -1
	s_and_saveexec_b32 s4, s0
	s_cbranch_execz .LBB32_186
; %bb.177:
	s_and_not1_b32 vcc_lo, exec_lo, s6
	s_cbranch_vccnz .LBB32_179
; %bb.178:
	ds_load_b32 v69, v93
	ds_load_b32 v70, v92
	s_wait_dscnt 0x0
	v_mul_f32_e32 v69, v69, v70
	s_cbranch_execz .LBB32_180
	s_branch .LBB32_181
.LBB32_179:
                                        ; implicit-def: $vgpr69
.LBB32_180:
	ds_load_b32 v69, v92
.LBB32_181:
	s_and_saveexec_b32 s5, s1
	s_cbranch_execz .LBB32_185
; %bb.182:
	s_movk_i32 s1, 0x84
	v_add_nc_u32_e32 v71, -14, v90
	v_mad_u32 v70, v68, s1, 0x158
	s_movk_i32 s7, 0xc8
	s_mov_b32 s1, 0
.LBB32_183:                             ; =>This Inner Loop Header: Depth=1
	s_delay_alu instid0(VALU_DEP_2)
	v_dual_mov_b32 v72, s7 :: v_dual_add_nc_u32 v71, -1, v71
	s_add_co_i32 s7, s7, 4
	ds_load_b32 v73, v70
	ds_load_b32 v72, v72
	v_add_nc_u32_e32 v70, 4, v70
	v_cmp_eq_u32_e32 vcc_lo, 0, v71
	s_or_b32 s1, vcc_lo, s1
	s_wait_dscnt 0x0
	v_fmac_f32_e32 v69, v73, v72
	s_and_not1_b32 exec_lo, exec_lo, s1
	s_cbranch_execnz .LBB32_183
; %bb.184:
	s_or_b32 exec_lo, exec_lo, s1
.LBB32_185:
	s_delay_alu instid0(SALU_CYCLE_1)
	s_or_b32 exec_lo, exec_lo, s5
	v_mov_b32_e32 v70, 0
	ds_load_b32 v70, v70 offset:52
	s_wait_dscnt 0x0
	v_mul_f32_e32 v69, v69, v70
	ds_store_b32 v7, v69 offset:52
.LBB32_186:
	s_or_b32 exec_lo, exec_lo, s4
	ds_load_b32 v69, v7 offset:48
	v_cmp_lt_u32_e64 s1, 12, v90
	s_wait_dscnt 0x0
	ds_store_b32 v92, v69
	s_wait_dscnt 0x0
	s_barrier_signal -1
	s_barrier_wait -1
	s_and_saveexec_b32 s4, s1
	s_cbranch_execz .LBB32_196
; %bb.187:
	s_and_not1_b32 vcc_lo, exec_lo, s6
	s_cbranch_vccnz .LBB32_189
; %bb.188:
	ds_load_b32 v69, v93
	ds_load_b32 v70, v92
	s_wait_dscnt 0x0
	v_mul_f32_e32 v69, v69, v70
	s_cbranch_execz .LBB32_190
	s_branch .LBB32_191
.LBB32_189:
                                        ; implicit-def: $vgpr69
.LBB32_190:
	ds_load_b32 v69, v92
.LBB32_191:
	s_and_saveexec_b32 s5, s0
	s_cbranch_execz .LBB32_195
; %bb.192:
	s_movk_i32 s0, 0x84
	v_add_nc_u32_e32 v71, -13, v90
	v_mad_u32 v70, v68, s0, 0x154
	s_movk_i32 s7, 0xc4
	s_mov_b32 s0, 0
.LBB32_193:                             ; =>This Inner Loop Header: Depth=1
	s_delay_alu instid0(VALU_DEP_2)
	v_dual_mov_b32 v72, s7 :: v_dual_add_nc_u32 v71, -1, v71
	s_add_co_i32 s7, s7, 4
	ds_load_b32 v73, v70
	ds_load_b32 v72, v72
	v_add_nc_u32_e32 v70, 4, v70
	v_cmp_eq_u32_e32 vcc_lo, 0, v71
	s_or_b32 s0, vcc_lo, s0
	s_wait_dscnt 0x0
	v_fmac_f32_e32 v69, v73, v72
	s_and_not1_b32 exec_lo, exec_lo, s0
	s_cbranch_execnz .LBB32_193
; %bb.194:
	s_or_b32 exec_lo, exec_lo, s0
.LBB32_195:
	s_delay_alu instid0(SALU_CYCLE_1)
	s_or_b32 exec_lo, exec_lo, s5
	v_mov_b32_e32 v70, 0
	ds_load_b32 v70, v70 offset:48
	s_wait_dscnt 0x0
	v_mul_f32_e32 v69, v69, v70
	ds_store_b32 v7, v69 offset:48
.LBB32_196:
	s_or_b32 exec_lo, exec_lo, s4
	ds_load_b32 v69, v7 offset:44
	v_cmp_lt_u32_e64 s0, 11, v90
	s_wait_dscnt 0x0
	ds_store_b32 v92, v69
	s_wait_dscnt 0x0
	s_barrier_signal -1
	s_barrier_wait -1
	s_and_saveexec_b32 s4, s0
	s_cbranch_execz .LBB32_206
; %bb.197:
	s_and_not1_b32 vcc_lo, exec_lo, s6
	s_cbranch_vccnz .LBB32_199
; %bb.198:
	ds_load_b32 v69, v93
	ds_load_b32 v70, v92
	s_wait_dscnt 0x0
	v_mul_f32_e32 v69, v69, v70
	s_cbranch_execz .LBB32_200
	s_branch .LBB32_201
.LBB32_199:
                                        ; implicit-def: $vgpr69
.LBB32_200:
	ds_load_b32 v69, v92
.LBB32_201:
	s_and_saveexec_b32 s5, s1
	s_cbranch_execz .LBB32_205
; %bb.202:
	s_movk_i32 s1, 0x84
	v_add_nc_u32_e32 v71, -12, v90
	v_mad_u32 v70, v68, s1, 0x150
	s_movk_i32 s7, 0xc0
	s_mov_b32 s1, 0
.LBB32_203:                             ; =>This Inner Loop Header: Depth=1
	s_delay_alu instid0(VALU_DEP_2)
	v_dual_mov_b32 v72, s7 :: v_dual_add_nc_u32 v71, -1, v71
	s_add_co_i32 s7, s7, 4
	ds_load_b32 v73, v70
	ds_load_b32 v72, v72
	v_add_nc_u32_e32 v70, 4, v70
	v_cmp_eq_u32_e32 vcc_lo, 0, v71
	s_or_b32 s1, vcc_lo, s1
	s_wait_dscnt 0x0
	v_fmac_f32_e32 v69, v73, v72
	s_and_not1_b32 exec_lo, exec_lo, s1
	s_cbranch_execnz .LBB32_203
; %bb.204:
	s_or_b32 exec_lo, exec_lo, s1
.LBB32_205:
	s_delay_alu instid0(SALU_CYCLE_1)
	s_or_b32 exec_lo, exec_lo, s5
	v_mov_b32_e32 v70, 0
	ds_load_b32 v70, v70 offset:44
	s_wait_dscnt 0x0
	v_mul_f32_e32 v69, v69, v70
	ds_store_b32 v7, v69 offset:44
.LBB32_206:
	s_or_b32 exec_lo, exec_lo, s4
	ds_load_b32 v69, v7 offset:40
	v_cmp_lt_u32_e64 s1, 10, v90
	s_wait_dscnt 0x0
	ds_store_b32 v92, v69
	s_wait_dscnt 0x0
	s_barrier_signal -1
	s_barrier_wait -1
	s_and_saveexec_b32 s4, s1
	s_cbranch_execz .LBB32_216
; %bb.207:
	s_and_not1_b32 vcc_lo, exec_lo, s6
	s_cbranch_vccnz .LBB32_209
; %bb.208:
	ds_load_b32 v69, v93
	ds_load_b32 v70, v92
	s_wait_dscnt 0x0
	v_mul_f32_e32 v69, v69, v70
	s_cbranch_execz .LBB32_210
	s_branch .LBB32_211
.LBB32_209:
                                        ; implicit-def: $vgpr69
.LBB32_210:
	ds_load_b32 v69, v92
.LBB32_211:
	s_and_saveexec_b32 s5, s0
	s_cbranch_execz .LBB32_215
; %bb.212:
	s_movk_i32 s0, 0x84
	v_add_nc_u32_e32 v71, -11, v90
	v_mad_u32 v70, v68, s0, 0x14c
	s_movk_i32 s7, 0xbc
	s_mov_b32 s0, 0
.LBB32_213:                             ; =>This Inner Loop Header: Depth=1
	s_delay_alu instid0(VALU_DEP_2)
	v_dual_mov_b32 v72, s7 :: v_dual_add_nc_u32 v71, -1, v71
	s_add_co_i32 s7, s7, 4
	ds_load_b32 v73, v70
	ds_load_b32 v72, v72
	v_add_nc_u32_e32 v70, 4, v70
	v_cmp_eq_u32_e32 vcc_lo, 0, v71
	s_or_b32 s0, vcc_lo, s0
	s_wait_dscnt 0x0
	v_fmac_f32_e32 v69, v73, v72
	s_and_not1_b32 exec_lo, exec_lo, s0
	s_cbranch_execnz .LBB32_213
; %bb.214:
	s_or_b32 exec_lo, exec_lo, s0
.LBB32_215:
	s_delay_alu instid0(SALU_CYCLE_1)
	s_or_b32 exec_lo, exec_lo, s5
	v_mov_b32_e32 v70, 0
	ds_load_b32 v70, v70 offset:40
	s_wait_dscnt 0x0
	v_mul_f32_e32 v69, v69, v70
	ds_store_b32 v7, v69 offset:40
.LBB32_216:
	s_or_b32 exec_lo, exec_lo, s4
	ds_load_b32 v69, v7 offset:36
	v_cmp_lt_u32_e64 s0, 9, v90
	s_wait_dscnt 0x0
	ds_store_b32 v92, v69
	s_wait_dscnt 0x0
	s_barrier_signal -1
	s_barrier_wait -1
	s_and_saveexec_b32 s4, s0
	s_cbranch_execz .LBB32_226
; %bb.217:
	s_and_not1_b32 vcc_lo, exec_lo, s6
	s_cbranch_vccnz .LBB32_219
; %bb.218:
	ds_load_b32 v69, v93
	ds_load_b32 v70, v92
	s_wait_dscnt 0x0
	v_mul_f32_e32 v69, v69, v70
	s_cbranch_execz .LBB32_220
	s_branch .LBB32_221
.LBB32_219:
                                        ; implicit-def: $vgpr69
.LBB32_220:
	ds_load_b32 v69, v92
.LBB32_221:
	s_and_saveexec_b32 s5, s1
	s_cbranch_execz .LBB32_225
; %bb.222:
	s_movk_i32 s1, 0x84
	v_add_nc_u32_e32 v71, -10, v90
	v_mad_u32 v70, v68, s1, 0x148
	s_movk_i32 s7, 0xb8
	s_mov_b32 s1, 0
.LBB32_223:                             ; =>This Inner Loop Header: Depth=1
	s_delay_alu instid0(VALU_DEP_2)
	v_dual_mov_b32 v72, s7 :: v_dual_add_nc_u32 v71, -1, v71
	s_add_co_i32 s7, s7, 4
	ds_load_b32 v73, v70
	ds_load_b32 v72, v72
	v_add_nc_u32_e32 v70, 4, v70
	v_cmp_eq_u32_e32 vcc_lo, 0, v71
	s_or_b32 s1, vcc_lo, s1
	s_wait_dscnt 0x0
	v_fmac_f32_e32 v69, v73, v72
	s_and_not1_b32 exec_lo, exec_lo, s1
	s_cbranch_execnz .LBB32_223
; %bb.224:
	s_or_b32 exec_lo, exec_lo, s1
.LBB32_225:
	s_delay_alu instid0(SALU_CYCLE_1)
	s_or_b32 exec_lo, exec_lo, s5
	v_mov_b32_e32 v70, 0
	ds_load_b32 v70, v70 offset:36
	s_wait_dscnt 0x0
	v_mul_f32_e32 v69, v69, v70
	ds_store_b32 v7, v69 offset:36
.LBB32_226:
	s_or_b32 exec_lo, exec_lo, s4
	ds_load_b32 v69, v7 offset:32
	v_cmp_lt_u32_e64 s1, 8, v90
	s_wait_dscnt 0x0
	ds_store_b32 v92, v69
	s_wait_dscnt 0x0
	s_barrier_signal -1
	s_barrier_wait -1
	s_and_saveexec_b32 s4, s1
	s_cbranch_execz .LBB32_236
; %bb.227:
	s_and_not1_b32 vcc_lo, exec_lo, s6
	s_cbranch_vccnz .LBB32_229
; %bb.228:
	ds_load_b32 v69, v93
	ds_load_b32 v70, v92
	s_wait_dscnt 0x0
	v_mul_f32_e32 v69, v69, v70
	s_cbranch_execz .LBB32_230
	s_branch .LBB32_231
.LBB32_229:
                                        ; implicit-def: $vgpr69
.LBB32_230:
	ds_load_b32 v69, v92
.LBB32_231:
	s_and_saveexec_b32 s5, s0
	s_cbranch_execz .LBB32_235
; %bb.232:
	s_movk_i32 s0, 0x84
	v_add_nc_u32_e32 v71, -9, v90
	v_mad_u32 v70, v68, s0, 0x144
	s_movk_i32 s7, 0xb4
	s_mov_b32 s0, 0
.LBB32_233:                             ; =>This Inner Loop Header: Depth=1
	s_delay_alu instid0(VALU_DEP_2)
	v_dual_mov_b32 v72, s7 :: v_dual_add_nc_u32 v71, -1, v71
	s_add_co_i32 s7, s7, 4
	ds_load_b32 v73, v70
	ds_load_b32 v72, v72
	v_add_nc_u32_e32 v70, 4, v70
	v_cmp_eq_u32_e32 vcc_lo, 0, v71
	s_or_b32 s0, vcc_lo, s0
	s_wait_dscnt 0x0
	v_fmac_f32_e32 v69, v73, v72
	s_and_not1_b32 exec_lo, exec_lo, s0
	s_cbranch_execnz .LBB32_233
; %bb.234:
	s_or_b32 exec_lo, exec_lo, s0
.LBB32_235:
	s_delay_alu instid0(SALU_CYCLE_1)
	s_or_b32 exec_lo, exec_lo, s5
	v_mov_b32_e32 v70, 0
	ds_load_b32 v70, v70 offset:32
	s_wait_dscnt 0x0
	v_mul_f32_e32 v69, v69, v70
	ds_store_b32 v7, v69 offset:32
.LBB32_236:
	s_or_b32 exec_lo, exec_lo, s4
	ds_load_b32 v69, v7 offset:28
	v_cmp_lt_u32_e64 s0, 7, v90
	s_wait_dscnt 0x0
	ds_store_b32 v92, v69
	s_wait_dscnt 0x0
	s_barrier_signal -1
	s_barrier_wait -1
	s_and_saveexec_b32 s4, s0
	s_cbranch_execz .LBB32_246
; %bb.237:
	s_and_not1_b32 vcc_lo, exec_lo, s6
	s_cbranch_vccnz .LBB32_239
; %bb.238:
	ds_load_b32 v69, v93
	ds_load_b32 v70, v92
	s_wait_dscnt 0x0
	v_mul_f32_e32 v69, v69, v70
	s_cbranch_execz .LBB32_240
	s_branch .LBB32_241
.LBB32_239:
                                        ; implicit-def: $vgpr69
.LBB32_240:
	ds_load_b32 v69, v92
.LBB32_241:
	s_and_saveexec_b32 s5, s1
	s_cbranch_execz .LBB32_245
; %bb.242:
	s_movk_i32 s1, 0x84
	v_add_nc_u32_e32 v71, -8, v90
	v_mad_u32 v70, v68, s1, 0x140
	s_movk_i32 s7, 0xb0
	s_mov_b32 s1, 0
.LBB32_243:                             ; =>This Inner Loop Header: Depth=1
	s_delay_alu instid0(VALU_DEP_2)
	v_dual_mov_b32 v72, s7 :: v_dual_add_nc_u32 v71, -1, v71
	s_add_co_i32 s7, s7, 4
	ds_load_b32 v73, v70
	ds_load_b32 v72, v72
	v_add_nc_u32_e32 v70, 4, v70
	v_cmp_eq_u32_e32 vcc_lo, 0, v71
	s_or_b32 s1, vcc_lo, s1
	s_wait_dscnt 0x0
	v_fmac_f32_e32 v69, v73, v72
	s_and_not1_b32 exec_lo, exec_lo, s1
	s_cbranch_execnz .LBB32_243
; %bb.244:
	s_or_b32 exec_lo, exec_lo, s1
.LBB32_245:
	s_delay_alu instid0(SALU_CYCLE_1)
	s_or_b32 exec_lo, exec_lo, s5
	v_mov_b32_e32 v70, 0
	ds_load_b32 v70, v70 offset:28
	s_wait_dscnt 0x0
	v_mul_f32_e32 v69, v69, v70
	ds_store_b32 v7, v69 offset:28
.LBB32_246:
	s_or_b32 exec_lo, exec_lo, s4
	ds_load_b32 v69, v7 offset:24
	v_cmp_lt_u32_e64 s1, 6, v90
	s_wait_dscnt 0x0
	ds_store_b32 v92, v69
	s_wait_dscnt 0x0
	s_barrier_signal -1
	s_barrier_wait -1
	s_and_saveexec_b32 s4, s1
	s_cbranch_execz .LBB32_256
; %bb.247:
	s_and_not1_b32 vcc_lo, exec_lo, s6
	s_cbranch_vccnz .LBB32_249
; %bb.248:
	ds_load_b32 v69, v93
	ds_load_b32 v70, v92
	s_wait_dscnt 0x0
	v_mul_f32_e32 v69, v69, v70
	s_cbranch_execz .LBB32_250
	s_branch .LBB32_251
.LBB32_249:
                                        ; implicit-def: $vgpr69
.LBB32_250:
	ds_load_b32 v69, v92
.LBB32_251:
	s_and_saveexec_b32 s5, s0
	s_cbranch_execz .LBB32_255
; %bb.252:
	s_movk_i32 s0, 0x84
	v_add_nc_u32_e32 v71, -7, v90
	v_mad_u32 v70, v68, s0, 0x13c
	s_movk_i32 s7, 0xac
	s_mov_b32 s0, 0
.LBB32_253:                             ; =>This Inner Loop Header: Depth=1
	s_delay_alu instid0(VALU_DEP_2)
	v_dual_mov_b32 v72, s7 :: v_dual_add_nc_u32 v71, -1, v71
	s_add_co_i32 s7, s7, 4
	ds_load_b32 v73, v70
	ds_load_b32 v72, v72
	v_add_nc_u32_e32 v70, 4, v70
	v_cmp_eq_u32_e32 vcc_lo, 0, v71
	s_or_b32 s0, vcc_lo, s0
	s_wait_dscnt 0x0
	v_fmac_f32_e32 v69, v73, v72
	s_and_not1_b32 exec_lo, exec_lo, s0
	s_cbranch_execnz .LBB32_253
; %bb.254:
	s_or_b32 exec_lo, exec_lo, s0
.LBB32_255:
	s_delay_alu instid0(SALU_CYCLE_1)
	s_or_b32 exec_lo, exec_lo, s5
	v_mov_b32_e32 v70, 0
	ds_load_b32 v70, v70 offset:24
	s_wait_dscnt 0x0
	v_mul_f32_e32 v69, v69, v70
	ds_store_b32 v7, v69 offset:24
.LBB32_256:
	s_or_b32 exec_lo, exec_lo, s4
	ds_load_b32 v69, v7 offset:20
	v_cmp_lt_u32_e64 s0, 5, v90
	s_wait_dscnt 0x0
	ds_store_b32 v92, v69
	s_wait_dscnt 0x0
	s_barrier_signal -1
	s_barrier_wait -1
	s_and_saveexec_b32 s4, s0
	s_cbranch_execz .LBB32_266
; %bb.257:
	s_and_not1_b32 vcc_lo, exec_lo, s6
	s_cbranch_vccnz .LBB32_259
; %bb.258:
	ds_load_b32 v69, v93
	ds_load_b32 v70, v92
	s_wait_dscnt 0x0
	v_mul_f32_e32 v69, v69, v70
	s_cbranch_execz .LBB32_260
	s_branch .LBB32_261
.LBB32_259:
                                        ; implicit-def: $vgpr69
.LBB32_260:
	ds_load_b32 v69, v92
.LBB32_261:
	s_and_saveexec_b32 s5, s1
	s_cbranch_execz .LBB32_265
; %bb.262:
	s_movk_i32 s1, 0x84
	v_add_nc_u32_e32 v71, -6, v90
	v_mad_u32 v70, v68, s1, 0x138
	s_movk_i32 s7, 0xa8
	s_mov_b32 s1, 0
.LBB32_263:                             ; =>This Inner Loop Header: Depth=1
	s_delay_alu instid0(VALU_DEP_2)
	v_dual_mov_b32 v72, s7 :: v_dual_add_nc_u32 v71, -1, v71
	s_add_co_i32 s7, s7, 4
	ds_load_b32 v73, v70
	ds_load_b32 v72, v72
	v_add_nc_u32_e32 v70, 4, v70
	v_cmp_eq_u32_e32 vcc_lo, 0, v71
	s_or_b32 s1, vcc_lo, s1
	s_wait_dscnt 0x0
	v_fmac_f32_e32 v69, v73, v72
	s_and_not1_b32 exec_lo, exec_lo, s1
	s_cbranch_execnz .LBB32_263
; %bb.264:
	s_or_b32 exec_lo, exec_lo, s1
.LBB32_265:
	s_delay_alu instid0(SALU_CYCLE_1)
	s_or_b32 exec_lo, exec_lo, s5
	v_mov_b32_e32 v70, 0
	ds_load_b32 v70, v70 offset:20
	s_wait_dscnt 0x0
	v_mul_f32_e32 v69, v69, v70
	ds_store_b32 v7, v69 offset:20
.LBB32_266:
	s_or_b32 exec_lo, exec_lo, s4
	ds_load_b32 v69, v7 offset:16
	v_cmp_lt_u32_e64 s1, 4, v90
	s_wait_dscnt 0x0
	ds_store_b32 v92, v69
	s_wait_dscnt 0x0
	s_barrier_signal -1
	s_barrier_wait -1
	s_and_saveexec_b32 s4, s1
	s_cbranch_execz .LBB32_276
; %bb.267:
	s_and_not1_b32 vcc_lo, exec_lo, s6
	s_cbranch_vccnz .LBB32_269
; %bb.268:
	ds_load_b32 v69, v93
	ds_load_b32 v70, v92
	s_wait_dscnt 0x0
	v_mul_f32_e32 v69, v69, v70
	s_cbranch_execz .LBB32_270
	s_branch .LBB32_271
.LBB32_269:
                                        ; implicit-def: $vgpr69
.LBB32_270:
	ds_load_b32 v69, v92
.LBB32_271:
	s_and_saveexec_b32 s5, s0
	s_cbranch_execz .LBB32_275
; %bb.272:
	s_movk_i32 s0, 0x84
	v_add_nc_u32_e32 v71, -5, v90
	v_mad_u32 v70, v68, s0, 0x134
	s_movk_i32 s7, 0xa4
	s_mov_b32 s0, 0
.LBB32_273:                             ; =>This Inner Loop Header: Depth=1
	s_delay_alu instid0(VALU_DEP_2)
	v_dual_mov_b32 v72, s7 :: v_dual_add_nc_u32 v71, -1, v71
	s_add_co_i32 s7, s7, 4
	ds_load_b32 v73, v70
	ds_load_b32 v72, v72
	v_add_nc_u32_e32 v70, 4, v70
	v_cmp_eq_u32_e32 vcc_lo, 0, v71
	s_or_b32 s0, vcc_lo, s0
	s_wait_dscnt 0x0
	v_fmac_f32_e32 v69, v73, v72
	s_and_not1_b32 exec_lo, exec_lo, s0
	s_cbranch_execnz .LBB32_273
; %bb.274:
	s_or_b32 exec_lo, exec_lo, s0
.LBB32_275:
	s_delay_alu instid0(SALU_CYCLE_1)
	s_or_b32 exec_lo, exec_lo, s5
	v_mov_b32_e32 v70, 0
	ds_load_b32 v70, v70 offset:16
	s_wait_dscnt 0x0
	v_mul_f32_e32 v69, v69, v70
	ds_store_b32 v7, v69 offset:16
.LBB32_276:
	s_or_b32 exec_lo, exec_lo, s4
	ds_load_b32 v69, v7 offset:12
	v_cmp_lt_u32_e64 s0, 3, v90
	s_wait_dscnt 0x0
	ds_store_b32 v92, v69
	s_wait_dscnt 0x0
	s_barrier_signal -1
	s_barrier_wait -1
	s_and_saveexec_b32 s4, s0
	s_cbranch_execz .LBB32_286
; %bb.277:
	s_and_not1_b32 vcc_lo, exec_lo, s6
	s_cbranch_vccnz .LBB32_279
; %bb.278:
	ds_load_b32 v69, v93
	ds_load_b32 v70, v92
	s_wait_dscnt 0x0
	v_mul_f32_e32 v69, v69, v70
	s_cbranch_execz .LBB32_280
	s_branch .LBB32_281
.LBB32_279:
                                        ; implicit-def: $vgpr69
.LBB32_280:
	ds_load_b32 v69, v92
.LBB32_281:
	s_and_saveexec_b32 s5, s1
	s_cbranch_execz .LBB32_285
; %bb.282:
	s_movk_i32 s1, 0x84
	v_add_nc_u32_e32 v71, -4, v90
	v_mad_u32 v70, v68, s1, 0x130
	s_movk_i32 s7, 0xa0
	s_mov_b32 s1, 0
.LBB32_283:                             ; =>This Inner Loop Header: Depth=1
	s_delay_alu instid0(VALU_DEP_2)
	v_dual_mov_b32 v72, s7 :: v_dual_add_nc_u32 v71, -1, v71
	s_add_co_i32 s7, s7, 4
	ds_load_b32 v73, v70
	ds_load_b32 v72, v72
	v_add_nc_u32_e32 v70, 4, v70
	v_cmp_eq_u32_e32 vcc_lo, 0, v71
	s_or_b32 s1, vcc_lo, s1
	s_wait_dscnt 0x0
	v_fmac_f32_e32 v69, v73, v72
	s_and_not1_b32 exec_lo, exec_lo, s1
	s_cbranch_execnz .LBB32_283
; %bb.284:
	s_or_b32 exec_lo, exec_lo, s1
.LBB32_285:
	s_delay_alu instid0(SALU_CYCLE_1)
	s_or_b32 exec_lo, exec_lo, s5
	v_mov_b32_e32 v70, 0
	ds_load_b32 v70, v70 offset:12
	s_wait_dscnt 0x0
	v_mul_f32_e32 v69, v69, v70
	ds_store_b32 v7, v69 offset:12
.LBB32_286:
	s_or_b32 exec_lo, exec_lo, s4
	ds_load_b32 v69, v7 offset:8
	v_cmp_lt_u32_e64 s1, 2, v90
	s_wait_dscnt 0x0
	ds_store_b32 v92, v69
	s_wait_dscnt 0x0
	s_barrier_signal -1
	s_barrier_wait -1
	s_and_saveexec_b32 s4, s1
	s_cbranch_execz .LBB32_296
; %bb.287:
	s_and_not1_b32 vcc_lo, exec_lo, s6
	s_cbranch_vccnz .LBB32_289
; %bb.288:
	ds_load_b32 v69, v93
	ds_load_b32 v70, v92
	s_wait_dscnt 0x0
	v_mul_f32_e32 v69, v69, v70
	s_cbranch_execz .LBB32_290
	s_branch .LBB32_291
.LBB32_289:
                                        ; implicit-def: $vgpr69
.LBB32_290:
	ds_load_b32 v69, v92
.LBB32_291:
	s_and_saveexec_b32 s5, s0
	s_cbranch_execz .LBB32_295
; %bb.292:
	s_movk_i32 s0, 0x84
	v_add_nc_u32_e32 v71, -3, v90
	v_mad_u32 v70, v68, s0, 0x12c
	s_movk_i32 s7, 0x9c
	s_mov_b32 s0, 0
.LBB32_293:                             ; =>This Inner Loop Header: Depth=1
	s_delay_alu instid0(VALU_DEP_2)
	v_dual_mov_b32 v72, s7 :: v_dual_add_nc_u32 v71, -1, v71
	s_add_co_i32 s7, s7, 4
	ds_load_b32 v73, v70
	ds_load_b32 v72, v72
	v_add_nc_u32_e32 v70, 4, v70
	v_cmp_eq_u32_e32 vcc_lo, 0, v71
	s_or_b32 s0, vcc_lo, s0
	s_wait_dscnt 0x0
	v_fmac_f32_e32 v69, v73, v72
	s_and_not1_b32 exec_lo, exec_lo, s0
	s_cbranch_execnz .LBB32_293
; %bb.294:
	s_or_b32 exec_lo, exec_lo, s0
.LBB32_295:
	s_delay_alu instid0(SALU_CYCLE_1)
	s_or_b32 exec_lo, exec_lo, s5
	v_mov_b32_e32 v70, 0
	ds_load_b32 v70, v70 offset:8
	s_wait_dscnt 0x0
	v_mul_f32_e32 v69, v69, v70
	ds_store_b32 v7, v69 offset:8
.LBB32_296:
	s_or_b32 exec_lo, exec_lo, s4
	ds_load_b32 v69, v7 offset:4
	v_cmp_lt_u32_e64 s0, 1, v90
	s_wait_dscnt 0x0
	ds_store_b32 v92, v69
	s_wait_dscnt 0x0
	s_barrier_signal -1
	s_barrier_wait -1
	s_and_saveexec_b32 s4, s0
	s_cbranch_execz .LBB32_306
; %bb.297:
	s_and_not1_b32 vcc_lo, exec_lo, s6
	s_cbranch_vccnz .LBB32_299
; %bb.298:
	ds_load_b32 v69, v93
	ds_load_b32 v70, v92
	s_wait_dscnt 0x0
	v_mul_f32_e32 v69, v69, v70
	s_cbranch_execz .LBB32_300
	s_branch .LBB32_301
.LBB32_299:
                                        ; implicit-def: $vgpr69
.LBB32_300:
	ds_load_b32 v69, v92
.LBB32_301:
	s_and_saveexec_b32 s5, s1
	s_cbranch_execz .LBB32_305
; %bb.302:
	s_movk_i32 s1, 0x84
	v_add_nc_u32_e32 v71, -2, v90
	v_mad_u32 v70, v68, s1, 0x128
	s_movk_i32 s7, 0x98
	s_mov_b32 s1, 0
.LBB32_303:                             ; =>This Inner Loop Header: Depth=1
	s_delay_alu instid0(VALU_DEP_2)
	v_dual_mov_b32 v72, s7 :: v_dual_add_nc_u32 v71, -1, v71
	s_add_co_i32 s7, s7, 4
	ds_load_b32 v73, v70
	ds_load_b32 v72, v72
	v_add_nc_u32_e32 v70, 4, v70
	v_cmp_eq_u32_e32 vcc_lo, 0, v71
	s_or_b32 s1, vcc_lo, s1
	s_wait_dscnt 0x0
	v_fmac_f32_e32 v69, v73, v72
	s_and_not1_b32 exec_lo, exec_lo, s1
	s_cbranch_execnz .LBB32_303
; %bb.304:
	s_or_b32 exec_lo, exec_lo, s1
.LBB32_305:
	s_delay_alu instid0(SALU_CYCLE_1)
	s_or_b32 exec_lo, exec_lo, s5
	v_mov_b32_e32 v70, 0
	ds_load_b32 v70, v70 offset:4
	s_wait_dscnt 0x0
	v_mul_f32_e32 v69, v69, v70
	ds_store_b32 v7, v69 offset:4
.LBB32_306:
	s_or_b32 exec_lo, exec_lo, s4
	ds_load_b32 v69, v7
	s_mov_b32 s1, 0
	s_mov_b32 s4, exec_lo
	s_wait_dscnt 0x0
	ds_store_b32 v92, v69
	s_wait_dscnt 0x0
	s_barrier_signal -1
	s_barrier_wait -1
	v_cmpx_ne_u32_e32 0, v90
	s_cbranch_execz .LBB32_316
; %bb.307:
	s_and_not1_b32 vcc_lo, exec_lo, s6
	s_cbranch_vccnz .LBB32_309
; %bb.308:
	ds_load_b32 v69, v93
	ds_load_b32 v70, v92
	s_wait_dscnt 0x0
	v_mul_f32_e32 v69, v69, v70
	s_cbranch_execz .LBB32_310
	s_branch .LBB32_311
.LBB32_309:
                                        ; implicit-def: $vgpr69
.LBB32_310:
	ds_load_b32 v69, v92
.LBB32_311:
	s_and_saveexec_b32 s5, s0
	s_cbranch_execz .LBB32_315
; %bb.312:
	s_movk_i32 s0, 0x84
	v_add_nc_u32_e32 v70, -1, v90
	v_mad_u32 v68, v68, s0, 0x124
	s_movk_i32 s7, 0x94
	s_mov_b32 s0, 0
.LBB32_313:                             ; =>This Inner Loop Header: Depth=1
	s_delay_alu instid0(VALU_DEP_2)
	v_dual_mov_b32 v71, s7 :: v_dual_add_nc_u32 v70, -1, v70
	s_add_co_i32 s7, s7, 4
	ds_load_b32 v72, v68
	ds_load_b32 v71, v71
	v_add_nc_u32_e32 v68, 4, v68
	v_cmp_eq_u32_e32 vcc_lo, 0, v70
	s_or_b32 s0, vcc_lo, s0
	s_wait_dscnt 0x0
	v_fmac_f32_e32 v69, v72, v71
	s_and_not1_b32 exec_lo, exec_lo, s0
	s_cbranch_execnz .LBB32_313
; %bb.314:
	s_or_b32 exec_lo, exec_lo, s0
.LBB32_315:
	s_delay_alu instid0(SALU_CYCLE_1)
	s_or_b32 exec_lo, exec_lo, s5
	v_mov_b32_e32 v68, 0
	ds_load_b32 v68, v68
	s_wait_dscnt 0x0
	v_mul_f32_e32 v68, v69, v68
	ds_store_b32 v7, v68
.LBB32_316:
	s_or_b32 exec_lo, exec_lo, s4
.LBB32_317:
	v_lshl_add_u64 v[88:89], v[8:9], 2, s[2:3]
	v_lshl_add_u64 v[86:87], v[10:11], 2, s[2:3]
	v_lshl_add_u64 v[84:85], v[12:13], 2, s[2:3]
	v_lshl_add_u64 v[68:69], v[14:15], 2, s[2:3]
	v_lshl_add_u64 v[70:71], v[16:17], 2, s[2:3]
	v_lshl_add_u64 v[72:73], v[18:19], 2, s[2:3]
	v_lshl_add_u64 v[74:75], v[20:21], 2, s[2:3]
	v_lshl_add_u64 v[76:77], v[22:23], 2, s[2:3]
	v_lshl_add_u64 v[78:79], v[24:25], 2, s[2:3]
	v_lshl_add_u64 v[80:81], v[26:27], 2, s[2:3]
	v_lshl_add_u64 v[82:83], v[28:29], 2, s[2:3]
	v_lshl_add_u64 v[8:9], v[30:31], 2, s[2:3]
	v_lshl_add_u64 v[10:11], v[32:33], 2, s[2:3]
	v_lshl_add_u64 v[12:13], v[34:35], 2, s[2:3]
	v_lshl_add_u64 v[14:15], v[36:37], 2, s[2:3]
	v_lshl_add_u64 v[16:17], v[38:39], 2, s[2:3]
	v_lshl_add_u64 v[18:19], v[40:41], 2, s[2:3]
	v_lshl_add_u64 v[20:21], v[42:43], 2, s[2:3]
	v_lshl_add_u64 v[22:23], v[44:45], 2, s[2:3]
	v_lshl_add_u64 v[24:25], v[46:47], 2, s[2:3]
	v_lshl_add_u64 v[26:27], v[48:49], 2, s[2:3]
	v_lshl_add_u64 v[28:29], v[50:51], 2, s[2:3]
	v_lshl_add_u64 v[30:31], v[52:53], 2, s[2:3]
	v_lshl_add_u64 v[0:1], v[0:1], 2, s[2:3]
	v_lshl_add_u64 v[32:33], v[54:55], 2, s[2:3]
	v_lshl_add_u64 v[34:35], v[56:57], 2, s[2:3]
	v_lshl_add_u64 v[36:37], v[58:59], 2, s[2:3]
	v_lshl_add_u64 v[38:39], v[60:61], 2, s[2:3]
	v_lshl_add_u64 v[40:41], v[62:63], 2, s[2:3]
	v_lshl_add_u64 v[42:43], v[64:65], 2, s[2:3]
	v_lshl_add_u64 v[44:45], v[66:67], 2, s[2:3]
	s_and_b32 vcc_lo, exec_lo, s1
	s_cbranch_vccz .LBB32_629
; %bb.318:
	ds_load_b32 v46, v7 offset:4
	v_cmp_eq_u32_e64 s0, 0, v90
	s_wait_dscnt 0x0
	ds_store_b32 v92, v46
	s_wait_dscnt 0x0
	s_barrier_signal -1
	s_barrier_wait -1
	s_and_saveexec_b32 s1, s0
	s_cbranch_execz .LBB32_324
; %bb.319:
	s_and_b32 vcc_lo, exec_lo, s6
	s_cbranch_vccz .LBB32_321
; %bb.320:
	ds_load_b32 v46, v93
	ds_load_b32 v47, v92
	s_wait_dscnt 0x0
	v_mul_f32_e32 v46, v46, v47
	s_cbranch_execz .LBB32_322
	s_branch .LBB32_323
.LBB32_321:
                                        ; implicit-def: $vgpr46
.LBB32_322:
	ds_load_b32 v46, v92
.LBB32_323:
	v_mov_b32_e32 v47, 0
	ds_load_b32 v47, v47 offset:4
	s_wait_dscnt 0x0
	v_mul_f32_e32 v46, v46, v47
	ds_store_b32 v7, v46 offset:4
.LBB32_324:
	s_or_b32 exec_lo, exec_lo, s1
	ds_load_b32 v47, v7 offset:8
	v_cndmask_b32_e64 v46, 0, 1, s6
	s_mov_b32 s1, exec_lo
	s_wait_dscnt 0x0
	ds_store_b32 v92, v47
	s_wait_dscnt 0x0
	s_barrier_signal -1
	s_barrier_wait -1
	v_cmpx_gt_u32_e32 2, v90
	s_cbranch_execz .LBB32_330
; %bb.325:
	s_and_not1_b32 vcc_lo, exec_lo, s6
	s_cbranch_vccnz .LBB32_327
; %bb.326:
	ds_load_b32 v47, v93
	ds_load_b32 v48, v92
	s_wait_dscnt 0x0
	v_mul_f32_e32 v47, v47, v48
	s_cbranch_execz .LBB32_328
	s_branch .LBB32_329
.LBB32_327:
                                        ; implicit-def: $vgpr47
.LBB32_328:
	ds_load_b32 v47, v92
.LBB32_329:
	v_mov_b32_e32 v48, 0
	ds_load_b32 v50, v7 offset:4
	ds_load_2addr_b32 v[48:49], v48 offset0:2 offset1:37
	s_wait_dscnt 0x0
	v_fma_f32 v49, v50, v49, v47
	s_delay_alu instid0(VALU_DEP_1) | instskip(NEXT) | instid1(VALU_DEP_1)
	v_cndmask_b32_e64 v47, v47, v49, s0
	v_mul_f32_e32 v47, v47, v48
	ds_store_b32 v7, v47 offset:8
.LBB32_330:
	s_or_b32 exec_lo, exec_lo, s1
	ds_load_b32 v47, v7 offset:12
	s_mov_b32 s1, exec_lo
	s_wait_dscnt 0x0
	ds_store_b32 v92, v47
	s_wait_dscnt 0x0
	s_barrier_signal -1
	s_barrier_wait -1
	v_cmpx_gt_u32_e32 3, v90
	s_cbranch_execz .LBB32_338
; %bb.331:
	v_cmp_ne_u32_e32 vcc_lo, 1, v46
	s_cbranch_vccnz .LBB32_333
; %bb.332:
	ds_load_b32 v47, v93
	ds_load_b32 v48, v92
	s_wait_dscnt 0x0
	v_mul_f32_e32 v47, v47, v48
	s_cbranch_execz .LBB32_334
	s_branch .LBB32_335
.LBB32_333:
                                        ; implicit-def: $vgpr47
.LBB32_334:
	ds_load_b32 v47, v92
.LBB32_335:
	s_mov_b32 s2, exec_lo
	v_cmpx_ne_u32_e32 2, v90
	s_cbranch_execz .LBB32_337
; %bb.336:
	ds_load_b32 v48, v93 offset:4
	ds_load_b32 v49, v92 offset:4
	s_wait_dscnt 0x0
	v_dual_mov_b32 v50, 0 :: v_dual_fmac_f32 v47, v48, v49
	ds_load_b32 v51, v7 offset:8
	ds_load_b32 v50, v50 offset:152
	s_wait_dscnt 0x0
	v_fma_f32 v48, v51, v50, v47
	s_delay_alu instid0(VALU_DEP_1)
	v_cndmask_b32_e64 v47, v47, v48, s0
.LBB32_337:
	s_or_b32 exec_lo, exec_lo, s2
	v_mov_b32_e32 v48, 0
	ds_load_b32 v48, v48 offset:12
	s_wait_dscnt 0x0
	v_mul_f32_e32 v47, v47, v48
	ds_store_b32 v7, v47 offset:12
.LBB32_338:
	s_or_b32 exec_lo, exec_lo, s1
	ds_load_b32 v47, v7 offset:16
	s_mov_b32 s0, exec_lo
	s_wait_dscnt 0x0
	ds_store_b32 v92, v47
	s_wait_dscnt 0x0
	s_barrier_signal -1
	s_barrier_wait -1
	v_cmpx_gt_u32_e32 4, v90
	s_cbranch_execz .LBB32_348
; %bb.339:
	v_cmp_ne_u32_e32 vcc_lo, 1, v46
	s_cbranch_vccnz .LBB32_341
; %bb.340:
	ds_load_b32 v47, v93
	ds_load_b32 v48, v92
	s_wait_dscnt 0x0
	v_mul_f32_e32 v47, v47, v48
	s_cbranch_execz .LBB32_342
	s_branch .LBB32_343
.LBB32_341:
                                        ; implicit-def: $vgpr47
.LBB32_342:
	ds_load_b32 v47, v92
.LBB32_343:
	s_mov_b32 s1, exec_lo
	v_cmpx_ne_u32_e32 3, v90
	s_cbranch_execz .LBB32_347
; %bb.344:
	v_add_nc_u32_e32 v48, 0x94, v6
	v_add3_u32 v49, v91, v6, 0x124
	v_mov_b32_e32 v50, v90
	s_mov_b32 s2, 0
.LBB32_345:                             ; =>This Inner Loop Header: Depth=1
	ds_load_b32 v51, v49
	ds_load_b32 v52, v48
	v_dual_add_nc_u32 v50, 1, v50 :: v_dual_add_nc_u32 v48, 4, v48
	v_add_nc_u32_e32 v49, 4, v49
	s_delay_alu instid0(VALU_DEP_2)
	v_cmp_lt_u32_e32 vcc_lo, 2, v50
	s_or_b32 s2, vcc_lo, s2
	s_wait_dscnt 0x0
	v_fmac_f32_e32 v47, v51, v52
	s_and_not1_b32 exec_lo, exec_lo, s2
	s_cbranch_execnz .LBB32_345
; %bb.346:
	s_or_b32 exec_lo, exec_lo, s2
.LBB32_347:
	s_delay_alu instid0(SALU_CYCLE_1)
	s_or_b32 exec_lo, exec_lo, s1
	v_mov_b32_e32 v48, 0
	ds_load_b32 v48, v48 offset:16
	s_wait_dscnt 0x0
	v_mul_f32_e32 v47, v47, v48
	ds_store_b32 v7, v47 offset:16
.LBB32_348:
	s_or_b32 exec_lo, exec_lo, s0
	ds_load_b32 v47, v7 offset:20
	s_mov_b32 s0, exec_lo
	s_wait_dscnt 0x0
	ds_store_b32 v92, v47
	s_wait_dscnt 0x0
	s_barrier_signal -1
	s_barrier_wait -1
	v_cmpx_gt_u32_e32 5, v90
	s_cbranch_execz .LBB32_358
; %bb.349:
	v_cmp_ne_u32_e32 vcc_lo, 1, v46
	s_cbranch_vccnz .LBB32_351
; %bb.350:
	ds_load_b32 v47, v93
	ds_load_b32 v48, v92
	s_wait_dscnt 0x0
	v_mul_f32_e32 v47, v47, v48
	s_cbranch_execz .LBB32_352
	s_branch .LBB32_353
.LBB32_351:
                                        ; implicit-def: $vgpr47
.LBB32_352:
	ds_load_b32 v47, v92
.LBB32_353:
	s_mov_b32 s1, exec_lo
	v_cmpx_ne_u32_e32 4, v90
	s_cbranch_execz .LBB32_357
; %bb.354:
	v_add_nc_u32_e32 v48, 0x94, v6
	v_add3_u32 v49, v91, v6, 0x124
	v_mov_b32_e32 v50, v90
	s_mov_b32 s2, 0
.LBB32_355:                             ; =>This Inner Loop Header: Depth=1
	ds_load_b32 v51, v49
	ds_load_b32 v52, v48
	v_dual_add_nc_u32 v50, 1, v50 :: v_dual_add_nc_u32 v48, 4, v48
	v_add_nc_u32_e32 v49, 4, v49
	s_delay_alu instid0(VALU_DEP_2)
	v_cmp_lt_u32_e32 vcc_lo, 3, v50
	s_or_b32 s2, vcc_lo, s2
	s_wait_dscnt 0x0
	v_fmac_f32_e32 v47, v51, v52
	s_and_not1_b32 exec_lo, exec_lo, s2
	s_cbranch_execnz .LBB32_355
; %bb.356:
	s_or_b32 exec_lo, exec_lo, s2
.LBB32_357:
	s_delay_alu instid0(SALU_CYCLE_1)
	s_or_b32 exec_lo, exec_lo, s1
	v_mov_b32_e32 v48, 0
	ds_load_b32 v48, v48 offset:20
	s_wait_dscnt 0x0
	v_mul_f32_e32 v47, v47, v48
	ds_store_b32 v7, v47 offset:20
.LBB32_358:
	;; [unrolled: 56-line block ×27, first 2 shown]
	s_or_b32 exec_lo, exec_lo, s0
	ds_load_b32 v47, v7 offset:124
	v_cmp_gt_u32_e64 s0, 31, v90
	s_wait_dscnt 0x0
	ds_store_b32 v92, v47
	s_wait_dscnt 0x0
	s_barrier_signal -1
	s_barrier_wait -1
	s_and_saveexec_b32 s1, s0
	s_cbranch_execz .LBB32_618
; %bb.609:
	v_cmp_ne_u32_e32 vcc_lo, 1, v46
	s_cbranch_vccnz .LBB32_611
; %bb.610:
	ds_load_b32 v47, v93
	ds_load_b32 v48, v92
	s_wait_dscnt 0x0
	v_mul_f32_e32 v47, v47, v48
	s_cbranch_execz .LBB32_612
	s_branch .LBB32_613
.LBB32_611:
                                        ; implicit-def: $vgpr47
.LBB32_612:
	ds_load_b32 v47, v92
.LBB32_613:
	s_mov_b32 s2, exec_lo
	v_cmpx_ne_u32_e32 30, v90
	s_cbranch_execz .LBB32_617
; %bb.614:
	v_add_nc_u32_e32 v48, 0x94, v6
	v_add3_u32 v49, v91, v6, 0x124
	v_mov_b32_e32 v50, v90
	s_mov_b32 s3, 0
.LBB32_615:                             ; =>This Inner Loop Header: Depth=1
	ds_load_b32 v51, v49
	ds_load_b32 v52, v48
	v_dual_add_nc_u32 v50, 1, v50 :: v_dual_add_nc_u32 v48, 4, v48
	v_add_nc_u32_e32 v49, 4, v49
	s_delay_alu instid0(VALU_DEP_2)
	v_cmp_lt_u32_e32 vcc_lo, 29, v50
	s_or_b32 s3, vcc_lo, s3
	s_wait_dscnt 0x0
	v_fmac_f32_e32 v47, v51, v52
	s_and_not1_b32 exec_lo, exec_lo, s3
	s_cbranch_execnz .LBB32_615
; %bb.616:
	s_or_b32 exec_lo, exec_lo, s3
.LBB32_617:
	s_delay_alu instid0(SALU_CYCLE_1)
	s_or_b32 exec_lo, exec_lo, s2
	v_mov_b32_e32 v48, 0
	ds_load_b32 v48, v48 offset:124
	s_wait_dscnt 0x0
	v_mul_f32_e32 v47, v47, v48
	ds_store_b32 v7, v47 offset:124
.LBB32_618:
	s_or_b32 exec_lo, exec_lo, s1
	ds_load_b32 v47, v7 offset:128
	s_mov_b32 s1, exec_lo
	s_wait_dscnt 0x0
	ds_store_b32 v92, v47
	s_wait_dscnt 0x0
	s_barrier_signal -1
	s_barrier_wait -1
	v_cmpx_ne_u32_e32 32, v90
	s_cbranch_execz .LBB32_628
; %bb.619:
	v_cmp_ne_u32_e32 vcc_lo, 1, v46
	s_cbranch_vccnz .LBB32_621
; %bb.620:
	ds_load_b32 v46, v93
	ds_load_b32 v47, v92
	s_wait_dscnt 0x0
	v_mul_f32_e32 v46, v46, v47
	s_cbranch_execz .LBB32_622
	s_branch .LBB32_623
.LBB32_621:
                                        ; implicit-def: $vgpr46
.LBB32_622:
	ds_load_b32 v46, v92
.LBB32_623:
	s_and_saveexec_b32 s2, s0
	s_cbranch_execz .LBB32_627
; %bb.624:
	v_add_nc_u32_e32 v47, 0x94, v6
	v_add3_u32 v6, v91, v6, 0x124
	s_mov_b32 s0, 0
.LBB32_625:                             ; =>This Inner Loop Header: Depth=1
	ds_load_b32 v48, v6
	ds_load_b32 v49, v47
	v_dual_add_nc_u32 v90, 1, v90 :: v_dual_add_nc_u32 v47, 4, v47
	v_add_nc_u32_e32 v6, 4, v6
	s_delay_alu instid0(VALU_DEP_2)
	v_cmp_lt_u32_e32 vcc_lo, 30, v90
	s_or_b32 s0, vcc_lo, s0
	s_wait_dscnt 0x0
	v_fmac_f32_e32 v46, v48, v49
	s_and_not1_b32 exec_lo, exec_lo, s0
	s_cbranch_execnz .LBB32_625
; %bb.626:
	s_or_b32 exec_lo, exec_lo, s0
.LBB32_627:
	s_delay_alu instid0(SALU_CYCLE_1)
	s_or_b32 exec_lo, exec_lo, s2
	v_mov_b32_e32 v6, 0
	ds_load_b32 v6, v6 offset:128
	s_wait_dscnt 0x0
	v_mul_f32_e32 v6, v46, v6
	ds_store_b32 v7, v6 offset:128
.LBB32_628:
	s_or_b32 exec_lo, exec_lo, s1
.LBB32_629:
	ds_load_b128 v[46:49], v7
	ds_load_b128 v[50:53], v7 offset:16
	ds_load_b128 v[54:57], v7 offset:32
	;; [unrolled: 1-line block ×4, first 2 shown]
	s_wait_dscnt 0x4
	s_clause 0x2
	global_store_b32 v[2:3], v46, off
	global_store_b32 v[4:5], v47, off
	;; [unrolled: 1-line block ×3, first 2 shown]
	s_wait_xcnt 0x1
	ds_load_b128 v[2:5], v7 offset:80
	global_store_b32 v[86:87], v49, off
	s_wait_xcnt 0x0
	ds_load_b128 v[46:49], v7 offset:96
	s_wait_dscnt 0x5
	global_store_b32 v[84:85], v50, off
	s_wait_xcnt 0x0
	ds_load_b128 v[84:87], v7 offset:112
	s_clause 0x2
	global_store_b32 v[68:69], v51, off
	global_store_b32 v[70:71], v52, off
	;; [unrolled: 1-line block ×3, first 2 shown]
	s_wait_dscnt 0x5
	s_clause 0x3
	global_store_b32 v[74:75], v54, off
	global_store_b32 v[76:77], v55, off
	;; [unrolled: 1-line block ×4, first 2 shown]
	s_wait_dscnt 0x4
	global_store_b32 v[82:83], v58, off
	ds_load_b32 v6, v7 offset:128
	s_clause 0x2
	global_store_b32 v[8:9], v59, off
	global_store_b32 v[10:11], v60, off
	global_store_b32 v[12:13], v61, off
	s_wait_dscnt 0x4
	s_clause 0x3
	global_store_b32 v[14:15], v62, off
	global_store_b32 v[16:17], v63, off
	global_store_b32 v[18:19], v64, off
	global_store_b32 v[20:21], v65, off
	s_wait_dscnt 0x3
	s_clause 0x3
	global_store_b32 v[22:23], v2, off
	global_store_b32 v[24:25], v3, off
	global_store_b32 v[26:27], v4, off
	global_store_b32 v[28:29], v5, off
	s_wait_dscnt 0x2
	s_clause 0x3
	global_store_b32 v[30:31], v46, off
	global_store_b32 v[0:1], v47, off
	global_store_b32 v[32:33], v48, off
	global_store_b32 v[34:35], v49, off
	s_wait_dscnt 0x1
	s_clause 0x3
	global_store_b32 v[36:37], v84, off
	global_store_b32 v[38:39], v85, off
	global_store_b32 v[40:41], v86, off
	;; [unrolled: 1-line block ×3, first 2 shown]
	s_wait_dscnt 0x0
	global_store_b32 v[44:45], v6, off
.LBB32_630:
	s_sendmsg sendmsg(MSG_DEALLOC_VGPRS)
	s_endpgm
	.section	.rodata,"a",@progbits
	.p2align	6, 0x0
	.amdhsa_kernel _ZN9rocsolver6v33100L18trti2_kernel_smallILi33EfPfEEv13rocblas_fill_17rocblas_diagonal_T1_iil
		.amdhsa_group_segment_fixed_size 8736
		.amdhsa_private_segment_fixed_size 0
		.amdhsa_kernarg_size 32
		.amdhsa_user_sgpr_count 4
		.amdhsa_user_sgpr_dispatch_ptr 1
		.amdhsa_user_sgpr_queue_ptr 0
		.amdhsa_user_sgpr_kernarg_segment_ptr 1
		.amdhsa_user_sgpr_dispatch_id 0
		.amdhsa_user_sgpr_kernarg_preload_length 0
		.amdhsa_user_sgpr_kernarg_preload_offset 0
		.amdhsa_user_sgpr_private_segment_size 0
		.amdhsa_wavefront_size32 1
		.amdhsa_uses_dynamic_stack 0
		.amdhsa_enable_private_segment 0
		.amdhsa_system_sgpr_workgroup_id_x 1
		.amdhsa_system_sgpr_workgroup_id_y 0
		.amdhsa_system_sgpr_workgroup_id_z 0
		.amdhsa_system_sgpr_workgroup_info 0
		.amdhsa_system_vgpr_workitem_id 2
		.amdhsa_next_free_vgpr 94
		.amdhsa_next_free_sgpr 14
		.amdhsa_named_barrier_count 0
		.amdhsa_reserve_vcc 1
		.amdhsa_float_round_mode_32 0
		.amdhsa_float_round_mode_16_64 0
		.amdhsa_float_denorm_mode_32 3
		.amdhsa_float_denorm_mode_16_64 3
		.amdhsa_fp16_overflow 0
		.amdhsa_memory_ordered 1
		.amdhsa_forward_progress 1
		.amdhsa_inst_pref_size 132
		.amdhsa_round_robin_scheduling 0
		.amdhsa_exception_fp_ieee_invalid_op 0
		.amdhsa_exception_fp_denorm_src 0
		.amdhsa_exception_fp_ieee_div_zero 0
		.amdhsa_exception_fp_ieee_overflow 0
		.amdhsa_exception_fp_ieee_underflow 0
		.amdhsa_exception_fp_ieee_inexact 0
		.amdhsa_exception_int_div_zero 0
	.end_amdhsa_kernel
	.section	.text._ZN9rocsolver6v33100L18trti2_kernel_smallILi33EfPfEEv13rocblas_fill_17rocblas_diagonal_T1_iil,"axG",@progbits,_ZN9rocsolver6v33100L18trti2_kernel_smallILi33EfPfEEv13rocblas_fill_17rocblas_diagonal_T1_iil,comdat
.Lfunc_end32:
	.size	_ZN9rocsolver6v33100L18trti2_kernel_smallILi33EfPfEEv13rocblas_fill_17rocblas_diagonal_T1_iil, .Lfunc_end32-_ZN9rocsolver6v33100L18trti2_kernel_smallILi33EfPfEEv13rocblas_fill_17rocblas_diagonal_T1_iil
                                        ; -- End function
	.set _ZN9rocsolver6v33100L18trti2_kernel_smallILi33EfPfEEv13rocblas_fill_17rocblas_diagonal_T1_iil.num_vgpr, 94
	.set _ZN9rocsolver6v33100L18trti2_kernel_smallILi33EfPfEEv13rocblas_fill_17rocblas_diagonal_T1_iil.num_agpr, 0
	.set _ZN9rocsolver6v33100L18trti2_kernel_smallILi33EfPfEEv13rocblas_fill_17rocblas_diagonal_T1_iil.numbered_sgpr, 14
	.set _ZN9rocsolver6v33100L18trti2_kernel_smallILi33EfPfEEv13rocblas_fill_17rocblas_diagonal_T1_iil.num_named_barrier, 0
	.set _ZN9rocsolver6v33100L18trti2_kernel_smallILi33EfPfEEv13rocblas_fill_17rocblas_diagonal_T1_iil.private_seg_size, 0
	.set _ZN9rocsolver6v33100L18trti2_kernel_smallILi33EfPfEEv13rocblas_fill_17rocblas_diagonal_T1_iil.uses_vcc, 1
	.set _ZN9rocsolver6v33100L18trti2_kernel_smallILi33EfPfEEv13rocblas_fill_17rocblas_diagonal_T1_iil.uses_flat_scratch, 0
	.set _ZN9rocsolver6v33100L18trti2_kernel_smallILi33EfPfEEv13rocblas_fill_17rocblas_diagonal_T1_iil.has_dyn_sized_stack, 0
	.set _ZN9rocsolver6v33100L18trti2_kernel_smallILi33EfPfEEv13rocblas_fill_17rocblas_diagonal_T1_iil.has_recursion, 0
	.set _ZN9rocsolver6v33100L18trti2_kernel_smallILi33EfPfEEv13rocblas_fill_17rocblas_diagonal_T1_iil.has_indirect_call, 0
	.section	.AMDGPU.csdata,"",@progbits
; Kernel info:
; codeLenInByte = 16820
; TotalNumSgprs: 16
; NumVgprs: 94
; ScratchSize: 0
; MemoryBound: 0
; FloatMode: 240
; IeeeMode: 1
; LDSByteSize: 8736 bytes/workgroup (compile time only)
; SGPRBlocks: 0
; VGPRBlocks: 5
; NumSGPRsForWavesPerEU: 16
; NumVGPRsForWavesPerEU: 94
; NamedBarCnt: 0
; Occupancy: 10
; WaveLimiterHint : 0
; COMPUTE_PGM_RSRC2:SCRATCH_EN: 0
; COMPUTE_PGM_RSRC2:USER_SGPR: 4
; COMPUTE_PGM_RSRC2:TRAP_HANDLER: 0
; COMPUTE_PGM_RSRC2:TGID_X_EN: 1
; COMPUTE_PGM_RSRC2:TGID_Y_EN: 0
; COMPUTE_PGM_RSRC2:TGID_Z_EN: 0
; COMPUTE_PGM_RSRC2:TIDIG_COMP_CNT: 2
	.section	.text._ZN9rocsolver6v33100L18trti2_kernel_smallILi34EfPfEEv13rocblas_fill_17rocblas_diagonal_T1_iil,"axG",@progbits,_ZN9rocsolver6v33100L18trti2_kernel_smallILi34EfPfEEv13rocblas_fill_17rocblas_diagonal_T1_iil,comdat
	.globl	_ZN9rocsolver6v33100L18trti2_kernel_smallILi34EfPfEEv13rocblas_fill_17rocblas_diagonal_T1_iil ; -- Begin function _ZN9rocsolver6v33100L18trti2_kernel_smallILi34EfPfEEv13rocblas_fill_17rocblas_diagonal_T1_iil
	.p2align	8
	.type	_ZN9rocsolver6v33100L18trti2_kernel_smallILi34EfPfEEv13rocblas_fill_17rocblas_diagonal_T1_iil,@function
_ZN9rocsolver6v33100L18trti2_kernel_smallILi34EfPfEEv13rocblas_fill_17rocblas_diagonal_T1_iil: ; @_ZN9rocsolver6v33100L18trti2_kernel_smallILi34EfPfEEv13rocblas_fill_17rocblas_diagonal_T1_iil
; %bb.0:
	v_and_b32_e32 v94, 0x3ff, v0
	s_mov_b32 s4, exec_lo
	s_delay_alu instid0(VALU_DEP_1)
	v_cmpx_gt_u32_e32 34, v94
	s_cbranch_execz .LBB33_650
; %bb.1:
	s_load_b256 s[4:11], s[2:3], 0x0
	s_getreg_b32 s12, hwreg(HW_REG_IB_STS2, 6, 4)
	s_wait_xcnt 0x0
	s_load_b64 s[2:3], s[0:1], 0x4
	s_wait_xcnt 0x0
	s_bfe_u32 s0, ttmp6, 0x4000c
	s_and_b32 s1, ttmp6, 15
	s_add_co_i32 s0, s0, 1
	v_bfe_u32 v1, v0, 10, 10
	s_mul_i32 s0, ttmp9, s0
	v_bfe_u32 v0, v0, 20, 10
	s_add_co_i32 s0, s1, s0
	v_dual_mov_b32 v7, 0 :: v_dual_lshlrev_b32 v6, 2, v94
	s_wait_kmcnt 0x0
	v_add3_u32 v8, s9, s9, v94
	s_ashr_i32 s1, s8, 31
	s_lshr_b32 s2, s2, 16
	s_cmp_eq_u32 s12, 0
	s_mul_i32 s2, s2, s3
	v_add_nc_u32_e32 v10, s9, v8
	s_cselect_b32 s12, ttmp9, s0
	s_mov_b32 s0, s8
	s_ashr_i32 s13, s12, 31
	s_lshl_b64 s[0:1], s[0:1], 2
	v_add_nc_u32_e32 v12, s9, v10
	s_mul_u64 s[10:11], s[10:11], s[12:13]
	v_mul_u32_u24_e32 v1, s3, v1
	s_lshl_b64 s[10:11], s[10:11], 2
	v_ashrrev_i32_e32 v9, 31, v8
	v_add_nc_u32_e32 v14, s9, v12
	s_add_nc_u64 s[6:7], s[6:7], s[10:11]
	s_delay_alu instid0(SALU_CYCLE_1) | instskip(SKIP_1) | instid1(VALU_DEP_1)
	s_add_nc_u64 s[6:7], s[6:7], s[0:1]
	s_mov_b32 s0, s9
	v_add_nc_u32_e32 v16, s9, v14
	v_add_nc_u64_e32 v[2:3], s[6:7], v[6:7]
	s_ashr_i32 s1, s9, 31
	v_ashrrev_i32_e32 v11, 31, v10
	v_mul_u32_u24_e32 v7, s2, v94
	v_add_nc_u32_e32 v18, s9, v16
	v_ashrrev_i32_e32 v13, 31, v12
	s_cmp_lg_u32 s5, 0x84
	v_lshl_add_u64 v[4:5], s[0:1], 2, v[2:3]
	v_add3_u32 v0, v7, v1, v0
	v_add_nc_u32_e32 v20, s9, v18
	s_clause 0x7
	global_load_b32 v72, v94, s[6:7] scale_offset
	global_load_b32 v73, v[4:5], off
	global_load_b32 v74, v8, s[6:7] scale_offset
	global_load_b32 v75, v10, s[6:7] scale_offset
	global_load_b32 v76, v12, s[6:7] scale_offset
	global_load_b32 v77, v14, s[6:7] scale_offset
	global_load_b32 v78, v16, s[6:7] scale_offset
	global_load_b32 v79, v18, s[6:7] scale_offset
	v_ashrrev_i32_e32 v19, 31, v18
	v_mul_lo_u32 v95, 0x88, v0
	v_add_nc_u32_e32 v22, s9, v20
	s_cselect_b32 s3, -1, 0
	s_cmp_eq_u32 s5, 0x84
	v_dual_ashrrev_i32 v15, 31, v14 :: v_dual_mov_b32 v1, -1.0
	s_delay_alu instid0(VALU_DEP_2) | instskip(NEXT) | instid1(VALU_DEP_1)
	v_add_nc_u32_e32 v24, s9, v22
	v_add_nc_u32_e32 v26, s9, v24
	;; [unrolled: 1-line block ×3, first 2 shown]
	s_delay_alu instid0(VALU_DEP_2) | instskip(NEXT) | instid1(VALU_DEP_1)
	v_dual_add_nc_u32 v28, s9, v26 :: v_dual_ashrrev_i32 v17, 31, v16
	v_dual_ashrrev_i32 v23, 31, v22 :: v_dual_add_nc_u32 v30, s9, v28
	s_delay_alu instid0(VALU_DEP_1) | instskip(SKIP_1) | instid1(VALU_DEP_1)
	v_dual_ashrrev_i32 v25, 31, v24 :: v_dual_ashrrev_i32 v31, 31, v30
	v_dual_add_nc_u32 v32, s9, v30 :: v_dual_ashrrev_i32 v21, 31, v20
	v_dual_ashrrev_i32 v27, 31, v26 :: v_dual_add_nc_u32 v34, s9, v32
	s_delay_alu instid0(VALU_DEP_1) | instskip(NEXT) | instid1(VALU_DEP_1)
	v_add_nc_u32_e32 v36, s9, v34
	v_add_nc_u32_e32 v38, s9, v36
	s_delay_alu instid0(VALU_DEP_1)
	v_add_nc_u32_e32 v40, s9, v38
	s_clause 0x7
	global_load_b32 v80, v20, s[6:7] scale_offset
	global_load_b32 v81, v22, s[6:7] scale_offset
	;; [unrolled: 1-line block ×8, first 2 shown]
	v_dual_ashrrev_i32 v29, 31, v28 :: v_dual_ashrrev_i32 v35, 31, v34
	v_add_nc_u32_e32 v42, s9, v40
	s_delay_alu instid0(VALU_DEP_1) | instskip(SKIP_1) | instid1(VALU_DEP_1)
	v_dual_ashrrev_i32 v37, 31, v36 :: v_dual_ashrrev_i32 v43, 31, v42
	v_dual_add_nc_u32 v44, s9, v42 :: v_dual_ashrrev_i32 v33, 31, v32
	v_dual_ashrrev_i32 v39, 31, v38 :: v_dual_add_nc_u32 v46, s9, v44
	s_delay_alu instid0(VALU_DEP_1) | instskip(NEXT) | instid1(VALU_DEP_1)
	v_add_nc_u32_e32 v48, s9, v46
	v_add_nc_u32_e32 v50, s9, v48
	s_delay_alu instid0(VALU_DEP_1)
	v_dual_ashrrev_i32 v45, 31, v44 :: v_dual_ashrrev_i32 v51, 31, v50
	v_add_nc_u32_e32 v52, s9, v50
	s_clause 0x7
	global_load_b32 v88, v36, s[6:7] scale_offset
	global_load_b32 v89, v38, s[6:7] scale_offset
	;; [unrolled: 1-line block ×8, first 2 shown]
	v_dual_ashrrev_i32 v41, 31, v40 :: v_dual_ashrrev_i32 v47, 31, v46
	v_add_nc_u32_e32 v54, s9, v52
	s_delay_alu instid0(VALU_DEP_1) | instskip(NEXT) | instid1(VALU_DEP_1)
	v_add_nc_u32_e32 v56, s9, v54
	v_add_nc_u32_e32 v58, s9, v56
	s_delay_alu instid0(VALU_DEP_1) | instskip(NEXT) | instid1(VALU_DEP_1)
	v_dual_add_nc_u32 v60, s9, v58 :: v_dual_ashrrev_i32 v49, 31, v48
	v_dual_ashrrev_i32 v55, 31, v54 :: v_dual_add_nc_u32 v62, s9, v60
	s_delay_alu instid0(VALU_DEP_1) | instskip(SKIP_1) | instid1(VALU_DEP_1)
	v_dual_ashrrev_i32 v57, 31, v56 :: v_dual_ashrrev_i32 v63, 31, v62
	v_dual_add_nc_u32 v64, s9, v62 :: v_dual_ashrrev_i32 v53, 31, v52
	v_dual_ashrrev_i32 v59, 31, v58 :: v_dual_add_nc_u32 v66, s9, v64
	s_delay_alu instid0(VALU_DEP_1) | instskip(SKIP_1) | instid1(VALU_DEP_1)
	v_dual_ashrrev_i32 v61, 31, v60 :: v_dual_ashrrev_i32 v67, 31, v66
	v_add_nc_u32_e32 v68, s9, v66
	v_add_nc_u32_e32 v70, s9, v68
	s_clause 0x9
	global_load_b32 v100, v52, s[6:7] scale_offset
	global_load_b32 v101, v54, s[6:7] scale_offset
	;; [unrolled: 1-line block ×10, first 2 shown]
	v_ashrrev_i32_e32 v65, 31, v64
	v_ashrrev_i32_e32 v69, 31, v68
	s_wait_loadcnt 0x1e
	ds_store_b128 v95, v[72:75] offset:288
	s_wait_loadcnt 0x1a
	ds_store_b128 v95, v[76:79] offset:304
	v_ashrrev_i32_e32 v71, 31, v70
	s_wait_loadcnt 0x16
	ds_store_b128 v95, v[80:83] offset:320
	s_wait_loadcnt 0x12
	ds_store_b128 v95, v[84:87] offset:336
	;; [unrolled: 2-line block ×6, first 2 shown]
	s_wait_loadcnt 0x0
	ds_store_b64 v95, v[92:93] offset:416
	s_cbranch_scc1 .LBB33_3
; %bb.2:
	v_lshl_add_u32 v72, v94, 2, v7
	ds_load_b32 v1, v72
	s_wait_dscnt 0x0
	v_div_scale_f32 v73, null, v1, v1, 1.0
	s_delay_alu instid0(VALU_DEP_1) | instskip(SKIP_1) | instid1(TRANS32_DEP_1)
	v_rcp_f32_e32 v74, v73
	v_nop
	v_fma_f32 v75, -v73, v74, 1.0
	s_delay_alu instid0(VALU_DEP_1) | instskip(SKIP_1) | instid1(VALU_DEP_1)
	v_fmac_f32_e32 v74, v75, v74
	v_div_scale_f32 v75, vcc_lo, 1.0, v1, 1.0
	v_mul_f32_e32 v76, v75, v74
	s_delay_alu instid0(VALU_DEP_1) | instskip(NEXT) | instid1(VALU_DEP_1)
	v_fma_f32 v77, -v73, v76, v75
	v_fmac_f32_e32 v76, v77, v74
	s_delay_alu instid0(VALU_DEP_1) | instskip(NEXT) | instid1(VALU_DEP_1)
	v_fma_f32 v73, -v73, v76, v75
	v_div_fmas_f32 v73, v73, v74, v76
	s_delay_alu instid0(VALU_DEP_1) | instskip(NEXT) | instid1(VALU_DEP_1)
	v_div_fixup_f32 v73, v73, v1, 1.0
	v_xor_b32_e32 v1, 0x80000000, v73
	ds_store_b32 v72, v73
.LBB33_3:
	v_add_nc_u32_e32 v96, 0x90, v6
	v_add_nc_u32_e32 v97, v7, v6
	s_cmp_eq_u32 s4, 0x79
	s_mov_b32 s1, -1
	ds_store_b32 v6, v1
	s_cbranch_scc1 .LBB33_327
; %bb.4:
	ds_load_b32 v1, v7 offset:128
	v_cmp_eq_u32_e64 s0, 33, v94
	s_wait_dscnt 0x0
	ds_store_b32 v96, v1
	s_wait_dscnt 0x0
	s_barrier_signal -1
	s_barrier_wait -1
	s_and_saveexec_b32 s1, s0
	s_cbranch_execz .LBB33_10
; %bb.5:
	s_and_b32 vcc_lo, exec_lo, s3
	s_cbranch_vccz .LBB33_7
; %bb.6:
	ds_load_b32 v1, v97
	ds_load_b32 v72, v96
	s_wait_dscnt 0x0
	v_mul_f32_e32 v1, v1, v72
	s_cbranch_execz .LBB33_8
	s_branch .LBB33_9
.LBB33_7:
                                        ; implicit-def: $vgpr1
.LBB33_8:
	ds_load_b32 v1, v96
.LBB33_9:
	v_mov_b32_e32 v72, 0
	ds_load_b32 v72, v72 offset:128
	s_wait_dscnt 0x0
	v_mul_f32_e32 v1, v1, v72
	ds_store_b32 v7, v1 offset:128
.LBB33_10:
	s_or_b32 exec_lo, exec_lo, s1
	ds_load_b32 v1, v7 offset:124
	v_cmp_lt_u32_e64 s1, 31, v94
	s_wait_dscnt 0x0
	ds_store_b32 v96, v1
	s_wait_dscnt 0x0
	s_barrier_signal -1
	s_barrier_wait -1
	s_and_saveexec_b32 s2, s1
	s_cbranch_execz .LBB33_16
; %bb.11:
	s_and_not1_b32 vcc_lo, exec_lo, s3
	s_cbranch_vccnz .LBB33_13
; %bb.12:
	ds_load_b32 v1, v97
	ds_load_b32 v72, v96
	s_wait_dscnt 0x0
	v_mul_f32_e32 v1, v1, v72
	s_cbranch_execz .LBB33_14
	s_branch .LBB33_15
.LBB33_13:
                                        ; implicit-def: $vgpr1
.LBB33_14:
	ds_load_b32 v1, v96
.LBB33_15:
	v_mov_b32_e32 v72, 0
	ds_load_b32 v74, v7 offset:128
	ds_load_2addr_b32 v[72:73], v72 offset0:31 offset1:68
	s_wait_dscnt 0x0
	v_fma_f32 v73, v74, v73, v1
	s_delay_alu instid0(VALU_DEP_1) | instskip(NEXT) | instid1(VALU_DEP_1)
	v_cndmask_b32_e64 v1, v1, v73, s0
	v_mul_f32_e32 v1, v1, v72
	ds_store_b32 v7, v1 offset:124
.LBB33_16:
	s_or_b32 exec_lo, exec_lo, s2
	ds_load_b32 v1, v7 offset:120
	v_cmp_lt_u32_e64 s0, 30, v94
	s_wait_dscnt 0x0
	ds_store_b32 v96, v1
	s_wait_dscnt 0x0
	s_barrier_signal -1
	s_barrier_wait -1
	s_and_saveexec_b32 s2, s0
	s_cbranch_execz .LBB33_26
; %bb.17:
	s_and_not1_b32 vcc_lo, exec_lo, s3
	s_cbranch_vccnz .LBB33_19
; %bb.18:
	ds_load_b32 v1, v97
	ds_load_b32 v72, v96
	s_wait_dscnt 0x0
	v_mul_f32_e32 v1, v1, v72
	s_cbranch_execz .LBB33_20
	s_branch .LBB33_21
.LBB33_19:
                                        ; implicit-def: $vgpr1
.LBB33_20:
	ds_load_b32 v1, v96
.LBB33_21:
	s_and_saveexec_b32 s4, s1
	s_cbranch_execz .LBB33_25
; %bb.22:
	s_movk_i32 s1, 0x88
	v_subrev_nc_u32_e32 v73, 31, v94
	v_mad_u32 v72, v0, s1, 0x19c
	s_movk_i32 s5, 0x10c
	s_mov_b32 s1, 0
.LBB33_23:                              ; =>This Inner Loop Header: Depth=1
	s_delay_alu instid0(VALU_DEP_2)
	v_dual_mov_b32 v74, s5 :: v_dual_add_nc_u32 v73, -1, v73
	s_add_co_i32 s5, s5, 4
	ds_load_b32 v75, v72
	ds_load_b32 v74, v74
	v_add_nc_u32_e32 v72, 4, v72
	v_cmp_eq_u32_e32 vcc_lo, 0, v73
	s_or_b32 s1, vcc_lo, s1
	s_wait_dscnt 0x0
	v_fmac_f32_e32 v1, v75, v74
	s_and_not1_b32 exec_lo, exec_lo, s1
	s_cbranch_execnz .LBB33_23
; %bb.24:
	s_or_b32 exec_lo, exec_lo, s1
.LBB33_25:
	s_delay_alu instid0(SALU_CYCLE_1)
	s_or_b32 exec_lo, exec_lo, s4
	v_mov_b32_e32 v72, 0
	ds_load_b32 v72, v72 offset:120
	s_wait_dscnt 0x0
	v_mul_f32_e32 v1, v1, v72
	ds_store_b32 v7, v1 offset:120
.LBB33_26:
	s_or_b32 exec_lo, exec_lo, s2
	ds_load_b32 v1, v7 offset:116
	v_cmp_lt_u32_e64 s1, 29, v94
	s_wait_dscnt 0x0
	ds_store_b32 v96, v1
	s_wait_dscnt 0x0
	s_barrier_signal -1
	s_barrier_wait -1
	s_and_saveexec_b32 s2, s1
	s_cbranch_execz .LBB33_36
; %bb.27:
	s_and_not1_b32 vcc_lo, exec_lo, s3
	s_cbranch_vccnz .LBB33_29
; %bb.28:
	ds_load_b32 v1, v97
	ds_load_b32 v72, v96
	s_wait_dscnt 0x0
	v_mul_f32_e32 v1, v1, v72
	s_cbranch_execz .LBB33_30
	s_branch .LBB33_31
.LBB33_29:
                                        ; implicit-def: $vgpr1
.LBB33_30:
	ds_load_b32 v1, v96
.LBB33_31:
	s_and_saveexec_b32 s4, s0
	s_cbranch_execz .LBB33_35
; %bb.32:
	s_movk_i32 s0, 0x88
	v_subrev_nc_u32_e32 v73, 30, v94
	v_mad_u32 v72, v0, s0, 0x198
	s_movk_i32 s5, 0x108
	s_mov_b32 s0, 0
.LBB33_33:                              ; =>This Inner Loop Header: Depth=1
	s_delay_alu instid0(VALU_DEP_2)
	v_dual_mov_b32 v74, s5 :: v_dual_add_nc_u32 v73, -1, v73
	s_add_co_i32 s5, s5, 4
	ds_load_b32 v75, v72
	ds_load_b32 v74, v74
	v_add_nc_u32_e32 v72, 4, v72
	v_cmp_eq_u32_e32 vcc_lo, 0, v73
	s_or_b32 s0, vcc_lo, s0
	s_wait_dscnt 0x0
	v_fmac_f32_e32 v1, v75, v74
	s_and_not1_b32 exec_lo, exec_lo, s0
	s_cbranch_execnz .LBB33_33
; %bb.34:
	s_or_b32 exec_lo, exec_lo, s0
.LBB33_35:
	s_delay_alu instid0(SALU_CYCLE_1)
	s_or_b32 exec_lo, exec_lo, s4
	v_mov_b32_e32 v72, 0
	ds_load_b32 v72, v72 offset:116
	s_wait_dscnt 0x0
	v_mul_f32_e32 v1, v1, v72
	ds_store_b32 v7, v1 offset:116
.LBB33_36:
	;; [unrolled: 57-line block ×8, first 2 shown]
	s_or_b32 exec_lo, exec_lo, s2
	ds_load_b32 v1, v7 offset:88
	v_cmp_lt_u32_e64 s0, 22, v94
	s_wait_dscnt 0x0
	ds_store_b32 v96, v1
	s_wait_dscnt 0x0
	s_barrier_signal -1
	s_barrier_wait -1
	s_and_saveexec_b32 s2, s0
	s_cbranch_execz .LBB33_106
; %bb.97:
	s_and_not1_b32 vcc_lo, exec_lo, s3
	s_cbranch_vccnz .LBB33_99
; %bb.98:
	ds_load_b32 v1, v97
	ds_load_b32 v72, v96
	s_wait_dscnt 0x0
	v_mul_f32_e32 v1, v1, v72
	s_cbranch_execz .LBB33_100
	s_branch .LBB33_101
.LBB33_99:
                                        ; implicit-def: $vgpr1
.LBB33_100:
	ds_load_b32 v1, v96
.LBB33_101:
	s_and_saveexec_b32 s4, s1
	s_cbranch_execz .LBB33_105
; %bb.102:
	s_movk_i32 s1, 0x88
	v_subrev_nc_u32_e32 v73, 23, v94
	v_mad_u32 v72, v0, s1, 0x17c
	s_movk_i32 s5, 0xec
	s_mov_b32 s1, 0
.LBB33_103:                             ; =>This Inner Loop Header: Depth=1
	s_delay_alu instid0(VALU_DEP_2)
	v_dual_mov_b32 v74, s5 :: v_dual_add_nc_u32 v73, -1, v73
	s_add_co_i32 s5, s5, 4
	ds_load_b32 v75, v72
	ds_load_b32 v74, v74
	v_add_nc_u32_e32 v72, 4, v72
	v_cmp_eq_u32_e32 vcc_lo, 0, v73
	s_or_b32 s1, vcc_lo, s1
	s_wait_dscnt 0x0
	v_fmac_f32_e32 v1, v75, v74
	s_and_not1_b32 exec_lo, exec_lo, s1
	s_cbranch_execnz .LBB33_103
; %bb.104:
	s_or_b32 exec_lo, exec_lo, s1
.LBB33_105:
	s_delay_alu instid0(SALU_CYCLE_1)
	s_or_b32 exec_lo, exec_lo, s4
	v_mov_b32_e32 v72, 0
	ds_load_b32 v72, v72 offset:88
	s_wait_dscnt 0x0
	v_mul_f32_e32 v1, v1, v72
	ds_store_b32 v7, v1 offset:88
.LBB33_106:
	s_or_b32 exec_lo, exec_lo, s2
	ds_load_b32 v1, v7 offset:84
	v_cmp_lt_u32_e64 s1, 21, v94
	s_wait_dscnt 0x0
	ds_store_b32 v96, v1
	s_wait_dscnt 0x0
	s_barrier_signal -1
	s_barrier_wait -1
	s_and_saveexec_b32 s2, s1
	s_cbranch_execz .LBB33_116
; %bb.107:
	s_and_not1_b32 vcc_lo, exec_lo, s3
	s_cbranch_vccnz .LBB33_109
; %bb.108:
	ds_load_b32 v1, v97
	ds_load_b32 v72, v96
	s_wait_dscnt 0x0
	v_mul_f32_e32 v1, v1, v72
	s_cbranch_execz .LBB33_110
	s_branch .LBB33_111
.LBB33_109:
                                        ; implicit-def: $vgpr1
.LBB33_110:
	ds_load_b32 v1, v96
.LBB33_111:
	s_and_saveexec_b32 s4, s0
	s_cbranch_execz .LBB33_115
; %bb.112:
	s_movk_i32 s0, 0x88
	v_subrev_nc_u32_e32 v73, 22, v94
	v_mad_u32 v72, v0, s0, 0x178
	s_movk_i32 s5, 0xe8
	s_mov_b32 s0, 0
.LBB33_113:                             ; =>This Inner Loop Header: Depth=1
	s_delay_alu instid0(VALU_DEP_2)
	v_dual_mov_b32 v74, s5 :: v_dual_add_nc_u32 v73, -1, v73
	s_add_co_i32 s5, s5, 4
	ds_load_b32 v75, v72
	ds_load_b32 v74, v74
	v_add_nc_u32_e32 v72, 4, v72
	v_cmp_eq_u32_e32 vcc_lo, 0, v73
	s_or_b32 s0, vcc_lo, s0
	s_wait_dscnt 0x0
	v_fmac_f32_e32 v1, v75, v74
	s_and_not1_b32 exec_lo, exec_lo, s0
	s_cbranch_execnz .LBB33_113
; %bb.114:
	s_or_b32 exec_lo, exec_lo, s0
.LBB33_115:
	s_delay_alu instid0(SALU_CYCLE_1)
	s_or_b32 exec_lo, exec_lo, s4
	v_mov_b32_e32 v72, 0
	ds_load_b32 v72, v72 offset:84
	s_wait_dscnt 0x0
	v_mul_f32_e32 v1, v1, v72
	ds_store_b32 v7, v1 offset:84
.LBB33_116:
	;; [unrolled: 57-line block ×7, first 2 shown]
	s_or_b32 exec_lo, exec_lo, s2
	ds_load_b32 v1, v7 offset:60
	v_cmp_lt_u32_e64 s1, 15, v94
	s_wait_dscnt 0x0
	ds_store_b32 v96, v1
	s_wait_dscnt 0x0
	s_barrier_signal -1
	s_barrier_wait -1
	s_and_saveexec_b32 s2, s1
	s_cbranch_execz .LBB33_176
; %bb.167:
	s_and_not1_b32 vcc_lo, exec_lo, s3
	s_cbranch_vccnz .LBB33_169
; %bb.168:
	ds_load_b32 v1, v97
	ds_load_b32 v72, v96
	s_wait_dscnt 0x0
	v_mul_f32_e32 v1, v1, v72
	s_cbranch_execz .LBB33_170
	s_branch .LBB33_171
.LBB33_169:
                                        ; implicit-def: $vgpr1
.LBB33_170:
	ds_load_b32 v1, v96
.LBB33_171:
	s_and_saveexec_b32 s4, s0
	s_cbranch_execz .LBB33_175
; %bb.172:
	s_movk_i32 s0, 0x88
	v_add_nc_u32_e32 v73, -16, v94
	v_mad_u32 v72, v0, s0, 0x160
	s_movk_i32 s5, 0xd0
	s_mov_b32 s0, 0
.LBB33_173:                             ; =>This Inner Loop Header: Depth=1
	s_delay_alu instid0(VALU_DEP_2)
	v_dual_mov_b32 v74, s5 :: v_dual_add_nc_u32 v73, -1, v73
	s_add_co_i32 s5, s5, 4
	ds_load_b32 v75, v72
	ds_load_b32 v74, v74
	v_add_nc_u32_e32 v72, 4, v72
	v_cmp_eq_u32_e32 vcc_lo, 0, v73
	s_or_b32 s0, vcc_lo, s0
	s_wait_dscnt 0x0
	v_fmac_f32_e32 v1, v75, v74
	s_and_not1_b32 exec_lo, exec_lo, s0
	s_cbranch_execnz .LBB33_173
; %bb.174:
	s_or_b32 exec_lo, exec_lo, s0
.LBB33_175:
	s_delay_alu instid0(SALU_CYCLE_1)
	s_or_b32 exec_lo, exec_lo, s4
	v_mov_b32_e32 v72, 0
	ds_load_b32 v72, v72 offset:60
	s_wait_dscnt 0x0
	v_mul_f32_e32 v1, v1, v72
	ds_store_b32 v7, v1 offset:60
.LBB33_176:
	s_or_b32 exec_lo, exec_lo, s2
	ds_load_b32 v1, v7 offset:56
	v_cmp_lt_u32_e64 s0, 14, v94
	s_wait_dscnt 0x0
	ds_store_b32 v96, v1
	s_wait_dscnt 0x0
	s_barrier_signal -1
	s_barrier_wait -1
	s_and_saveexec_b32 s2, s0
	s_cbranch_execz .LBB33_186
; %bb.177:
	s_and_not1_b32 vcc_lo, exec_lo, s3
	s_cbranch_vccnz .LBB33_179
; %bb.178:
	ds_load_b32 v1, v97
	ds_load_b32 v72, v96
	s_wait_dscnt 0x0
	v_mul_f32_e32 v1, v1, v72
	s_cbranch_execz .LBB33_180
	s_branch .LBB33_181
.LBB33_179:
                                        ; implicit-def: $vgpr1
.LBB33_180:
	ds_load_b32 v1, v96
.LBB33_181:
	s_and_saveexec_b32 s4, s1
	s_cbranch_execz .LBB33_185
; %bb.182:
	s_movk_i32 s1, 0x88
	v_add_nc_u32_e32 v73, -15, v94
	v_mad_u32 v72, v0, s1, 0x15c
	s_movk_i32 s5, 0xcc
	s_mov_b32 s1, 0
.LBB33_183:                             ; =>This Inner Loop Header: Depth=1
	s_delay_alu instid0(VALU_DEP_2)
	v_dual_mov_b32 v74, s5 :: v_dual_add_nc_u32 v73, -1, v73
	s_add_co_i32 s5, s5, 4
	ds_load_b32 v75, v72
	ds_load_b32 v74, v74
	v_add_nc_u32_e32 v72, 4, v72
	v_cmp_eq_u32_e32 vcc_lo, 0, v73
	s_or_b32 s1, vcc_lo, s1
	s_wait_dscnt 0x0
	v_fmac_f32_e32 v1, v75, v74
	s_and_not1_b32 exec_lo, exec_lo, s1
	s_cbranch_execnz .LBB33_183
; %bb.184:
	s_or_b32 exec_lo, exec_lo, s1
.LBB33_185:
	s_delay_alu instid0(SALU_CYCLE_1)
	s_or_b32 exec_lo, exec_lo, s4
	v_mov_b32_e32 v72, 0
	ds_load_b32 v72, v72 offset:56
	s_wait_dscnt 0x0
	v_mul_f32_e32 v1, v1, v72
	ds_store_b32 v7, v1 offset:56
.LBB33_186:
	;; [unrolled: 57-line block ×15, first 2 shown]
	s_or_b32 exec_lo, exec_lo, s1
	ds_load_b32 v1, v7
	s_mov_b32 s1, 0
	s_mov_b32 s2, exec_lo
	s_wait_dscnt 0x0
	ds_store_b32 v96, v1
	s_wait_dscnt 0x0
	s_barrier_signal -1
	s_barrier_wait -1
	v_cmpx_ne_u32_e32 0, v94
	s_cbranch_execz .LBB33_326
; %bb.317:
	s_and_not1_b32 vcc_lo, exec_lo, s3
	s_cbranch_vccnz .LBB33_319
; %bb.318:
	ds_load_b32 v1, v97
	ds_load_b32 v72, v96
	s_wait_dscnt 0x0
	v_mul_f32_e32 v1, v1, v72
	s_cbranch_execz .LBB33_320
	s_branch .LBB33_321
.LBB33_319:
                                        ; implicit-def: $vgpr1
.LBB33_320:
	ds_load_b32 v1, v96
.LBB33_321:
	s_and_saveexec_b32 s4, s0
	s_cbranch_execz .LBB33_325
; %bb.322:
	s_movk_i32 s0, 0x88
	v_add_nc_u32_e32 v72, -1, v94
	v_mad_u32 v0, v0, s0, 0x124
	s_movk_i32 s5, 0x94
	s_mov_b32 s0, 0
.LBB33_323:                             ; =>This Inner Loop Header: Depth=1
	s_delay_alu instid0(VALU_DEP_2)
	v_dual_mov_b32 v73, s5 :: v_dual_add_nc_u32 v72, -1, v72
	s_add_co_i32 s5, s5, 4
	ds_load_b32 v74, v0
	ds_load_b32 v73, v73
	v_add_nc_u32_e32 v0, 4, v0
	v_cmp_eq_u32_e32 vcc_lo, 0, v72
	s_or_b32 s0, vcc_lo, s0
	s_wait_dscnt 0x0
	v_fmac_f32_e32 v1, v74, v73
	s_and_not1_b32 exec_lo, exec_lo, s0
	s_cbranch_execnz .LBB33_323
; %bb.324:
	s_or_b32 exec_lo, exec_lo, s0
.LBB33_325:
	s_delay_alu instid0(SALU_CYCLE_1)
	s_or_b32 exec_lo, exec_lo, s4
	v_mov_b32_e32 v0, 0
	ds_load_b32 v0, v0
	s_wait_dscnt 0x0
	v_mul_f32_e32 v0, v1, v0
	ds_store_b32 v7, v0
.LBB33_326:
	s_or_b32 exec_lo, exec_lo, s2
.LBB33_327:
	v_lshl_add_u64 v[72:73], v[8:9], 2, s[6:7]
	v_lshl_add_u64 v[74:75], v[10:11], 2, s[6:7]
	;; [unrolled: 1-line block ×32, first 2 shown]
	s_and_b32 vcc_lo, exec_lo, s1
	s_cbranch_vccz .LBB33_649
; %bb.328:
	ds_load_b32 v48, v7 offset:4
	v_cmp_eq_u32_e64 s0, 0, v94
	s_wait_dscnt 0x0
	ds_store_b32 v96, v48
	s_wait_dscnt 0x0
	s_barrier_signal -1
	s_barrier_wait -1
	s_and_saveexec_b32 s1, s0
	s_cbranch_execz .LBB33_334
; %bb.329:
	s_and_b32 vcc_lo, exec_lo, s3
	s_cbranch_vccz .LBB33_331
; %bb.330:
	ds_load_b32 v48, v97
	ds_load_b32 v49, v96
	s_wait_dscnt 0x0
	v_mul_f32_e32 v48, v48, v49
	s_cbranch_execz .LBB33_332
	s_branch .LBB33_333
.LBB33_331:
                                        ; implicit-def: $vgpr48
.LBB33_332:
	ds_load_b32 v48, v96
.LBB33_333:
	v_mov_b32_e32 v49, 0
	ds_load_b32 v49, v49 offset:4
	s_wait_dscnt 0x0
	v_mul_f32_e32 v48, v48, v49
	ds_store_b32 v7, v48 offset:4
.LBB33_334:
	s_or_b32 exec_lo, exec_lo, s1
	ds_load_b32 v49, v7 offset:8
	v_cndmask_b32_e64 v48, 0, 1, s3
	s_mov_b32 s1, exec_lo
	s_wait_dscnt 0x0
	ds_store_b32 v96, v49
	s_wait_dscnt 0x0
	s_barrier_signal -1
	s_barrier_wait -1
	v_cmpx_gt_u32_e32 2, v94
	s_cbranch_execz .LBB33_340
; %bb.335:
	s_and_not1_b32 vcc_lo, exec_lo, s3
	s_cbranch_vccnz .LBB33_337
; %bb.336:
	ds_load_b32 v49, v97
	ds_load_b32 v50, v96
	s_wait_dscnt 0x0
	v_mul_f32_e32 v49, v49, v50
	s_cbranch_execz .LBB33_338
	s_branch .LBB33_339
.LBB33_337:
                                        ; implicit-def: $vgpr49
.LBB33_338:
	ds_load_b32 v49, v96
.LBB33_339:
	v_mov_b32_e32 v50, 0
	ds_load_b32 v52, v7 offset:4
	ds_load_2addr_b32 v[50:51], v50 offset0:2 offset1:37
	s_wait_dscnt 0x0
	v_fma_f32 v51, v52, v51, v49
	s_delay_alu instid0(VALU_DEP_1) | instskip(NEXT) | instid1(VALU_DEP_1)
	v_cndmask_b32_e64 v49, v49, v51, s0
	v_mul_f32_e32 v49, v49, v50
	ds_store_b32 v7, v49 offset:8
.LBB33_340:
	s_or_b32 exec_lo, exec_lo, s1
	ds_load_b32 v49, v7 offset:12
	s_mov_b32 s1, exec_lo
	s_wait_dscnt 0x0
	ds_store_b32 v96, v49
	s_wait_dscnt 0x0
	s_barrier_signal -1
	s_barrier_wait -1
	v_cmpx_gt_u32_e32 3, v94
	s_cbranch_execz .LBB33_348
; %bb.341:
	v_cmp_ne_u32_e32 vcc_lo, 1, v48
	s_cbranch_vccnz .LBB33_343
; %bb.342:
	ds_load_b32 v49, v97
	ds_load_b32 v50, v96
	s_wait_dscnt 0x0
	v_mul_f32_e32 v49, v49, v50
	s_cbranch_execz .LBB33_344
	s_branch .LBB33_345
.LBB33_343:
                                        ; implicit-def: $vgpr49
.LBB33_344:
	ds_load_b32 v49, v96
.LBB33_345:
	s_mov_b32 s2, exec_lo
	v_cmpx_ne_u32_e32 2, v94
	s_cbranch_execz .LBB33_347
; %bb.346:
	ds_load_b32 v50, v97 offset:4
	ds_load_b32 v51, v96 offset:4
	s_wait_dscnt 0x0
	v_dual_mov_b32 v52, 0 :: v_dual_fmac_f32 v49, v50, v51
	ds_load_b32 v53, v7 offset:8
	ds_load_b32 v52, v52 offset:152
	s_wait_dscnt 0x0
	v_fma_f32 v50, v53, v52, v49
	s_delay_alu instid0(VALU_DEP_1)
	v_cndmask_b32_e64 v49, v49, v50, s0
.LBB33_347:
	s_or_b32 exec_lo, exec_lo, s2
	v_mov_b32_e32 v50, 0
	ds_load_b32 v50, v50 offset:12
	s_wait_dscnt 0x0
	v_mul_f32_e32 v49, v49, v50
	ds_store_b32 v7, v49 offset:12
.LBB33_348:
	s_or_b32 exec_lo, exec_lo, s1
	ds_load_b32 v49, v7 offset:16
	s_mov_b32 s0, exec_lo
	s_wait_dscnt 0x0
	ds_store_b32 v96, v49
	s_wait_dscnt 0x0
	s_barrier_signal -1
	s_barrier_wait -1
	v_cmpx_gt_u32_e32 4, v94
	s_cbranch_execz .LBB33_358
; %bb.349:
	v_cmp_ne_u32_e32 vcc_lo, 1, v48
	s_cbranch_vccnz .LBB33_351
; %bb.350:
	ds_load_b32 v49, v97
	ds_load_b32 v50, v96
	s_wait_dscnt 0x0
	v_mul_f32_e32 v49, v49, v50
	s_cbranch_execz .LBB33_352
	s_branch .LBB33_353
.LBB33_351:
                                        ; implicit-def: $vgpr49
.LBB33_352:
	ds_load_b32 v49, v96
.LBB33_353:
	s_mov_b32 s1, exec_lo
	v_cmpx_ne_u32_e32 3, v94
	s_cbranch_execz .LBB33_357
; %bb.354:
	v_add_nc_u32_e32 v50, 0x94, v6
	v_add3_u32 v51, v95, v6, 0x124
	v_mov_b32_e32 v52, v94
	s_mov_b32 s2, 0
.LBB33_355:                             ; =>This Inner Loop Header: Depth=1
	ds_load_b32 v53, v51
	ds_load_b32 v54, v50
	v_dual_add_nc_u32 v52, 1, v52 :: v_dual_add_nc_u32 v50, 4, v50
	v_add_nc_u32_e32 v51, 4, v51
	s_delay_alu instid0(VALU_DEP_2)
	v_cmp_lt_u32_e32 vcc_lo, 2, v52
	s_or_b32 s2, vcc_lo, s2
	s_wait_dscnt 0x0
	v_fmac_f32_e32 v49, v53, v54
	s_and_not1_b32 exec_lo, exec_lo, s2
	s_cbranch_execnz .LBB33_355
; %bb.356:
	s_or_b32 exec_lo, exec_lo, s2
.LBB33_357:
	s_delay_alu instid0(SALU_CYCLE_1)
	s_or_b32 exec_lo, exec_lo, s1
	v_mov_b32_e32 v50, 0
	ds_load_b32 v50, v50 offset:16
	s_wait_dscnt 0x0
	v_mul_f32_e32 v49, v49, v50
	ds_store_b32 v7, v49 offset:16
.LBB33_358:
	s_or_b32 exec_lo, exec_lo, s0
	ds_load_b32 v49, v7 offset:20
	s_mov_b32 s0, exec_lo
	s_wait_dscnt 0x0
	ds_store_b32 v96, v49
	s_wait_dscnt 0x0
	s_barrier_signal -1
	s_barrier_wait -1
	v_cmpx_gt_u32_e32 5, v94
	s_cbranch_execz .LBB33_368
; %bb.359:
	v_cmp_ne_u32_e32 vcc_lo, 1, v48
	s_cbranch_vccnz .LBB33_361
; %bb.360:
	ds_load_b32 v49, v97
	ds_load_b32 v50, v96
	s_wait_dscnt 0x0
	v_mul_f32_e32 v49, v49, v50
	s_cbranch_execz .LBB33_362
	s_branch .LBB33_363
.LBB33_361:
                                        ; implicit-def: $vgpr49
.LBB33_362:
	ds_load_b32 v49, v96
.LBB33_363:
	s_mov_b32 s1, exec_lo
	v_cmpx_ne_u32_e32 4, v94
	s_cbranch_execz .LBB33_367
; %bb.364:
	v_add_nc_u32_e32 v50, 0x94, v6
	v_add3_u32 v51, v95, v6, 0x124
	v_mov_b32_e32 v52, v94
	s_mov_b32 s2, 0
.LBB33_365:                             ; =>This Inner Loop Header: Depth=1
	ds_load_b32 v53, v51
	ds_load_b32 v54, v50
	v_dual_add_nc_u32 v52, 1, v52 :: v_dual_add_nc_u32 v50, 4, v50
	v_add_nc_u32_e32 v51, 4, v51
	s_delay_alu instid0(VALU_DEP_2)
	v_cmp_lt_u32_e32 vcc_lo, 3, v52
	s_or_b32 s2, vcc_lo, s2
	s_wait_dscnt 0x0
	v_fmac_f32_e32 v49, v53, v54
	s_and_not1_b32 exec_lo, exec_lo, s2
	s_cbranch_execnz .LBB33_365
; %bb.366:
	s_or_b32 exec_lo, exec_lo, s2
.LBB33_367:
	s_delay_alu instid0(SALU_CYCLE_1)
	s_or_b32 exec_lo, exec_lo, s1
	v_mov_b32_e32 v50, 0
	ds_load_b32 v50, v50 offset:20
	s_wait_dscnt 0x0
	v_mul_f32_e32 v49, v49, v50
	ds_store_b32 v7, v49 offset:20
.LBB33_368:
	;; [unrolled: 56-line block ×28, first 2 shown]
	s_or_b32 exec_lo, exec_lo, s0
	ds_load_b32 v49, v7 offset:128
	v_cmp_gt_u32_e64 s0, 32, v94
	s_wait_dscnt 0x0
	ds_store_b32 v96, v49
	s_wait_dscnt 0x0
	s_barrier_signal -1
	s_barrier_wait -1
	s_and_saveexec_b32 s1, s0
	s_cbranch_execz .LBB33_638
; %bb.629:
	v_cmp_ne_u32_e32 vcc_lo, 1, v48
	s_cbranch_vccnz .LBB33_631
; %bb.630:
	ds_load_b32 v49, v97
	ds_load_b32 v50, v96
	s_wait_dscnt 0x0
	v_mul_f32_e32 v49, v49, v50
	s_cbranch_execz .LBB33_632
	s_branch .LBB33_633
.LBB33_631:
                                        ; implicit-def: $vgpr49
.LBB33_632:
	ds_load_b32 v49, v96
.LBB33_633:
	s_mov_b32 s2, exec_lo
	v_cmpx_ne_u32_e32 31, v94
	s_cbranch_execz .LBB33_637
; %bb.634:
	v_add_nc_u32_e32 v50, 0x94, v6
	v_add3_u32 v51, v95, v6, 0x124
	v_mov_b32_e32 v52, v94
	s_mov_b32 s3, 0
.LBB33_635:                             ; =>This Inner Loop Header: Depth=1
	ds_load_b32 v53, v51
	ds_load_b32 v54, v50
	v_dual_add_nc_u32 v52, 1, v52 :: v_dual_add_nc_u32 v50, 4, v50
	v_add_nc_u32_e32 v51, 4, v51
	s_delay_alu instid0(VALU_DEP_2)
	v_cmp_lt_u32_e32 vcc_lo, 30, v52
	s_or_b32 s3, vcc_lo, s3
	s_wait_dscnt 0x0
	v_fmac_f32_e32 v49, v53, v54
	s_and_not1_b32 exec_lo, exec_lo, s3
	s_cbranch_execnz .LBB33_635
; %bb.636:
	s_or_b32 exec_lo, exec_lo, s3
.LBB33_637:
	s_delay_alu instid0(SALU_CYCLE_1)
	s_or_b32 exec_lo, exec_lo, s2
	v_mov_b32_e32 v50, 0
	ds_load_b32 v50, v50 offset:128
	s_wait_dscnt 0x0
	v_mul_f32_e32 v49, v49, v50
	ds_store_b32 v7, v49 offset:128
.LBB33_638:
	s_or_b32 exec_lo, exec_lo, s1
	ds_load_b32 v49, v7 offset:132
	s_mov_b32 s1, exec_lo
	s_wait_dscnt 0x0
	ds_store_b32 v96, v49
	s_wait_dscnt 0x0
	s_barrier_signal -1
	s_barrier_wait -1
	v_cmpx_ne_u32_e32 33, v94
	s_cbranch_execz .LBB33_648
; %bb.639:
	v_cmp_ne_u32_e32 vcc_lo, 1, v48
	s_cbranch_vccnz .LBB33_641
; %bb.640:
	ds_load_b32 v48, v97
	ds_load_b32 v49, v96
	s_wait_dscnt 0x0
	v_mul_f32_e32 v48, v48, v49
	s_cbranch_execz .LBB33_642
	s_branch .LBB33_643
.LBB33_641:
                                        ; implicit-def: $vgpr48
.LBB33_642:
	ds_load_b32 v48, v96
.LBB33_643:
	s_and_saveexec_b32 s2, s0
	s_cbranch_execz .LBB33_647
; %bb.644:
	v_add_nc_u32_e32 v49, 0x94, v6
	v_add3_u32 v6, v95, v6, 0x124
	s_mov_b32 s0, 0
.LBB33_645:                             ; =>This Inner Loop Header: Depth=1
	ds_load_b32 v50, v6
	ds_load_b32 v51, v49
	v_dual_add_nc_u32 v94, 1, v94 :: v_dual_add_nc_u32 v49, 4, v49
	v_add_nc_u32_e32 v6, 4, v6
	s_delay_alu instid0(VALU_DEP_2)
	v_cmp_lt_u32_e32 vcc_lo, 31, v94
	s_or_b32 s0, vcc_lo, s0
	s_wait_dscnt 0x0
	v_fmac_f32_e32 v48, v50, v51
	s_and_not1_b32 exec_lo, exec_lo, s0
	s_cbranch_execnz .LBB33_645
; %bb.646:
	s_or_b32 exec_lo, exec_lo, s0
.LBB33_647:
	s_delay_alu instid0(SALU_CYCLE_1)
	s_or_b32 exec_lo, exec_lo, s2
	v_mov_b32_e32 v6, 0
	ds_load_b32 v6, v6 offset:132
	s_wait_dscnt 0x0
	v_mul_f32_e32 v6, v48, v6
	ds_store_b32 v7, v6 offset:132
.LBB33_648:
	s_or_b32 exec_lo, exec_lo, s1
.LBB33_649:
	ds_load_b128 v[48:51], v7
	ds_load_b128 v[52:55], v7 offset:16
	ds_load_b128 v[56:59], v7 offset:32
	ds_load_b128 v[60:63], v7 offset:48
	ds_load_b128 v[64:67], v7 offset:64
	ds_load_b128 v[68:71], v7 offset:80
	ds_load_b128 v[94:97], v7 offset:96
	ds_load_b128 v[98:101], v7 offset:112
	s_wait_dscnt 0x7
	s_clause 0x3
	global_store_b32 v[2:3], v48, off
	global_store_b32 v[4:5], v49, off
	global_store_b32 v[72:73], v50, off
	global_store_b32 v[74:75], v51, off
	s_wait_dscnt 0x6
	s_clause 0x3
	global_store_b32 v[76:77], v52, off
	global_store_b32 v[78:79], v53, off
	global_store_b32 v[80:81], v54, off
	global_store_b32 v[82:83], v55, off
	;; [unrolled: 6-line block ×3, first 2 shown]
	s_wait_dscnt 0x4
	global_store_b32 v[92:93], v60, off
	s_wait_xcnt 0xc
	ds_load_b64 v[2:3], v7 offset:128
	s_clause 0x2
	global_store_b32 v[0:1], v61, off
	global_store_b32 v[8:9], v62, off
	global_store_b32 v[10:11], v63, off
	s_wait_dscnt 0x4
	s_clause 0x3
	global_store_b32 v[12:13], v64, off
	global_store_b32 v[14:15], v65, off
	global_store_b32 v[16:17], v66, off
	global_store_b32 v[18:19], v67, off
	s_wait_dscnt 0x3
	s_clause 0x3
	global_store_b32 v[20:21], v68, off
	;; [unrolled: 6-line block ×5, first 2 shown]
	global_store_b32 v[46:47], v3, off
.LBB33_650:
	s_sendmsg sendmsg(MSG_DEALLOC_VGPRS)
	s_endpgm
	.section	.rodata,"a",@progbits
	.p2align	6, 0x0
	.amdhsa_kernel _ZN9rocsolver6v33100L18trti2_kernel_smallILi34EfPfEEv13rocblas_fill_17rocblas_diagonal_T1_iil
		.amdhsa_group_segment_fixed_size 8992
		.amdhsa_private_segment_fixed_size 0
		.amdhsa_kernarg_size 32
		.amdhsa_user_sgpr_count 4
		.amdhsa_user_sgpr_dispatch_ptr 1
		.amdhsa_user_sgpr_queue_ptr 0
		.amdhsa_user_sgpr_kernarg_segment_ptr 1
		.amdhsa_user_sgpr_dispatch_id 0
		.amdhsa_user_sgpr_kernarg_preload_length 0
		.amdhsa_user_sgpr_kernarg_preload_offset 0
		.amdhsa_user_sgpr_private_segment_size 0
		.amdhsa_wavefront_size32 1
		.amdhsa_uses_dynamic_stack 0
		.amdhsa_enable_private_segment 0
		.amdhsa_system_sgpr_workgroup_id_x 1
		.amdhsa_system_sgpr_workgroup_id_y 0
		.amdhsa_system_sgpr_workgroup_id_z 0
		.amdhsa_system_sgpr_workgroup_info 0
		.amdhsa_system_vgpr_workitem_id 2
		.amdhsa_next_free_vgpr 108
		.amdhsa_next_free_sgpr 14
		.amdhsa_named_barrier_count 0
		.amdhsa_reserve_vcc 1
		.amdhsa_float_round_mode_32 0
		.amdhsa_float_round_mode_16_64 0
		.amdhsa_float_denorm_mode_32 3
		.amdhsa_float_denorm_mode_16_64 3
		.amdhsa_fp16_overflow 0
		.amdhsa_memory_ordered 1
		.amdhsa_forward_progress 1
		.amdhsa_inst_pref_size 136
		.amdhsa_round_robin_scheduling 0
		.amdhsa_exception_fp_ieee_invalid_op 0
		.amdhsa_exception_fp_denorm_src 0
		.amdhsa_exception_fp_ieee_div_zero 0
		.amdhsa_exception_fp_ieee_overflow 0
		.amdhsa_exception_fp_ieee_underflow 0
		.amdhsa_exception_fp_ieee_inexact 0
		.amdhsa_exception_int_div_zero 0
	.end_amdhsa_kernel
	.section	.text._ZN9rocsolver6v33100L18trti2_kernel_smallILi34EfPfEEv13rocblas_fill_17rocblas_diagonal_T1_iil,"axG",@progbits,_ZN9rocsolver6v33100L18trti2_kernel_smallILi34EfPfEEv13rocblas_fill_17rocblas_diagonal_T1_iil,comdat
.Lfunc_end33:
	.size	_ZN9rocsolver6v33100L18trti2_kernel_smallILi34EfPfEEv13rocblas_fill_17rocblas_diagonal_T1_iil, .Lfunc_end33-_ZN9rocsolver6v33100L18trti2_kernel_smallILi34EfPfEEv13rocblas_fill_17rocblas_diagonal_T1_iil
                                        ; -- End function
	.set _ZN9rocsolver6v33100L18trti2_kernel_smallILi34EfPfEEv13rocblas_fill_17rocblas_diagonal_T1_iil.num_vgpr, 108
	.set _ZN9rocsolver6v33100L18trti2_kernel_smallILi34EfPfEEv13rocblas_fill_17rocblas_diagonal_T1_iil.num_agpr, 0
	.set _ZN9rocsolver6v33100L18trti2_kernel_smallILi34EfPfEEv13rocblas_fill_17rocblas_diagonal_T1_iil.numbered_sgpr, 14
	.set _ZN9rocsolver6v33100L18trti2_kernel_smallILi34EfPfEEv13rocblas_fill_17rocblas_diagonal_T1_iil.num_named_barrier, 0
	.set _ZN9rocsolver6v33100L18trti2_kernel_smallILi34EfPfEEv13rocblas_fill_17rocblas_diagonal_T1_iil.private_seg_size, 0
	.set _ZN9rocsolver6v33100L18trti2_kernel_smallILi34EfPfEEv13rocblas_fill_17rocblas_diagonal_T1_iil.uses_vcc, 1
	.set _ZN9rocsolver6v33100L18trti2_kernel_smallILi34EfPfEEv13rocblas_fill_17rocblas_diagonal_T1_iil.uses_flat_scratch, 0
	.set _ZN9rocsolver6v33100L18trti2_kernel_smallILi34EfPfEEv13rocblas_fill_17rocblas_diagonal_T1_iil.has_dyn_sized_stack, 0
	.set _ZN9rocsolver6v33100L18trti2_kernel_smallILi34EfPfEEv13rocblas_fill_17rocblas_diagonal_T1_iil.has_recursion, 0
	.set _ZN9rocsolver6v33100L18trti2_kernel_smallILi34EfPfEEv13rocblas_fill_17rocblas_diagonal_T1_iil.has_indirect_call, 0
	.section	.AMDGPU.csdata,"",@progbits
; Kernel info:
; codeLenInByte = 17320
; TotalNumSgprs: 16
; NumVgprs: 108
; ScratchSize: 0
; MemoryBound: 0
; FloatMode: 240
; IeeeMode: 1
; LDSByteSize: 8992 bytes/workgroup (compile time only)
; SGPRBlocks: 0
; VGPRBlocks: 6
; NumSGPRsForWavesPerEU: 16
; NumVGPRsForWavesPerEU: 108
; NamedBarCnt: 0
; Occupancy: 9
; WaveLimiterHint : 0
; COMPUTE_PGM_RSRC2:SCRATCH_EN: 0
; COMPUTE_PGM_RSRC2:USER_SGPR: 4
; COMPUTE_PGM_RSRC2:TRAP_HANDLER: 0
; COMPUTE_PGM_RSRC2:TGID_X_EN: 1
; COMPUTE_PGM_RSRC2:TGID_Y_EN: 0
; COMPUTE_PGM_RSRC2:TGID_Z_EN: 0
; COMPUTE_PGM_RSRC2:TIDIG_COMP_CNT: 2
	.section	.text._ZN9rocsolver6v33100L18trti2_kernel_smallILi35EfPfEEv13rocblas_fill_17rocblas_diagonal_T1_iil,"axG",@progbits,_ZN9rocsolver6v33100L18trti2_kernel_smallILi35EfPfEEv13rocblas_fill_17rocblas_diagonal_T1_iil,comdat
	.globl	_ZN9rocsolver6v33100L18trti2_kernel_smallILi35EfPfEEv13rocblas_fill_17rocblas_diagonal_T1_iil ; -- Begin function _ZN9rocsolver6v33100L18trti2_kernel_smallILi35EfPfEEv13rocblas_fill_17rocblas_diagonal_T1_iil
	.p2align	8
	.type	_ZN9rocsolver6v33100L18trti2_kernel_smallILi35EfPfEEv13rocblas_fill_17rocblas_diagonal_T1_iil,@function
_ZN9rocsolver6v33100L18trti2_kernel_smallILi35EfPfEEv13rocblas_fill_17rocblas_diagonal_T1_iil: ; @_ZN9rocsolver6v33100L18trti2_kernel_smallILi35EfPfEEv13rocblas_fill_17rocblas_diagonal_T1_iil
; %bb.0:
	v_and_b32_e32 v94, 0x3ff, v0
	s_mov_b32 s4, exec_lo
	s_delay_alu instid0(VALU_DEP_1)
	v_cmpx_gt_u32_e32 35, v94
	s_cbranch_execz .LBB34_670
; %bb.1:
	s_load_b64 s[12:13], s[0:1], 0x4
	s_load_b256 s[4:11], s[2:3], 0x0
	s_wait_xcnt 0x0
	s_bfe_u32 s0, ttmp6, 0x4000c
	s_and_b32 s1, ttmp6, 15
	s_add_co_i32 s0, s0, 1
	s_getreg_b32 s2, hwreg(HW_REG_IB_STS2, 6, 4)
	s_mul_i32 s0, ttmp9, s0
	v_dual_mov_b32 v7, 0 :: v_dual_lshlrev_b32 v6, 2, v94
	s_add_co_i32 s0, s1, s0
	v_bfe_u32 v1, v0, 10, 10
	v_mov_b32_e32 v73, -1.0
	s_wait_kmcnt 0x0
	s_lshr_b32 s12, s12, 16
	s_ashr_i32 s1, s8, 31
	s_cmp_eq_u32 s2, 0
	v_add3_u32 v8, s9, s9, v94
	s_cselect_b32 s2, ttmp9, s0
	s_mov_b32 s0, s8
	s_ashr_i32 s3, s2, 31
	s_lshl_b64 s[0:1], s[0:1], 2
	s_mul_u64 s[2:3], s[10:11], s[2:3]
	v_add_nc_u32_e32 v10, s9, v8
	s_lshl_b64 s[2:3], s[2:3], 2
	s_mul_i32 s12, s12, s13
	s_add_nc_u64 s[2:3], s[6:7], s[2:3]
	v_mul_u32_u24_e32 v1, s13, v1
	s_add_nc_u64 s[2:3], s[2:3], s[0:1]
	v_add_nc_u32_e32 v12, s9, v10
	v_add_nc_u64_e32 v[2:3], s[2:3], v[6:7]
	s_mov_b32 s0, s9
	s_ashr_i32 s1, s9, 31
	v_bfe_u32 v7, v0, 20, 10
	v_add_nc_u32_e32 v14, s9, v12
	v_mul_u32_u24_e32 v9, s12, v94
	s_cmp_lg_u32 s5, 0x84
	v_lshl_add_u64 v[4:5], s[0:1], 2, v[2:3]
	s_cselect_b32 s6, -1, 0
	v_add_nc_u32_e32 v16, s9, v14
	s_clause 0x3
	global_load_b32 v74, v94, s[2:3] scale_offset
	global_load_b32 v75, v[4:5], off
	global_load_b32 v76, v8, s[2:3] scale_offset
	global_load_b32 v77, v10, s[2:3] scale_offset
	v_add3_u32 v72, v9, v1, v7
	s_cmp_eq_u32 s5, 0x84
	v_add_nc_u32_e32 v18, s9, v16
	v_dual_ashrrev_i32 v9, 31, v8 :: v_dual_ashrrev_i32 v11, 31, v10
	s_delay_alu instid0(VALU_DEP_3) | instskip(NEXT) | instid1(VALU_DEP_3)
	v_mul_lo_u32 v95, 0x8c, v72
	v_add_nc_u32_e32 v20, s9, v18
	s_clause 0x3
	global_load_b32 v78, v12, s[2:3] scale_offset
	global_load_b32 v79, v14, s[2:3] scale_offset
	;; [unrolled: 1-line block ×4, first 2 shown]
	v_ashrrev_i32_e32 v19, 31, v18
	v_dual_ashrrev_i32 v15, 31, v14 :: v_dual_add_nc_u32 v22, s9, v20
	v_add_nc_u32_e32 v7, 0x120, v95
	s_delay_alu instid0(VALU_DEP_2) | instskip(NEXT) | instid1(VALU_DEP_1)
	v_add_nc_u32_e32 v24, s9, v22
	v_add_nc_u32_e32 v26, s9, v24
	s_delay_alu instid0(VALU_DEP_1) | instskip(NEXT) | instid1(VALU_DEP_1)
	v_dual_add_nc_u32 v28, s9, v26 :: v_dual_ashrrev_i32 v13, 31, v12
	v_dual_ashrrev_i32 v23, 31, v22 :: v_dual_add_nc_u32 v30, s9, v28
	s_delay_alu instid0(VALU_DEP_1) | instskip(SKIP_1) | instid1(VALU_DEP_1)
	v_dual_ashrrev_i32 v21, 31, v20 :: v_dual_ashrrev_i32 v31, 31, v30
	v_dual_add_nc_u32 v32, s9, v30 :: v_dual_ashrrev_i32 v17, 31, v16
	v_dual_ashrrev_i32 v27, 31, v26 :: v_dual_add_nc_u32 v34, s9, v32
	s_delay_alu instid0(VALU_DEP_1) | instskip(NEXT) | instid1(VALU_DEP_1)
	v_add_nc_u32_e32 v36, s9, v34
	v_add_nc_u32_e32 v38, s9, v36
	s_delay_alu instid0(VALU_DEP_1)
	v_add_nc_u32_e32 v40, s9, v38
	s_clause 0x7
	global_load_b32 v82, v20, s[2:3] scale_offset
	global_load_b32 v83, v22, s[2:3] scale_offset
	;; [unrolled: 1-line block ×8, first 2 shown]
	v_dual_ashrrev_i32 v25, 31, v24 :: v_dual_ashrrev_i32 v35, 31, v34
	v_add_nc_u32_e32 v42, s9, v40
	s_delay_alu instid0(VALU_DEP_1) | instskip(SKIP_1) | instid1(VALU_DEP_1)
	v_dual_ashrrev_i32 v33, 31, v32 :: v_dual_ashrrev_i32 v43, 31, v42
	v_dual_add_nc_u32 v44, s9, v42 :: v_dual_ashrrev_i32 v29, 31, v28
	v_dual_ashrrev_i32 v39, 31, v38 :: v_dual_add_nc_u32 v46, s9, v44
	s_delay_alu instid0(VALU_DEP_1) | instskip(NEXT) | instid1(VALU_DEP_1)
	v_add_nc_u32_e32 v48, s9, v46
	v_add_nc_u32_e32 v50, s9, v48
	s_delay_alu instid0(VALU_DEP_1) | instskip(NEXT) | instid1(VALU_DEP_1)
	v_dual_add_nc_u32 v52, s9, v50 :: v_dual_ashrrev_i32 v37, 31, v36
	v_dual_ashrrev_i32 v47, 31, v46 :: v_dual_add_nc_u32 v54, s9, v52
	s_delay_alu instid0(VALU_DEP_1)
	v_dual_ashrrev_i32 v45, 31, v44 :: v_dual_ashrrev_i32 v55, 31, v54
	v_add_nc_u32_e32 v56, s9, v54
	s_clause 0x7
	global_load_b32 v90, v36, s[2:3] scale_offset
	global_load_b32 v91, v38, s[2:3] scale_offset
	;; [unrolled: 1-line block ×8, first 2 shown]
	v_dual_ashrrev_i32 v41, 31, v40 :: v_dual_ashrrev_i32 v51, 31, v50
	v_add_nc_u32_e32 v58, s9, v56
	s_delay_alu instid0(VALU_DEP_1) | instskip(NEXT) | instid1(VALU_DEP_1)
	v_add_nc_u32_e32 v60, s9, v58
	v_add_nc_u32_e32 v62, s9, v60
	s_delay_alu instid0(VALU_DEP_1) | instskip(NEXT) | instid1(VALU_DEP_1)
	v_dual_add_nc_u32 v0, s9, v62 :: v_dual_ashrrev_i32 v49, 31, v48
	v_dual_ashrrev_i32 v59, 31, v58 :: v_dual_add_nc_u32 v64, s9, v0
	v_ashrrev_i32_e32 v1, 31, v0
	s_delay_alu instid0(VALU_DEP_2) | instskip(SKIP_1) | instid1(VALU_DEP_2)
	v_add_nc_u32_e32 v66, s9, v64
	v_ashrrev_i32_e32 v57, 31, v56
	v_dual_ashrrev_i32 v65, 31, v64 :: v_dual_add_nc_u32 v68, s9, v66
	s_clause 0x7
	global_load_b32 v100, v52, s[2:3] scale_offset
	global_load_b32 v101, v54, s[2:3] scale_offset
	;; [unrolled: 1-line block ×8, first 2 shown]
	v_dual_ashrrev_i32 v53, 31, v52 :: v_dual_ashrrev_i32 v63, 31, v62
	v_dual_ashrrev_i32 v67, 31, v66 :: v_dual_add_nc_u32 v70, s9, v68
	v_ashrrev_i32_e32 v61, 31, v60
	s_delay_alu instid0(VALU_DEP_2)
	v_dual_ashrrev_i32 v69, 31, v68 :: v_dual_ashrrev_i32 v71, 31, v70
	s_wait_loadcnt 0x1c
	ds_store_b128 v95, v[74:77] offset:288
	s_clause 0x2
	global_load_b32 v74, v66, s[2:3] scale_offset
	global_load_b32 v75, v68, s[2:3] scale_offset
	;; [unrolled: 1-line block ×3, first 2 shown]
	s_wait_loadcnt 0x1b
	ds_store_b128 v95, v[78:81] offset:304
	s_wait_loadcnt 0x17
	ds_store_b128 v95, v[82:85] offset:320
	;; [unrolled: 2-line block ×7, first 2 shown]
	s_wait_loadcnt 0x0
	ds_store_b96 v95, v[74:76] offset:416
	s_cbranch_scc1 .LBB34_3
; %bb.2:
	v_lshl_add_u32 v74, v94, 2, v7
	ds_load_b32 v73, v74
	s_wait_dscnt 0x0
	v_div_scale_f32 v75, null, v73, v73, 1.0
	s_delay_alu instid0(VALU_DEP_1) | instskip(SKIP_1) | instid1(TRANS32_DEP_1)
	v_rcp_f32_e32 v76, v75
	v_nop
	v_fma_f32 v77, -v75, v76, 1.0
	s_delay_alu instid0(VALU_DEP_1) | instskip(SKIP_1) | instid1(VALU_DEP_1)
	v_fmac_f32_e32 v76, v77, v76
	v_div_scale_f32 v77, vcc_lo, 1.0, v73, 1.0
	v_mul_f32_e32 v78, v77, v76
	s_delay_alu instid0(VALU_DEP_1) | instskip(NEXT) | instid1(VALU_DEP_1)
	v_fma_f32 v79, -v75, v78, v77
	v_fmac_f32_e32 v78, v79, v76
	s_delay_alu instid0(VALU_DEP_1) | instskip(NEXT) | instid1(VALU_DEP_1)
	v_fma_f32 v75, -v75, v78, v77
	v_div_fmas_f32 v75, v75, v76, v78
	s_delay_alu instid0(VALU_DEP_1) | instskip(NEXT) | instid1(VALU_DEP_1)
	v_div_fixup_f32 v75, v75, v73, 1.0
	v_xor_b32_e32 v73, 0x80000000, v75
	ds_store_b32 v74, v75
.LBB34_3:
	v_add_nc_u32_e32 v96, 0x90, v6
	v_add_nc_u32_e32 v97, v7, v6
	s_cmp_eq_u32 s4, 0x79
	s_mov_b32 s1, -1
	ds_store_b32 v6, v73
	s_cbranch_scc1 .LBB34_337
; %bb.4:
	ds_load_b32 v73, v7 offset:132
	v_cmp_eq_u32_e64 s0, 34, v94
	s_wait_dscnt 0x0
	ds_store_b32 v96, v73
	s_wait_dscnt 0x0
	s_barrier_signal -1
	s_barrier_wait -1
	s_and_saveexec_b32 s1, s0
	s_cbranch_execz .LBB34_10
; %bb.5:
	s_and_b32 vcc_lo, exec_lo, s6
	s_cbranch_vccz .LBB34_7
; %bb.6:
	ds_load_b32 v73, v97
	ds_load_b32 v74, v96
	s_wait_dscnt 0x0
	v_mul_f32_e32 v73, v73, v74
	s_cbranch_execz .LBB34_8
	s_branch .LBB34_9
.LBB34_7:
                                        ; implicit-def: $vgpr73
.LBB34_8:
	ds_load_b32 v73, v96
.LBB34_9:
	v_mov_b32_e32 v74, 0
	ds_load_b32 v74, v74 offset:132
	s_wait_dscnt 0x0
	v_mul_f32_e32 v73, v73, v74
	ds_store_b32 v7, v73 offset:132
.LBB34_10:
	s_or_b32 exec_lo, exec_lo, s1
	ds_load_b32 v73, v7 offset:128
	v_cmp_lt_u32_e64 s1, 32, v94
	s_wait_dscnt 0x0
	ds_store_b32 v96, v73
	s_wait_dscnt 0x0
	s_barrier_signal -1
	s_barrier_wait -1
	s_and_saveexec_b32 s4, s1
	s_cbranch_execz .LBB34_16
; %bb.11:
	s_and_not1_b32 vcc_lo, exec_lo, s6
	s_cbranch_vccnz .LBB34_13
; %bb.12:
	ds_load_b32 v73, v97
	ds_load_b32 v74, v96
	s_wait_dscnt 0x0
	v_mul_f32_e32 v73, v73, v74
	s_cbranch_execz .LBB34_14
	s_branch .LBB34_15
.LBB34_13:
                                        ; implicit-def: $vgpr73
.LBB34_14:
	ds_load_b32 v73, v96
.LBB34_15:
	v_mov_b32_e32 v74, 0
	ds_load_b32 v76, v7 offset:132
	ds_load_2addr_b32 v[74:75], v74 offset0:32 offset1:69
	s_wait_dscnt 0x0
	v_fma_f32 v75, v76, v75, v73
	s_delay_alu instid0(VALU_DEP_1) | instskip(NEXT) | instid1(VALU_DEP_1)
	v_cndmask_b32_e64 v73, v73, v75, s0
	v_mul_f32_e32 v73, v73, v74
	ds_store_b32 v7, v73 offset:128
.LBB34_16:
	s_or_b32 exec_lo, exec_lo, s4
	ds_load_b32 v73, v7 offset:124
	v_cmp_lt_u32_e64 s0, 31, v94
	s_wait_dscnt 0x0
	ds_store_b32 v96, v73
	s_wait_dscnt 0x0
	s_barrier_signal -1
	s_barrier_wait -1
	s_and_saveexec_b32 s4, s0
	s_cbranch_execz .LBB34_26
; %bb.17:
	s_and_not1_b32 vcc_lo, exec_lo, s6
	s_cbranch_vccnz .LBB34_19
; %bb.18:
	ds_load_b32 v73, v97
	ds_load_b32 v74, v96
	s_wait_dscnt 0x0
	v_mul_f32_e32 v73, v73, v74
	s_cbranch_execz .LBB34_20
	s_branch .LBB34_21
.LBB34_19:
                                        ; implicit-def: $vgpr73
.LBB34_20:
	ds_load_b32 v73, v96
.LBB34_21:
	s_and_saveexec_b32 s5, s1
	s_cbranch_execz .LBB34_25
; %bb.22:
	s_movk_i32 s1, 0x8c
	v_subrev_nc_u32_e32 v75, 32, v94
	v_mad_u32 v74, v72, s1, 0x1a0
	s_movk_i32 s7, 0x110
	s_mov_b32 s1, 0
.LBB34_23:                              ; =>This Inner Loop Header: Depth=1
	s_delay_alu instid0(VALU_DEP_2)
	v_dual_mov_b32 v76, s7 :: v_dual_add_nc_u32 v75, -1, v75
	s_add_co_i32 s7, s7, 4
	ds_load_b32 v77, v74
	ds_load_b32 v76, v76
	v_add_nc_u32_e32 v74, 4, v74
	v_cmp_eq_u32_e32 vcc_lo, 0, v75
	s_or_b32 s1, vcc_lo, s1
	s_wait_dscnt 0x0
	v_fmac_f32_e32 v73, v77, v76
	s_and_not1_b32 exec_lo, exec_lo, s1
	s_cbranch_execnz .LBB34_23
; %bb.24:
	s_or_b32 exec_lo, exec_lo, s1
.LBB34_25:
	s_delay_alu instid0(SALU_CYCLE_1)
	s_or_b32 exec_lo, exec_lo, s5
	v_mov_b32_e32 v74, 0
	ds_load_b32 v74, v74 offset:124
	s_wait_dscnt 0x0
	v_mul_f32_e32 v73, v73, v74
	ds_store_b32 v7, v73 offset:124
.LBB34_26:
	s_or_b32 exec_lo, exec_lo, s4
	ds_load_b32 v73, v7 offset:120
	v_cmp_lt_u32_e64 s1, 30, v94
	s_wait_dscnt 0x0
	ds_store_b32 v96, v73
	s_wait_dscnt 0x0
	s_barrier_signal -1
	s_barrier_wait -1
	s_and_saveexec_b32 s4, s1
	s_cbranch_execz .LBB34_36
; %bb.27:
	s_and_not1_b32 vcc_lo, exec_lo, s6
	s_cbranch_vccnz .LBB34_29
; %bb.28:
	ds_load_b32 v73, v97
	ds_load_b32 v74, v96
	s_wait_dscnt 0x0
	v_mul_f32_e32 v73, v73, v74
	s_cbranch_execz .LBB34_30
	s_branch .LBB34_31
.LBB34_29:
                                        ; implicit-def: $vgpr73
.LBB34_30:
	ds_load_b32 v73, v96
.LBB34_31:
	s_and_saveexec_b32 s5, s0
	s_cbranch_execz .LBB34_35
; %bb.32:
	s_movk_i32 s0, 0x8c
	v_subrev_nc_u32_e32 v75, 31, v94
	v_mad_u32 v74, v72, s0, 0x19c
	s_movk_i32 s7, 0x10c
	s_mov_b32 s0, 0
.LBB34_33:                              ; =>This Inner Loop Header: Depth=1
	s_delay_alu instid0(VALU_DEP_2)
	v_dual_mov_b32 v76, s7 :: v_dual_add_nc_u32 v75, -1, v75
	s_add_co_i32 s7, s7, 4
	ds_load_b32 v77, v74
	ds_load_b32 v76, v76
	v_add_nc_u32_e32 v74, 4, v74
	v_cmp_eq_u32_e32 vcc_lo, 0, v75
	s_or_b32 s0, vcc_lo, s0
	s_wait_dscnt 0x0
	v_fmac_f32_e32 v73, v77, v76
	s_and_not1_b32 exec_lo, exec_lo, s0
	s_cbranch_execnz .LBB34_33
; %bb.34:
	s_or_b32 exec_lo, exec_lo, s0
.LBB34_35:
	s_delay_alu instid0(SALU_CYCLE_1)
	s_or_b32 exec_lo, exec_lo, s5
	v_mov_b32_e32 v74, 0
	ds_load_b32 v74, v74 offset:120
	s_wait_dscnt 0x0
	v_mul_f32_e32 v73, v73, v74
	ds_store_b32 v7, v73 offset:120
.LBB34_36:
	;; [unrolled: 57-line block ×8, first 2 shown]
	s_or_b32 exec_lo, exec_lo, s4
	ds_load_b32 v73, v7 offset:92
	v_cmp_lt_u32_e64 s0, 23, v94
	s_wait_dscnt 0x0
	ds_store_b32 v96, v73
	s_wait_dscnt 0x0
	s_barrier_signal -1
	s_barrier_wait -1
	s_and_saveexec_b32 s4, s0
	s_cbranch_execz .LBB34_106
; %bb.97:
	s_and_not1_b32 vcc_lo, exec_lo, s6
	s_cbranch_vccnz .LBB34_99
; %bb.98:
	ds_load_b32 v73, v97
	ds_load_b32 v74, v96
	s_wait_dscnt 0x0
	v_mul_f32_e32 v73, v73, v74
	s_cbranch_execz .LBB34_100
	s_branch .LBB34_101
.LBB34_99:
                                        ; implicit-def: $vgpr73
.LBB34_100:
	ds_load_b32 v73, v96
.LBB34_101:
	s_and_saveexec_b32 s5, s1
	s_cbranch_execz .LBB34_105
; %bb.102:
	s_movk_i32 s1, 0x8c
	v_subrev_nc_u32_e32 v75, 24, v94
	v_mad_u32 v74, v72, s1, 0x180
	s_movk_i32 s7, 0xf0
	s_mov_b32 s1, 0
.LBB34_103:                             ; =>This Inner Loop Header: Depth=1
	s_delay_alu instid0(VALU_DEP_2)
	v_dual_mov_b32 v76, s7 :: v_dual_add_nc_u32 v75, -1, v75
	s_add_co_i32 s7, s7, 4
	ds_load_b32 v77, v74
	ds_load_b32 v76, v76
	v_add_nc_u32_e32 v74, 4, v74
	v_cmp_eq_u32_e32 vcc_lo, 0, v75
	s_or_b32 s1, vcc_lo, s1
	s_wait_dscnt 0x0
	v_fmac_f32_e32 v73, v77, v76
	s_and_not1_b32 exec_lo, exec_lo, s1
	s_cbranch_execnz .LBB34_103
; %bb.104:
	s_or_b32 exec_lo, exec_lo, s1
.LBB34_105:
	s_delay_alu instid0(SALU_CYCLE_1)
	s_or_b32 exec_lo, exec_lo, s5
	v_mov_b32_e32 v74, 0
	ds_load_b32 v74, v74 offset:92
	s_wait_dscnt 0x0
	v_mul_f32_e32 v73, v73, v74
	ds_store_b32 v7, v73 offset:92
.LBB34_106:
	s_or_b32 exec_lo, exec_lo, s4
	ds_load_b32 v73, v7 offset:88
	v_cmp_lt_u32_e64 s1, 22, v94
	s_wait_dscnt 0x0
	ds_store_b32 v96, v73
	s_wait_dscnt 0x0
	s_barrier_signal -1
	s_barrier_wait -1
	s_and_saveexec_b32 s4, s1
	s_cbranch_execz .LBB34_116
; %bb.107:
	s_and_not1_b32 vcc_lo, exec_lo, s6
	s_cbranch_vccnz .LBB34_109
; %bb.108:
	ds_load_b32 v73, v97
	ds_load_b32 v74, v96
	s_wait_dscnt 0x0
	v_mul_f32_e32 v73, v73, v74
	s_cbranch_execz .LBB34_110
	s_branch .LBB34_111
.LBB34_109:
                                        ; implicit-def: $vgpr73
.LBB34_110:
	ds_load_b32 v73, v96
.LBB34_111:
	s_and_saveexec_b32 s5, s0
	s_cbranch_execz .LBB34_115
; %bb.112:
	s_movk_i32 s0, 0x8c
	v_subrev_nc_u32_e32 v75, 23, v94
	v_mad_u32 v74, v72, s0, 0x17c
	s_movk_i32 s7, 0xec
	s_mov_b32 s0, 0
.LBB34_113:                             ; =>This Inner Loop Header: Depth=1
	s_delay_alu instid0(VALU_DEP_2)
	v_dual_mov_b32 v76, s7 :: v_dual_add_nc_u32 v75, -1, v75
	s_add_co_i32 s7, s7, 4
	ds_load_b32 v77, v74
	ds_load_b32 v76, v76
	v_add_nc_u32_e32 v74, 4, v74
	v_cmp_eq_u32_e32 vcc_lo, 0, v75
	s_or_b32 s0, vcc_lo, s0
	s_wait_dscnt 0x0
	v_fmac_f32_e32 v73, v77, v76
	s_and_not1_b32 exec_lo, exec_lo, s0
	s_cbranch_execnz .LBB34_113
; %bb.114:
	s_or_b32 exec_lo, exec_lo, s0
.LBB34_115:
	s_delay_alu instid0(SALU_CYCLE_1)
	s_or_b32 exec_lo, exec_lo, s5
	v_mov_b32_e32 v74, 0
	ds_load_b32 v74, v74 offset:88
	s_wait_dscnt 0x0
	v_mul_f32_e32 v73, v73, v74
	ds_store_b32 v7, v73 offset:88
.LBB34_116:
	;; [unrolled: 57-line block ×8, first 2 shown]
	s_or_b32 exec_lo, exec_lo, s4
	ds_load_b32 v73, v7 offset:60
	v_cmp_lt_u32_e64 s0, 15, v94
	s_wait_dscnt 0x0
	ds_store_b32 v96, v73
	s_wait_dscnt 0x0
	s_barrier_signal -1
	s_barrier_wait -1
	s_and_saveexec_b32 s4, s0
	s_cbranch_execz .LBB34_186
; %bb.177:
	s_and_not1_b32 vcc_lo, exec_lo, s6
	s_cbranch_vccnz .LBB34_179
; %bb.178:
	ds_load_b32 v73, v97
	ds_load_b32 v74, v96
	s_wait_dscnt 0x0
	v_mul_f32_e32 v73, v73, v74
	s_cbranch_execz .LBB34_180
	s_branch .LBB34_181
.LBB34_179:
                                        ; implicit-def: $vgpr73
.LBB34_180:
	ds_load_b32 v73, v96
.LBB34_181:
	s_and_saveexec_b32 s5, s1
	s_cbranch_execz .LBB34_185
; %bb.182:
	s_movk_i32 s1, 0x8c
	v_add_nc_u32_e32 v75, -16, v94
	v_mad_u32 v74, v72, s1, 0x160
	s_movk_i32 s7, 0xd0
	s_mov_b32 s1, 0
.LBB34_183:                             ; =>This Inner Loop Header: Depth=1
	s_delay_alu instid0(VALU_DEP_2)
	v_dual_mov_b32 v76, s7 :: v_dual_add_nc_u32 v75, -1, v75
	s_add_co_i32 s7, s7, 4
	ds_load_b32 v77, v74
	ds_load_b32 v76, v76
	v_add_nc_u32_e32 v74, 4, v74
	v_cmp_eq_u32_e32 vcc_lo, 0, v75
	s_or_b32 s1, vcc_lo, s1
	s_wait_dscnt 0x0
	v_fmac_f32_e32 v73, v77, v76
	s_and_not1_b32 exec_lo, exec_lo, s1
	s_cbranch_execnz .LBB34_183
; %bb.184:
	s_or_b32 exec_lo, exec_lo, s1
.LBB34_185:
	s_delay_alu instid0(SALU_CYCLE_1)
	s_or_b32 exec_lo, exec_lo, s5
	v_mov_b32_e32 v74, 0
	ds_load_b32 v74, v74 offset:60
	s_wait_dscnt 0x0
	v_mul_f32_e32 v73, v73, v74
	ds_store_b32 v7, v73 offset:60
.LBB34_186:
	s_or_b32 exec_lo, exec_lo, s4
	ds_load_b32 v73, v7 offset:56
	v_cmp_lt_u32_e64 s1, 14, v94
	s_wait_dscnt 0x0
	ds_store_b32 v96, v73
	s_wait_dscnt 0x0
	s_barrier_signal -1
	s_barrier_wait -1
	s_and_saveexec_b32 s4, s1
	s_cbranch_execz .LBB34_196
; %bb.187:
	s_and_not1_b32 vcc_lo, exec_lo, s6
	s_cbranch_vccnz .LBB34_189
; %bb.188:
	ds_load_b32 v73, v97
	ds_load_b32 v74, v96
	s_wait_dscnt 0x0
	v_mul_f32_e32 v73, v73, v74
	s_cbranch_execz .LBB34_190
	s_branch .LBB34_191
.LBB34_189:
                                        ; implicit-def: $vgpr73
.LBB34_190:
	ds_load_b32 v73, v96
.LBB34_191:
	s_and_saveexec_b32 s5, s0
	s_cbranch_execz .LBB34_195
; %bb.192:
	s_movk_i32 s0, 0x8c
	v_add_nc_u32_e32 v75, -15, v94
	v_mad_u32 v74, v72, s0, 0x15c
	s_movk_i32 s7, 0xcc
	s_mov_b32 s0, 0
.LBB34_193:                             ; =>This Inner Loop Header: Depth=1
	s_delay_alu instid0(VALU_DEP_2)
	v_dual_mov_b32 v76, s7 :: v_dual_add_nc_u32 v75, -1, v75
	s_add_co_i32 s7, s7, 4
	ds_load_b32 v77, v74
	ds_load_b32 v76, v76
	v_add_nc_u32_e32 v74, 4, v74
	v_cmp_eq_u32_e32 vcc_lo, 0, v75
	s_or_b32 s0, vcc_lo, s0
	s_wait_dscnt 0x0
	v_fmac_f32_e32 v73, v77, v76
	s_and_not1_b32 exec_lo, exec_lo, s0
	s_cbranch_execnz .LBB34_193
; %bb.194:
	s_or_b32 exec_lo, exec_lo, s0
.LBB34_195:
	s_delay_alu instid0(SALU_CYCLE_1)
	s_or_b32 exec_lo, exec_lo, s5
	v_mov_b32_e32 v74, 0
	ds_load_b32 v74, v74 offset:56
	s_wait_dscnt 0x0
	v_mul_f32_e32 v73, v73, v74
	ds_store_b32 v7, v73 offset:56
.LBB34_196:
	s_or_b32 exec_lo, exec_lo, s4
	ds_load_b32 v73, v7 offset:52
	v_cmp_lt_u32_e64 s0, 13, v94
	s_wait_dscnt 0x0
	ds_store_b32 v96, v73
	s_wait_dscnt 0x0
	s_barrier_signal -1
	s_barrier_wait -1
	s_and_saveexec_b32 s4, s0
	s_cbranch_execz .LBB34_206
; %bb.197:
	s_and_not1_b32 vcc_lo, exec_lo, s6
	s_cbranch_vccnz .LBB34_199
; %bb.198:
	ds_load_b32 v73, v97
	ds_load_b32 v74, v96
	s_wait_dscnt 0x0
	v_mul_f32_e32 v73, v73, v74
	s_cbranch_execz .LBB34_200
	s_branch .LBB34_201
.LBB34_199:
                                        ; implicit-def: $vgpr73
.LBB34_200:
	ds_load_b32 v73, v96
.LBB34_201:
	s_and_saveexec_b32 s5, s1
	s_cbranch_execz .LBB34_205
; %bb.202:
	s_movk_i32 s1, 0x8c
	v_add_nc_u32_e32 v75, -14, v94
	v_mad_u32 v74, v72, s1, 0x158
	s_movk_i32 s7, 0xc8
	s_mov_b32 s1, 0
.LBB34_203:                             ; =>This Inner Loop Header: Depth=1
	s_delay_alu instid0(VALU_DEP_2)
	v_dual_mov_b32 v76, s7 :: v_dual_add_nc_u32 v75, -1, v75
	s_add_co_i32 s7, s7, 4
	ds_load_b32 v77, v74
	ds_load_b32 v76, v76
	v_add_nc_u32_e32 v74, 4, v74
	v_cmp_eq_u32_e32 vcc_lo, 0, v75
	s_or_b32 s1, vcc_lo, s1
	s_wait_dscnt 0x0
	v_fmac_f32_e32 v73, v77, v76
	s_and_not1_b32 exec_lo, exec_lo, s1
	s_cbranch_execnz .LBB34_203
; %bb.204:
	s_or_b32 exec_lo, exec_lo, s1
.LBB34_205:
	s_delay_alu instid0(SALU_CYCLE_1)
	s_or_b32 exec_lo, exec_lo, s5
	v_mov_b32_e32 v74, 0
	ds_load_b32 v74, v74 offset:52
	s_wait_dscnt 0x0
	v_mul_f32_e32 v73, v73, v74
	ds_store_b32 v7, v73 offset:52
.LBB34_206:
	s_or_b32 exec_lo, exec_lo, s4
	ds_load_b32 v73, v7 offset:48
	v_cmp_lt_u32_e64 s1, 12, v94
	s_wait_dscnt 0x0
	ds_store_b32 v96, v73
	s_wait_dscnt 0x0
	s_barrier_signal -1
	s_barrier_wait -1
	s_and_saveexec_b32 s4, s1
	s_cbranch_execz .LBB34_216
; %bb.207:
	s_and_not1_b32 vcc_lo, exec_lo, s6
	s_cbranch_vccnz .LBB34_209
; %bb.208:
	ds_load_b32 v73, v97
	ds_load_b32 v74, v96
	s_wait_dscnt 0x0
	v_mul_f32_e32 v73, v73, v74
	s_cbranch_execz .LBB34_210
	s_branch .LBB34_211
.LBB34_209:
                                        ; implicit-def: $vgpr73
.LBB34_210:
	ds_load_b32 v73, v96
.LBB34_211:
	s_and_saveexec_b32 s5, s0
	s_cbranch_execz .LBB34_215
; %bb.212:
	s_movk_i32 s0, 0x8c
	v_add_nc_u32_e32 v75, -13, v94
	v_mad_u32 v74, v72, s0, 0x154
	s_movk_i32 s7, 0xc4
	s_mov_b32 s0, 0
.LBB34_213:                             ; =>This Inner Loop Header: Depth=1
	s_delay_alu instid0(VALU_DEP_2)
	v_dual_mov_b32 v76, s7 :: v_dual_add_nc_u32 v75, -1, v75
	s_add_co_i32 s7, s7, 4
	ds_load_b32 v77, v74
	ds_load_b32 v76, v76
	v_add_nc_u32_e32 v74, 4, v74
	v_cmp_eq_u32_e32 vcc_lo, 0, v75
	s_or_b32 s0, vcc_lo, s0
	s_wait_dscnt 0x0
	v_fmac_f32_e32 v73, v77, v76
	s_and_not1_b32 exec_lo, exec_lo, s0
	s_cbranch_execnz .LBB34_213
; %bb.214:
	s_or_b32 exec_lo, exec_lo, s0
.LBB34_215:
	s_delay_alu instid0(SALU_CYCLE_1)
	s_or_b32 exec_lo, exec_lo, s5
	v_mov_b32_e32 v74, 0
	ds_load_b32 v74, v74 offset:48
	s_wait_dscnt 0x0
	v_mul_f32_e32 v73, v73, v74
	ds_store_b32 v7, v73 offset:48
.LBB34_216:
	s_or_b32 exec_lo, exec_lo, s4
	ds_load_b32 v73, v7 offset:44
	v_cmp_lt_u32_e64 s0, 11, v94
	s_wait_dscnt 0x0
	ds_store_b32 v96, v73
	s_wait_dscnt 0x0
	s_barrier_signal -1
	s_barrier_wait -1
	s_and_saveexec_b32 s4, s0
	s_cbranch_execz .LBB34_226
; %bb.217:
	s_and_not1_b32 vcc_lo, exec_lo, s6
	s_cbranch_vccnz .LBB34_219
; %bb.218:
	ds_load_b32 v73, v97
	ds_load_b32 v74, v96
	s_wait_dscnt 0x0
	v_mul_f32_e32 v73, v73, v74
	s_cbranch_execz .LBB34_220
	s_branch .LBB34_221
.LBB34_219:
                                        ; implicit-def: $vgpr73
.LBB34_220:
	ds_load_b32 v73, v96
.LBB34_221:
	s_and_saveexec_b32 s5, s1
	s_cbranch_execz .LBB34_225
; %bb.222:
	s_movk_i32 s1, 0x8c
	v_add_nc_u32_e32 v75, -12, v94
	v_mad_u32 v74, v72, s1, 0x150
	s_movk_i32 s7, 0xc0
	s_mov_b32 s1, 0
.LBB34_223:                             ; =>This Inner Loop Header: Depth=1
	s_delay_alu instid0(VALU_DEP_2)
	v_dual_mov_b32 v76, s7 :: v_dual_add_nc_u32 v75, -1, v75
	s_add_co_i32 s7, s7, 4
	ds_load_b32 v77, v74
	ds_load_b32 v76, v76
	v_add_nc_u32_e32 v74, 4, v74
	v_cmp_eq_u32_e32 vcc_lo, 0, v75
	s_or_b32 s1, vcc_lo, s1
	s_wait_dscnt 0x0
	v_fmac_f32_e32 v73, v77, v76
	s_and_not1_b32 exec_lo, exec_lo, s1
	s_cbranch_execnz .LBB34_223
; %bb.224:
	s_or_b32 exec_lo, exec_lo, s1
.LBB34_225:
	s_delay_alu instid0(SALU_CYCLE_1)
	s_or_b32 exec_lo, exec_lo, s5
	v_mov_b32_e32 v74, 0
	ds_load_b32 v74, v74 offset:44
	s_wait_dscnt 0x0
	v_mul_f32_e32 v73, v73, v74
	ds_store_b32 v7, v73 offset:44
.LBB34_226:
	s_or_b32 exec_lo, exec_lo, s4
	ds_load_b32 v73, v7 offset:40
	v_cmp_lt_u32_e64 s1, 10, v94
	s_wait_dscnt 0x0
	ds_store_b32 v96, v73
	s_wait_dscnt 0x0
	s_barrier_signal -1
	s_barrier_wait -1
	s_and_saveexec_b32 s4, s1
	s_cbranch_execz .LBB34_236
; %bb.227:
	s_and_not1_b32 vcc_lo, exec_lo, s6
	s_cbranch_vccnz .LBB34_229
; %bb.228:
	ds_load_b32 v73, v97
	ds_load_b32 v74, v96
	s_wait_dscnt 0x0
	v_mul_f32_e32 v73, v73, v74
	s_cbranch_execz .LBB34_230
	s_branch .LBB34_231
.LBB34_229:
                                        ; implicit-def: $vgpr73
.LBB34_230:
	ds_load_b32 v73, v96
.LBB34_231:
	s_and_saveexec_b32 s5, s0
	s_cbranch_execz .LBB34_235
; %bb.232:
	s_movk_i32 s0, 0x8c
	v_add_nc_u32_e32 v75, -11, v94
	v_mad_u32 v74, v72, s0, 0x14c
	s_movk_i32 s7, 0xbc
	s_mov_b32 s0, 0
.LBB34_233:                             ; =>This Inner Loop Header: Depth=1
	s_delay_alu instid0(VALU_DEP_2)
	v_dual_mov_b32 v76, s7 :: v_dual_add_nc_u32 v75, -1, v75
	s_add_co_i32 s7, s7, 4
	ds_load_b32 v77, v74
	ds_load_b32 v76, v76
	v_add_nc_u32_e32 v74, 4, v74
	v_cmp_eq_u32_e32 vcc_lo, 0, v75
	s_or_b32 s0, vcc_lo, s0
	s_wait_dscnt 0x0
	v_fmac_f32_e32 v73, v77, v76
	s_and_not1_b32 exec_lo, exec_lo, s0
	s_cbranch_execnz .LBB34_233
; %bb.234:
	s_or_b32 exec_lo, exec_lo, s0
.LBB34_235:
	s_delay_alu instid0(SALU_CYCLE_1)
	s_or_b32 exec_lo, exec_lo, s5
	v_mov_b32_e32 v74, 0
	ds_load_b32 v74, v74 offset:40
	s_wait_dscnt 0x0
	v_mul_f32_e32 v73, v73, v74
	ds_store_b32 v7, v73 offset:40
.LBB34_236:
	s_or_b32 exec_lo, exec_lo, s4
	ds_load_b32 v73, v7 offset:36
	v_cmp_lt_u32_e64 s0, 9, v94
	s_wait_dscnt 0x0
	ds_store_b32 v96, v73
	s_wait_dscnt 0x0
	s_barrier_signal -1
	s_barrier_wait -1
	s_and_saveexec_b32 s4, s0
	s_cbranch_execz .LBB34_246
; %bb.237:
	s_and_not1_b32 vcc_lo, exec_lo, s6
	s_cbranch_vccnz .LBB34_239
; %bb.238:
	ds_load_b32 v73, v97
	ds_load_b32 v74, v96
	s_wait_dscnt 0x0
	v_mul_f32_e32 v73, v73, v74
	s_cbranch_execz .LBB34_240
	s_branch .LBB34_241
.LBB34_239:
                                        ; implicit-def: $vgpr73
.LBB34_240:
	ds_load_b32 v73, v96
.LBB34_241:
	s_and_saveexec_b32 s5, s1
	s_cbranch_execz .LBB34_245
; %bb.242:
	s_movk_i32 s1, 0x8c
	v_add_nc_u32_e32 v75, -10, v94
	v_mad_u32 v74, v72, s1, 0x148
	s_movk_i32 s7, 0xb8
	s_mov_b32 s1, 0
.LBB34_243:                             ; =>This Inner Loop Header: Depth=1
	s_delay_alu instid0(VALU_DEP_2)
	v_dual_mov_b32 v76, s7 :: v_dual_add_nc_u32 v75, -1, v75
	s_add_co_i32 s7, s7, 4
	ds_load_b32 v77, v74
	ds_load_b32 v76, v76
	v_add_nc_u32_e32 v74, 4, v74
	v_cmp_eq_u32_e32 vcc_lo, 0, v75
	s_or_b32 s1, vcc_lo, s1
	s_wait_dscnt 0x0
	v_fmac_f32_e32 v73, v77, v76
	s_and_not1_b32 exec_lo, exec_lo, s1
	s_cbranch_execnz .LBB34_243
; %bb.244:
	s_or_b32 exec_lo, exec_lo, s1
.LBB34_245:
	s_delay_alu instid0(SALU_CYCLE_1)
	s_or_b32 exec_lo, exec_lo, s5
	v_mov_b32_e32 v74, 0
	ds_load_b32 v74, v74 offset:36
	s_wait_dscnt 0x0
	v_mul_f32_e32 v73, v73, v74
	ds_store_b32 v7, v73 offset:36
.LBB34_246:
	s_or_b32 exec_lo, exec_lo, s4
	ds_load_b32 v73, v7 offset:32
	v_cmp_lt_u32_e64 s1, 8, v94
	s_wait_dscnt 0x0
	ds_store_b32 v96, v73
	s_wait_dscnt 0x0
	s_barrier_signal -1
	s_barrier_wait -1
	s_and_saveexec_b32 s4, s1
	s_cbranch_execz .LBB34_256
; %bb.247:
	s_and_not1_b32 vcc_lo, exec_lo, s6
	s_cbranch_vccnz .LBB34_249
; %bb.248:
	ds_load_b32 v73, v97
	ds_load_b32 v74, v96
	s_wait_dscnt 0x0
	v_mul_f32_e32 v73, v73, v74
	s_cbranch_execz .LBB34_250
	s_branch .LBB34_251
.LBB34_249:
                                        ; implicit-def: $vgpr73
.LBB34_250:
	ds_load_b32 v73, v96
.LBB34_251:
	s_and_saveexec_b32 s5, s0
	s_cbranch_execz .LBB34_255
; %bb.252:
	s_movk_i32 s0, 0x8c
	v_add_nc_u32_e32 v75, -9, v94
	v_mad_u32 v74, v72, s0, 0x144
	s_movk_i32 s7, 0xb4
	s_mov_b32 s0, 0
.LBB34_253:                             ; =>This Inner Loop Header: Depth=1
	s_delay_alu instid0(VALU_DEP_2)
	v_dual_mov_b32 v76, s7 :: v_dual_add_nc_u32 v75, -1, v75
	s_add_co_i32 s7, s7, 4
	ds_load_b32 v77, v74
	ds_load_b32 v76, v76
	v_add_nc_u32_e32 v74, 4, v74
	v_cmp_eq_u32_e32 vcc_lo, 0, v75
	s_or_b32 s0, vcc_lo, s0
	s_wait_dscnt 0x0
	v_fmac_f32_e32 v73, v77, v76
	s_and_not1_b32 exec_lo, exec_lo, s0
	s_cbranch_execnz .LBB34_253
; %bb.254:
	s_or_b32 exec_lo, exec_lo, s0
.LBB34_255:
	s_delay_alu instid0(SALU_CYCLE_1)
	s_or_b32 exec_lo, exec_lo, s5
	v_mov_b32_e32 v74, 0
	ds_load_b32 v74, v74 offset:32
	s_wait_dscnt 0x0
	v_mul_f32_e32 v73, v73, v74
	ds_store_b32 v7, v73 offset:32
.LBB34_256:
	s_or_b32 exec_lo, exec_lo, s4
	ds_load_b32 v73, v7 offset:28
	v_cmp_lt_u32_e64 s0, 7, v94
	s_wait_dscnt 0x0
	ds_store_b32 v96, v73
	s_wait_dscnt 0x0
	s_barrier_signal -1
	s_barrier_wait -1
	s_and_saveexec_b32 s4, s0
	s_cbranch_execz .LBB34_266
; %bb.257:
	s_and_not1_b32 vcc_lo, exec_lo, s6
	s_cbranch_vccnz .LBB34_259
; %bb.258:
	ds_load_b32 v73, v97
	ds_load_b32 v74, v96
	s_wait_dscnt 0x0
	v_mul_f32_e32 v73, v73, v74
	s_cbranch_execz .LBB34_260
	s_branch .LBB34_261
.LBB34_259:
                                        ; implicit-def: $vgpr73
.LBB34_260:
	ds_load_b32 v73, v96
.LBB34_261:
	s_and_saveexec_b32 s5, s1
	s_cbranch_execz .LBB34_265
; %bb.262:
	s_movk_i32 s1, 0x8c
	v_add_nc_u32_e32 v75, -8, v94
	v_mad_u32 v74, v72, s1, 0x140
	s_movk_i32 s7, 0xb0
	s_mov_b32 s1, 0
.LBB34_263:                             ; =>This Inner Loop Header: Depth=1
	s_delay_alu instid0(VALU_DEP_2)
	v_dual_mov_b32 v76, s7 :: v_dual_add_nc_u32 v75, -1, v75
	s_add_co_i32 s7, s7, 4
	ds_load_b32 v77, v74
	ds_load_b32 v76, v76
	v_add_nc_u32_e32 v74, 4, v74
	v_cmp_eq_u32_e32 vcc_lo, 0, v75
	s_or_b32 s1, vcc_lo, s1
	s_wait_dscnt 0x0
	v_fmac_f32_e32 v73, v77, v76
	s_and_not1_b32 exec_lo, exec_lo, s1
	s_cbranch_execnz .LBB34_263
; %bb.264:
	s_or_b32 exec_lo, exec_lo, s1
.LBB34_265:
	s_delay_alu instid0(SALU_CYCLE_1)
	s_or_b32 exec_lo, exec_lo, s5
	v_mov_b32_e32 v74, 0
	ds_load_b32 v74, v74 offset:28
	s_wait_dscnt 0x0
	v_mul_f32_e32 v73, v73, v74
	ds_store_b32 v7, v73 offset:28
.LBB34_266:
	s_or_b32 exec_lo, exec_lo, s4
	ds_load_b32 v73, v7 offset:24
	v_cmp_lt_u32_e64 s1, 6, v94
	s_wait_dscnt 0x0
	ds_store_b32 v96, v73
	s_wait_dscnt 0x0
	s_barrier_signal -1
	s_barrier_wait -1
	s_and_saveexec_b32 s4, s1
	s_cbranch_execz .LBB34_276
; %bb.267:
	s_and_not1_b32 vcc_lo, exec_lo, s6
	s_cbranch_vccnz .LBB34_269
; %bb.268:
	ds_load_b32 v73, v97
	ds_load_b32 v74, v96
	s_wait_dscnt 0x0
	v_mul_f32_e32 v73, v73, v74
	s_cbranch_execz .LBB34_270
	s_branch .LBB34_271
.LBB34_269:
                                        ; implicit-def: $vgpr73
.LBB34_270:
	ds_load_b32 v73, v96
.LBB34_271:
	s_and_saveexec_b32 s5, s0
	s_cbranch_execz .LBB34_275
; %bb.272:
	s_movk_i32 s0, 0x8c
	v_add_nc_u32_e32 v75, -7, v94
	v_mad_u32 v74, v72, s0, 0x13c
	s_movk_i32 s7, 0xac
	s_mov_b32 s0, 0
.LBB34_273:                             ; =>This Inner Loop Header: Depth=1
	s_delay_alu instid0(VALU_DEP_2)
	v_dual_mov_b32 v76, s7 :: v_dual_add_nc_u32 v75, -1, v75
	s_add_co_i32 s7, s7, 4
	ds_load_b32 v77, v74
	ds_load_b32 v76, v76
	v_add_nc_u32_e32 v74, 4, v74
	v_cmp_eq_u32_e32 vcc_lo, 0, v75
	s_or_b32 s0, vcc_lo, s0
	s_wait_dscnt 0x0
	v_fmac_f32_e32 v73, v77, v76
	s_and_not1_b32 exec_lo, exec_lo, s0
	s_cbranch_execnz .LBB34_273
; %bb.274:
	s_or_b32 exec_lo, exec_lo, s0
.LBB34_275:
	s_delay_alu instid0(SALU_CYCLE_1)
	s_or_b32 exec_lo, exec_lo, s5
	v_mov_b32_e32 v74, 0
	ds_load_b32 v74, v74 offset:24
	s_wait_dscnt 0x0
	v_mul_f32_e32 v73, v73, v74
	ds_store_b32 v7, v73 offset:24
.LBB34_276:
	s_or_b32 exec_lo, exec_lo, s4
	ds_load_b32 v73, v7 offset:20
	v_cmp_lt_u32_e64 s0, 5, v94
	s_wait_dscnt 0x0
	ds_store_b32 v96, v73
	s_wait_dscnt 0x0
	s_barrier_signal -1
	s_barrier_wait -1
	s_and_saveexec_b32 s4, s0
	s_cbranch_execz .LBB34_286
; %bb.277:
	s_and_not1_b32 vcc_lo, exec_lo, s6
	s_cbranch_vccnz .LBB34_279
; %bb.278:
	ds_load_b32 v73, v97
	ds_load_b32 v74, v96
	s_wait_dscnt 0x0
	v_mul_f32_e32 v73, v73, v74
	s_cbranch_execz .LBB34_280
	s_branch .LBB34_281
.LBB34_279:
                                        ; implicit-def: $vgpr73
.LBB34_280:
	ds_load_b32 v73, v96
.LBB34_281:
	s_and_saveexec_b32 s5, s1
	s_cbranch_execz .LBB34_285
; %bb.282:
	s_movk_i32 s1, 0x8c
	v_add_nc_u32_e32 v75, -6, v94
	v_mad_u32 v74, v72, s1, 0x138
	s_movk_i32 s7, 0xa8
	s_mov_b32 s1, 0
.LBB34_283:                             ; =>This Inner Loop Header: Depth=1
	s_delay_alu instid0(VALU_DEP_2)
	v_dual_mov_b32 v76, s7 :: v_dual_add_nc_u32 v75, -1, v75
	s_add_co_i32 s7, s7, 4
	ds_load_b32 v77, v74
	ds_load_b32 v76, v76
	v_add_nc_u32_e32 v74, 4, v74
	v_cmp_eq_u32_e32 vcc_lo, 0, v75
	s_or_b32 s1, vcc_lo, s1
	s_wait_dscnt 0x0
	v_fmac_f32_e32 v73, v77, v76
	s_and_not1_b32 exec_lo, exec_lo, s1
	s_cbranch_execnz .LBB34_283
; %bb.284:
	s_or_b32 exec_lo, exec_lo, s1
.LBB34_285:
	s_delay_alu instid0(SALU_CYCLE_1)
	s_or_b32 exec_lo, exec_lo, s5
	v_mov_b32_e32 v74, 0
	ds_load_b32 v74, v74 offset:20
	s_wait_dscnt 0x0
	v_mul_f32_e32 v73, v73, v74
	ds_store_b32 v7, v73 offset:20
.LBB34_286:
	s_or_b32 exec_lo, exec_lo, s4
	ds_load_b32 v73, v7 offset:16
	v_cmp_lt_u32_e64 s1, 4, v94
	s_wait_dscnt 0x0
	ds_store_b32 v96, v73
	s_wait_dscnt 0x0
	s_barrier_signal -1
	s_barrier_wait -1
	s_and_saveexec_b32 s4, s1
	s_cbranch_execz .LBB34_296
; %bb.287:
	s_and_not1_b32 vcc_lo, exec_lo, s6
	s_cbranch_vccnz .LBB34_289
; %bb.288:
	ds_load_b32 v73, v97
	ds_load_b32 v74, v96
	s_wait_dscnt 0x0
	v_mul_f32_e32 v73, v73, v74
	s_cbranch_execz .LBB34_290
	s_branch .LBB34_291
.LBB34_289:
                                        ; implicit-def: $vgpr73
.LBB34_290:
	ds_load_b32 v73, v96
.LBB34_291:
	s_and_saveexec_b32 s5, s0
	s_cbranch_execz .LBB34_295
; %bb.292:
	s_movk_i32 s0, 0x8c
	v_add_nc_u32_e32 v75, -5, v94
	v_mad_u32 v74, v72, s0, 0x134
	s_movk_i32 s7, 0xa4
	s_mov_b32 s0, 0
.LBB34_293:                             ; =>This Inner Loop Header: Depth=1
	s_delay_alu instid0(VALU_DEP_2)
	v_dual_mov_b32 v76, s7 :: v_dual_add_nc_u32 v75, -1, v75
	s_add_co_i32 s7, s7, 4
	ds_load_b32 v77, v74
	ds_load_b32 v76, v76
	v_add_nc_u32_e32 v74, 4, v74
	v_cmp_eq_u32_e32 vcc_lo, 0, v75
	s_or_b32 s0, vcc_lo, s0
	s_wait_dscnt 0x0
	v_fmac_f32_e32 v73, v77, v76
	s_and_not1_b32 exec_lo, exec_lo, s0
	s_cbranch_execnz .LBB34_293
; %bb.294:
	s_or_b32 exec_lo, exec_lo, s0
.LBB34_295:
	s_delay_alu instid0(SALU_CYCLE_1)
	s_or_b32 exec_lo, exec_lo, s5
	v_mov_b32_e32 v74, 0
	ds_load_b32 v74, v74 offset:16
	s_wait_dscnt 0x0
	v_mul_f32_e32 v73, v73, v74
	ds_store_b32 v7, v73 offset:16
.LBB34_296:
	s_or_b32 exec_lo, exec_lo, s4
	ds_load_b32 v73, v7 offset:12
	v_cmp_lt_u32_e64 s0, 3, v94
	s_wait_dscnt 0x0
	ds_store_b32 v96, v73
	s_wait_dscnt 0x0
	s_barrier_signal -1
	s_barrier_wait -1
	s_and_saveexec_b32 s4, s0
	s_cbranch_execz .LBB34_306
; %bb.297:
	s_and_not1_b32 vcc_lo, exec_lo, s6
	s_cbranch_vccnz .LBB34_299
; %bb.298:
	ds_load_b32 v73, v97
	ds_load_b32 v74, v96
	s_wait_dscnt 0x0
	v_mul_f32_e32 v73, v73, v74
	s_cbranch_execz .LBB34_300
	s_branch .LBB34_301
.LBB34_299:
                                        ; implicit-def: $vgpr73
.LBB34_300:
	ds_load_b32 v73, v96
.LBB34_301:
	s_and_saveexec_b32 s5, s1
	s_cbranch_execz .LBB34_305
; %bb.302:
	s_movk_i32 s1, 0x8c
	v_add_nc_u32_e32 v75, -4, v94
	v_mad_u32 v74, v72, s1, 0x130
	s_movk_i32 s7, 0xa0
	s_mov_b32 s1, 0
.LBB34_303:                             ; =>This Inner Loop Header: Depth=1
	s_delay_alu instid0(VALU_DEP_2)
	v_dual_mov_b32 v76, s7 :: v_dual_add_nc_u32 v75, -1, v75
	s_add_co_i32 s7, s7, 4
	ds_load_b32 v77, v74
	ds_load_b32 v76, v76
	v_add_nc_u32_e32 v74, 4, v74
	v_cmp_eq_u32_e32 vcc_lo, 0, v75
	s_or_b32 s1, vcc_lo, s1
	s_wait_dscnt 0x0
	v_fmac_f32_e32 v73, v77, v76
	s_and_not1_b32 exec_lo, exec_lo, s1
	s_cbranch_execnz .LBB34_303
; %bb.304:
	s_or_b32 exec_lo, exec_lo, s1
.LBB34_305:
	s_delay_alu instid0(SALU_CYCLE_1)
	s_or_b32 exec_lo, exec_lo, s5
	v_mov_b32_e32 v74, 0
	ds_load_b32 v74, v74 offset:12
	s_wait_dscnt 0x0
	v_mul_f32_e32 v73, v73, v74
	ds_store_b32 v7, v73 offset:12
.LBB34_306:
	s_or_b32 exec_lo, exec_lo, s4
	ds_load_b32 v73, v7 offset:8
	v_cmp_lt_u32_e64 s1, 2, v94
	s_wait_dscnt 0x0
	ds_store_b32 v96, v73
	s_wait_dscnt 0x0
	s_barrier_signal -1
	s_barrier_wait -1
	s_and_saveexec_b32 s4, s1
	s_cbranch_execz .LBB34_316
; %bb.307:
	s_and_not1_b32 vcc_lo, exec_lo, s6
	s_cbranch_vccnz .LBB34_309
; %bb.308:
	ds_load_b32 v73, v97
	ds_load_b32 v74, v96
	s_wait_dscnt 0x0
	v_mul_f32_e32 v73, v73, v74
	s_cbranch_execz .LBB34_310
	s_branch .LBB34_311
.LBB34_309:
                                        ; implicit-def: $vgpr73
.LBB34_310:
	ds_load_b32 v73, v96
.LBB34_311:
	s_and_saveexec_b32 s5, s0
	s_cbranch_execz .LBB34_315
; %bb.312:
	s_movk_i32 s0, 0x8c
	v_add_nc_u32_e32 v75, -3, v94
	v_mad_u32 v74, v72, s0, 0x12c
	s_movk_i32 s7, 0x9c
	s_mov_b32 s0, 0
.LBB34_313:                             ; =>This Inner Loop Header: Depth=1
	s_delay_alu instid0(VALU_DEP_2)
	v_dual_mov_b32 v76, s7 :: v_dual_add_nc_u32 v75, -1, v75
	s_add_co_i32 s7, s7, 4
	ds_load_b32 v77, v74
	ds_load_b32 v76, v76
	v_add_nc_u32_e32 v74, 4, v74
	v_cmp_eq_u32_e32 vcc_lo, 0, v75
	s_or_b32 s0, vcc_lo, s0
	s_wait_dscnt 0x0
	v_fmac_f32_e32 v73, v77, v76
	s_and_not1_b32 exec_lo, exec_lo, s0
	s_cbranch_execnz .LBB34_313
; %bb.314:
	s_or_b32 exec_lo, exec_lo, s0
.LBB34_315:
	s_delay_alu instid0(SALU_CYCLE_1)
	s_or_b32 exec_lo, exec_lo, s5
	v_mov_b32_e32 v74, 0
	ds_load_b32 v74, v74 offset:8
	s_wait_dscnt 0x0
	v_mul_f32_e32 v73, v73, v74
	ds_store_b32 v7, v73 offset:8
.LBB34_316:
	s_or_b32 exec_lo, exec_lo, s4
	ds_load_b32 v73, v7 offset:4
	v_cmp_lt_u32_e64 s0, 1, v94
	s_wait_dscnt 0x0
	ds_store_b32 v96, v73
	s_wait_dscnt 0x0
	s_barrier_signal -1
	s_barrier_wait -1
	s_and_saveexec_b32 s4, s0
	s_cbranch_execz .LBB34_326
; %bb.317:
	s_and_not1_b32 vcc_lo, exec_lo, s6
	s_cbranch_vccnz .LBB34_319
; %bb.318:
	ds_load_b32 v73, v97
	ds_load_b32 v74, v96
	s_wait_dscnt 0x0
	v_mul_f32_e32 v73, v73, v74
	s_cbranch_execz .LBB34_320
	s_branch .LBB34_321
.LBB34_319:
                                        ; implicit-def: $vgpr73
.LBB34_320:
	ds_load_b32 v73, v96
.LBB34_321:
	s_and_saveexec_b32 s5, s1
	s_cbranch_execz .LBB34_325
; %bb.322:
	s_movk_i32 s1, 0x8c
	v_add_nc_u32_e32 v75, -2, v94
	v_mad_u32 v74, v72, s1, 0x128
	s_movk_i32 s7, 0x98
	s_mov_b32 s1, 0
.LBB34_323:                             ; =>This Inner Loop Header: Depth=1
	s_delay_alu instid0(VALU_DEP_2)
	v_dual_mov_b32 v76, s7 :: v_dual_add_nc_u32 v75, -1, v75
	s_add_co_i32 s7, s7, 4
	ds_load_b32 v77, v74
	ds_load_b32 v76, v76
	v_add_nc_u32_e32 v74, 4, v74
	v_cmp_eq_u32_e32 vcc_lo, 0, v75
	s_or_b32 s1, vcc_lo, s1
	s_wait_dscnt 0x0
	v_fmac_f32_e32 v73, v77, v76
	s_and_not1_b32 exec_lo, exec_lo, s1
	s_cbranch_execnz .LBB34_323
; %bb.324:
	s_or_b32 exec_lo, exec_lo, s1
.LBB34_325:
	s_delay_alu instid0(SALU_CYCLE_1)
	s_or_b32 exec_lo, exec_lo, s5
	v_mov_b32_e32 v74, 0
	ds_load_b32 v74, v74 offset:4
	s_wait_dscnt 0x0
	v_mul_f32_e32 v73, v73, v74
	ds_store_b32 v7, v73 offset:4
.LBB34_326:
	s_or_b32 exec_lo, exec_lo, s4
	ds_load_b32 v73, v7
	s_mov_b32 s1, 0
	s_mov_b32 s4, exec_lo
	s_wait_dscnt 0x0
	ds_store_b32 v96, v73
	s_wait_dscnt 0x0
	s_barrier_signal -1
	s_barrier_wait -1
	v_cmpx_ne_u32_e32 0, v94
	s_cbranch_execz .LBB34_336
; %bb.327:
	s_and_not1_b32 vcc_lo, exec_lo, s6
	s_cbranch_vccnz .LBB34_329
; %bb.328:
	ds_load_b32 v73, v97
	ds_load_b32 v74, v96
	s_wait_dscnt 0x0
	v_mul_f32_e32 v73, v73, v74
	s_cbranch_execz .LBB34_330
	s_branch .LBB34_331
.LBB34_329:
                                        ; implicit-def: $vgpr73
.LBB34_330:
	ds_load_b32 v73, v96
.LBB34_331:
	s_and_saveexec_b32 s5, s0
	s_cbranch_execz .LBB34_335
; %bb.332:
	s_movk_i32 s0, 0x8c
	v_add_nc_u32_e32 v74, -1, v94
	v_mad_u32 v72, v72, s0, 0x124
	s_movk_i32 s7, 0x94
	s_mov_b32 s0, 0
.LBB34_333:                             ; =>This Inner Loop Header: Depth=1
	s_delay_alu instid0(VALU_DEP_2)
	v_dual_mov_b32 v75, s7 :: v_dual_add_nc_u32 v74, -1, v74
	s_add_co_i32 s7, s7, 4
	ds_load_b32 v76, v72
	ds_load_b32 v75, v75
	v_add_nc_u32_e32 v72, 4, v72
	v_cmp_eq_u32_e32 vcc_lo, 0, v74
	s_or_b32 s0, vcc_lo, s0
	s_wait_dscnt 0x0
	v_fmac_f32_e32 v73, v76, v75
	s_and_not1_b32 exec_lo, exec_lo, s0
	s_cbranch_execnz .LBB34_333
; %bb.334:
	s_or_b32 exec_lo, exec_lo, s0
.LBB34_335:
	s_delay_alu instid0(SALU_CYCLE_1)
	s_or_b32 exec_lo, exec_lo, s5
	v_mov_b32_e32 v72, 0
	ds_load_b32 v72, v72
	s_wait_dscnt 0x0
	v_mul_f32_e32 v72, v73, v72
	ds_store_b32 v7, v72
.LBB34_336:
	s_or_b32 exec_lo, exec_lo, s4
.LBB34_337:
	v_lshl_add_u64 v[72:73], v[8:9], 2, s[2:3]
	v_lshl_add_u64 v[74:75], v[10:11], 2, s[2:3]
	;; [unrolled: 1-line block ×33, first 2 shown]
	s_and_b32 vcc_lo, exec_lo, s1
	s_cbranch_vccz .LBB34_669
; %bb.338:
	ds_load_b32 v50, v7 offset:4
	v_cmp_eq_u32_e64 s0, 0, v94
	s_wait_dscnt 0x0
	ds_store_b32 v96, v50
	s_wait_dscnt 0x0
	s_barrier_signal -1
	s_barrier_wait -1
	s_and_saveexec_b32 s1, s0
	s_cbranch_execz .LBB34_344
; %bb.339:
	s_and_b32 vcc_lo, exec_lo, s6
	s_cbranch_vccz .LBB34_341
; %bb.340:
	ds_load_b32 v50, v97
	ds_load_b32 v51, v96
	s_wait_dscnt 0x0
	v_mul_f32_e32 v50, v50, v51
	s_cbranch_execz .LBB34_342
	s_branch .LBB34_343
.LBB34_341:
                                        ; implicit-def: $vgpr50
.LBB34_342:
	ds_load_b32 v50, v96
.LBB34_343:
	v_mov_b32_e32 v51, 0
	ds_load_b32 v51, v51 offset:4
	s_wait_dscnt 0x0
	v_mul_f32_e32 v50, v50, v51
	ds_store_b32 v7, v50 offset:4
.LBB34_344:
	s_or_b32 exec_lo, exec_lo, s1
	ds_load_b32 v51, v7 offset:8
	v_cndmask_b32_e64 v50, 0, 1, s6
	s_mov_b32 s1, exec_lo
	s_wait_dscnt 0x0
	ds_store_b32 v96, v51
	s_wait_dscnt 0x0
	s_barrier_signal -1
	s_barrier_wait -1
	v_cmpx_gt_u32_e32 2, v94
	s_cbranch_execz .LBB34_350
; %bb.345:
	s_and_not1_b32 vcc_lo, exec_lo, s6
	s_cbranch_vccnz .LBB34_347
; %bb.346:
	ds_load_b32 v51, v97
	ds_load_b32 v52, v96
	s_wait_dscnt 0x0
	v_mul_f32_e32 v51, v51, v52
	s_cbranch_execz .LBB34_348
	s_branch .LBB34_349
.LBB34_347:
                                        ; implicit-def: $vgpr51
.LBB34_348:
	ds_load_b32 v51, v96
.LBB34_349:
	v_mov_b32_e32 v52, 0
	ds_load_b32 v54, v7 offset:4
	ds_load_2addr_b32 v[52:53], v52 offset0:2 offset1:37
	s_wait_dscnt 0x0
	v_fma_f32 v53, v54, v53, v51
	s_delay_alu instid0(VALU_DEP_1) | instskip(NEXT) | instid1(VALU_DEP_1)
	v_cndmask_b32_e64 v51, v51, v53, s0
	v_mul_f32_e32 v51, v51, v52
	ds_store_b32 v7, v51 offset:8
.LBB34_350:
	s_or_b32 exec_lo, exec_lo, s1
	ds_load_b32 v51, v7 offset:12
	s_mov_b32 s1, exec_lo
	s_wait_dscnt 0x0
	ds_store_b32 v96, v51
	s_wait_dscnt 0x0
	s_barrier_signal -1
	s_barrier_wait -1
	v_cmpx_gt_u32_e32 3, v94
	s_cbranch_execz .LBB34_358
; %bb.351:
	v_cmp_ne_u32_e32 vcc_lo, 1, v50
	s_cbranch_vccnz .LBB34_353
; %bb.352:
	ds_load_b32 v51, v97
	ds_load_b32 v52, v96
	s_wait_dscnt 0x0
	v_mul_f32_e32 v51, v51, v52
	s_cbranch_execz .LBB34_354
	s_branch .LBB34_355
.LBB34_353:
                                        ; implicit-def: $vgpr51
.LBB34_354:
	ds_load_b32 v51, v96
.LBB34_355:
	s_mov_b32 s2, exec_lo
	v_cmpx_ne_u32_e32 2, v94
	s_cbranch_execz .LBB34_357
; %bb.356:
	ds_load_b32 v52, v97 offset:4
	ds_load_b32 v53, v96 offset:4
	s_wait_dscnt 0x0
	v_dual_mov_b32 v54, 0 :: v_dual_fmac_f32 v51, v52, v53
	ds_load_b32 v55, v7 offset:8
	ds_load_b32 v54, v54 offset:152
	s_wait_dscnt 0x0
	v_fma_f32 v52, v55, v54, v51
	s_delay_alu instid0(VALU_DEP_1)
	v_cndmask_b32_e64 v51, v51, v52, s0
.LBB34_357:
	s_or_b32 exec_lo, exec_lo, s2
	v_mov_b32_e32 v52, 0
	ds_load_b32 v52, v52 offset:12
	s_wait_dscnt 0x0
	v_mul_f32_e32 v51, v51, v52
	ds_store_b32 v7, v51 offset:12
.LBB34_358:
	s_or_b32 exec_lo, exec_lo, s1
	ds_load_b32 v51, v7 offset:16
	s_mov_b32 s0, exec_lo
	s_wait_dscnt 0x0
	ds_store_b32 v96, v51
	s_wait_dscnt 0x0
	s_barrier_signal -1
	s_barrier_wait -1
	v_cmpx_gt_u32_e32 4, v94
	s_cbranch_execz .LBB34_368
; %bb.359:
	v_cmp_ne_u32_e32 vcc_lo, 1, v50
	s_cbranch_vccnz .LBB34_361
; %bb.360:
	ds_load_b32 v51, v97
	ds_load_b32 v52, v96
	s_wait_dscnt 0x0
	v_mul_f32_e32 v51, v51, v52
	s_cbranch_execz .LBB34_362
	s_branch .LBB34_363
.LBB34_361:
                                        ; implicit-def: $vgpr51
.LBB34_362:
	ds_load_b32 v51, v96
.LBB34_363:
	s_mov_b32 s1, exec_lo
	v_cmpx_ne_u32_e32 3, v94
	s_cbranch_execz .LBB34_367
; %bb.364:
	v_add_nc_u32_e32 v52, 0x94, v6
	v_add3_u32 v53, v95, v6, 0x124
	v_mov_b32_e32 v54, v94
	s_mov_b32 s2, 0
.LBB34_365:                             ; =>This Inner Loop Header: Depth=1
	ds_load_b32 v55, v53
	ds_load_b32 v56, v52
	v_dual_add_nc_u32 v54, 1, v54 :: v_dual_add_nc_u32 v52, 4, v52
	v_add_nc_u32_e32 v53, 4, v53
	s_delay_alu instid0(VALU_DEP_2)
	v_cmp_lt_u32_e32 vcc_lo, 2, v54
	s_or_b32 s2, vcc_lo, s2
	s_wait_dscnt 0x0
	v_fmac_f32_e32 v51, v55, v56
	s_and_not1_b32 exec_lo, exec_lo, s2
	s_cbranch_execnz .LBB34_365
; %bb.366:
	s_or_b32 exec_lo, exec_lo, s2
.LBB34_367:
	s_delay_alu instid0(SALU_CYCLE_1)
	s_or_b32 exec_lo, exec_lo, s1
	v_mov_b32_e32 v52, 0
	ds_load_b32 v52, v52 offset:16
	s_wait_dscnt 0x0
	v_mul_f32_e32 v51, v51, v52
	ds_store_b32 v7, v51 offset:16
.LBB34_368:
	s_or_b32 exec_lo, exec_lo, s0
	ds_load_b32 v51, v7 offset:20
	s_mov_b32 s0, exec_lo
	s_wait_dscnt 0x0
	ds_store_b32 v96, v51
	s_wait_dscnt 0x0
	s_barrier_signal -1
	s_barrier_wait -1
	v_cmpx_gt_u32_e32 5, v94
	s_cbranch_execz .LBB34_378
; %bb.369:
	v_cmp_ne_u32_e32 vcc_lo, 1, v50
	s_cbranch_vccnz .LBB34_371
; %bb.370:
	ds_load_b32 v51, v97
	ds_load_b32 v52, v96
	s_wait_dscnt 0x0
	v_mul_f32_e32 v51, v51, v52
	s_cbranch_execz .LBB34_372
	s_branch .LBB34_373
.LBB34_371:
                                        ; implicit-def: $vgpr51
.LBB34_372:
	ds_load_b32 v51, v96
.LBB34_373:
	s_mov_b32 s1, exec_lo
	v_cmpx_ne_u32_e32 4, v94
	s_cbranch_execz .LBB34_377
; %bb.374:
	v_add_nc_u32_e32 v52, 0x94, v6
	v_add3_u32 v53, v95, v6, 0x124
	v_mov_b32_e32 v54, v94
	s_mov_b32 s2, 0
.LBB34_375:                             ; =>This Inner Loop Header: Depth=1
	ds_load_b32 v55, v53
	ds_load_b32 v56, v52
	v_dual_add_nc_u32 v54, 1, v54 :: v_dual_add_nc_u32 v52, 4, v52
	v_add_nc_u32_e32 v53, 4, v53
	s_delay_alu instid0(VALU_DEP_2)
	v_cmp_lt_u32_e32 vcc_lo, 3, v54
	s_or_b32 s2, vcc_lo, s2
	s_wait_dscnt 0x0
	v_fmac_f32_e32 v51, v55, v56
	s_and_not1_b32 exec_lo, exec_lo, s2
	s_cbranch_execnz .LBB34_375
; %bb.376:
	s_or_b32 exec_lo, exec_lo, s2
.LBB34_377:
	s_delay_alu instid0(SALU_CYCLE_1)
	s_or_b32 exec_lo, exec_lo, s1
	v_mov_b32_e32 v52, 0
	ds_load_b32 v52, v52 offset:20
	s_wait_dscnt 0x0
	v_mul_f32_e32 v51, v51, v52
	ds_store_b32 v7, v51 offset:20
.LBB34_378:
	s_or_b32 exec_lo, exec_lo, s0
	ds_load_b32 v51, v7 offset:24
	s_mov_b32 s0, exec_lo
	s_wait_dscnt 0x0
	ds_store_b32 v96, v51
	s_wait_dscnt 0x0
	s_barrier_signal -1
	s_barrier_wait -1
	v_cmpx_gt_u32_e32 6, v94
	s_cbranch_execz .LBB34_388
; %bb.379:
	v_cmp_ne_u32_e32 vcc_lo, 1, v50
	s_cbranch_vccnz .LBB34_381
; %bb.380:
	ds_load_b32 v51, v97
	ds_load_b32 v52, v96
	s_wait_dscnt 0x0
	v_mul_f32_e32 v51, v51, v52
	s_cbranch_execz .LBB34_382
	s_branch .LBB34_383
.LBB34_381:
                                        ; implicit-def: $vgpr51
.LBB34_382:
	ds_load_b32 v51, v96
.LBB34_383:
	s_mov_b32 s1, exec_lo
	v_cmpx_ne_u32_e32 5, v94
	s_cbranch_execz .LBB34_387
; %bb.384:
	v_add_nc_u32_e32 v52, 0x94, v6
	v_add3_u32 v53, v95, v6, 0x124
	v_mov_b32_e32 v54, v94
	s_mov_b32 s2, 0
.LBB34_385:                             ; =>This Inner Loop Header: Depth=1
	ds_load_b32 v55, v53
	ds_load_b32 v56, v52
	v_dual_add_nc_u32 v54, 1, v54 :: v_dual_add_nc_u32 v52, 4, v52
	v_add_nc_u32_e32 v53, 4, v53
	s_delay_alu instid0(VALU_DEP_2)
	v_cmp_lt_u32_e32 vcc_lo, 4, v54
	s_or_b32 s2, vcc_lo, s2
	s_wait_dscnt 0x0
	v_fmac_f32_e32 v51, v55, v56
	s_and_not1_b32 exec_lo, exec_lo, s2
	s_cbranch_execnz .LBB34_385
; %bb.386:
	s_or_b32 exec_lo, exec_lo, s2
.LBB34_387:
	s_delay_alu instid0(SALU_CYCLE_1)
	s_or_b32 exec_lo, exec_lo, s1
	v_mov_b32_e32 v52, 0
	ds_load_b32 v52, v52 offset:24
	s_wait_dscnt 0x0
	v_mul_f32_e32 v51, v51, v52
	ds_store_b32 v7, v51 offset:24
.LBB34_388:
	s_or_b32 exec_lo, exec_lo, s0
	ds_load_b32 v51, v7 offset:28
	s_mov_b32 s0, exec_lo
	s_wait_dscnt 0x0
	ds_store_b32 v96, v51
	s_wait_dscnt 0x0
	s_barrier_signal -1
	s_barrier_wait -1
	v_cmpx_gt_u32_e32 7, v94
	s_cbranch_execz .LBB34_398
; %bb.389:
	v_cmp_ne_u32_e32 vcc_lo, 1, v50
	s_cbranch_vccnz .LBB34_391
; %bb.390:
	ds_load_b32 v51, v97
	ds_load_b32 v52, v96
	s_wait_dscnt 0x0
	v_mul_f32_e32 v51, v51, v52
	s_cbranch_execz .LBB34_392
	s_branch .LBB34_393
.LBB34_391:
                                        ; implicit-def: $vgpr51
.LBB34_392:
	ds_load_b32 v51, v96
.LBB34_393:
	s_mov_b32 s1, exec_lo
	v_cmpx_ne_u32_e32 6, v94
	s_cbranch_execz .LBB34_397
; %bb.394:
	v_add_nc_u32_e32 v52, 0x94, v6
	v_add3_u32 v53, v95, v6, 0x124
	v_mov_b32_e32 v54, v94
	s_mov_b32 s2, 0
.LBB34_395:                             ; =>This Inner Loop Header: Depth=1
	ds_load_b32 v55, v53
	ds_load_b32 v56, v52
	v_dual_add_nc_u32 v54, 1, v54 :: v_dual_add_nc_u32 v52, 4, v52
	v_add_nc_u32_e32 v53, 4, v53
	s_delay_alu instid0(VALU_DEP_2)
	v_cmp_lt_u32_e32 vcc_lo, 5, v54
	s_or_b32 s2, vcc_lo, s2
	s_wait_dscnt 0x0
	v_fmac_f32_e32 v51, v55, v56
	s_and_not1_b32 exec_lo, exec_lo, s2
	s_cbranch_execnz .LBB34_395
; %bb.396:
	s_or_b32 exec_lo, exec_lo, s2
.LBB34_397:
	s_delay_alu instid0(SALU_CYCLE_1)
	s_or_b32 exec_lo, exec_lo, s1
	v_mov_b32_e32 v52, 0
	ds_load_b32 v52, v52 offset:28
	s_wait_dscnt 0x0
	v_mul_f32_e32 v51, v51, v52
	ds_store_b32 v7, v51 offset:28
.LBB34_398:
	s_or_b32 exec_lo, exec_lo, s0
	ds_load_b32 v51, v7 offset:32
	s_mov_b32 s0, exec_lo
	s_wait_dscnt 0x0
	ds_store_b32 v96, v51
	s_wait_dscnt 0x0
	s_barrier_signal -1
	s_barrier_wait -1
	v_cmpx_gt_u32_e32 8, v94
	s_cbranch_execz .LBB34_408
; %bb.399:
	v_cmp_ne_u32_e32 vcc_lo, 1, v50
	s_cbranch_vccnz .LBB34_401
; %bb.400:
	ds_load_b32 v51, v97
	ds_load_b32 v52, v96
	s_wait_dscnt 0x0
	v_mul_f32_e32 v51, v51, v52
	s_cbranch_execz .LBB34_402
	s_branch .LBB34_403
.LBB34_401:
                                        ; implicit-def: $vgpr51
.LBB34_402:
	ds_load_b32 v51, v96
.LBB34_403:
	s_mov_b32 s1, exec_lo
	v_cmpx_ne_u32_e32 7, v94
	s_cbranch_execz .LBB34_407
; %bb.404:
	v_add_nc_u32_e32 v52, 0x94, v6
	v_add3_u32 v53, v95, v6, 0x124
	v_mov_b32_e32 v54, v94
	s_mov_b32 s2, 0
.LBB34_405:                             ; =>This Inner Loop Header: Depth=1
	ds_load_b32 v55, v53
	ds_load_b32 v56, v52
	v_dual_add_nc_u32 v54, 1, v54 :: v_dual_add_nc_u32 v52, 4, v52
	v_add_nc_u32_e32 v53, 4, v53
	s_delay_alu instid0(VALU_DEP_2)
	v_cmp_lt_u32_e32 vcc_lo, 6, v54
	s_or_b32 s2, vcc_lo, s2
	s_wait_dscnt 0x0
	v_fmac_f32_e32 v51, v55, v56
	s_and_not1_b32 exec_lo, exec_lo, s2
	s_cbranch_execnz .LBB34_405
; %bb.406:
	s_or_b32 exec_lo, exec_lo, s2
.LBB34_407:
	s_delay_alu instid0(SALU_CYCLE_1)
	s_or_b32 exec_lo, exec_lo, s1
	v_mov_b32_e32 v52, 0
	ds_load_b32 v52, v52 offset:32
	s_wait_dscnt 0x0
	v_mul_f32_e32 v51, v51, v52
	ds_store_b32 v7, v51 offset:32
.LBB34_408:
	s_or_b32 exec_lo, exec_lo, s0
	ds_load_b32 v51, v7 offset:36
	s_mov_b32 s0, exec_lo
	s_wait_dscnt 0x0
	ds_store_b32 v96, v51
	s_wait_dscnt 0x0
	s_barrier_signal -1
	s_barrier_wait -1
	v_cmpx_gt_u32_e32 9, v94
	s_cbranch_execz .LBB34_418
; %bb.409:
	v_cmp_ne_u32_e32 vcc_lo, 1, v50
	s_cbranch_vccnz .LBB34_411
; %bb.410:
	ds_load_b32 v51, v97
	ds_load_b32 v52, v96
	s_wait_dscnt 0x0
	v_mul_f32_e32 v51, v51, v52
	s_cbranch_execz .LBB34_412
	s_branch .LBB34_413
.LBB34_411:
                                        ; implicit-def: $vgpr51
.LBB34_412:
	ds_load_b32 v51, v96
.LBB34_413:
	s_mov_b32 s1, exec_lo
	v_cmpx_ne_u32_e32 8, v94
	s_cbranch_execz .LBB34_417
; %bb.414:
	v_add_nc_u32_e32 v52, 0x94, v6
	v_add3_u32 v53, v95, v6, 0x124
	v_mov_b32_e32 v54, v94
	s_mov_b32 s2, 0
.LBB34_415:                             ; =>This Inner Loop Header: Depth=1
	ds_load_b32 v55, v53
	ds_load_b32 v56, v52
	v_dual_add_nc_u32 v54, 1, v54 :: v_dual_add_nc_u32 v52, 4, v52
	v_add_nc_u32_e32 v53, 4, v53
	s_delay_alu instid0(VALU_DEP_2)
	v_cmp_lt_u32_e32 vcc_lo, 7, v54
	s_or_b32 s2, vcc_lo, s2
	s_wait_dscnt 0x0
	v_fmac_f32_e32 v51, v55, v56
	s_and_not1_b32 exec_lo, exec_lo, s2
	s_cbranch_execnz .LBB34_415
; %bb.416:
	s_or_b32 exec_lo, exec_lo, s2
.LBB34_417:
	s_delay_alu instid0(SALU_CYCLE_1)
	s_or_b32 exec_lo, exec_lo, s1
	v_mov_b32_e32 v52, 0
	ds_load_b32 v52, v52 offset:36
	s_wait_dscnt 0x0
	v_mul_f32_e32 v51, v51, v52
	ds_store_b32 v7, v51 offset:36
.LBB34_418:
	s_or_b32 exec_lo, exec_lo, s0
	ds_load_b32 v51, v7 offset:40
	s_mov_b32 s0, exec_lo
	s_wait_dscnt 0x0
	ds_store_b32 v96, v51
	s_wait_dscnt 0x0
	s_barrier_signal -1
	s_barrier_wait -1
	v_cmpx_gt_u32_e32 10, v94
	s_cbranch_execz .LBB34_428
; %bb.419:
	v_cmp_ne_u32_e32 vcc_lo, 1, v50
	s_cbranch_vccnz .LBB34_421
; %bb.420:
	ds_load_b32 v51, v97
	ds_load_b32 v52, v96
	s_wait_dscnt 0x0
	v_mul_f32_e32 v51, v51, v52
	s_cbranch_execz .LBB34_422
	s_branch .LBB34_423
.LBB34_421:
                                        ; implicit-def: $vgpr51
.LBB34_422:
	ds_load_b32 v51, v96
.LBB34_423:
	s_mov_b32 s1, exec_lo
	v_cmpx_ne_u32_e32 9, v94
	s_cbranch_execz .LBB34_427
; %bb.424:
	v_add_nc_u32_e32 v52, 0x94, v6
	v_add3_u32 v53, v95, v6, 0x124
	v_mov_b32_e32 v54, v94
	s_mov_b32 s2, 0
.LBB34_425:                             ; =>This Inner Loop Header: Depth=1
	ds_load_b32 v55, v53
	ds_load_b32 v56, v52
	v_dual_add_nc_u32 v54, 1, v54 :: v_dual_add_nc_u32 v52, 4, v52
	v_add_nc_u32_e32 v53, 4, v53
	s_delay_alu instid0(VALU_DEP_2)
	v_cmp_lt_u32_e32 vcc_lo, 8, v54
	s_or_b32 s2, vcc_lo, s2
	s_wait_dscnt 0x0
	v_fmac_f32_e32 v51, v55, v56
	s_and_not1_b32 exec_lo, exec_lo, s2
	s_cbranch_execnz .LBB34_425
; %bb.426:
	s_or_b32 exec_lo, exec_lo, s2
.LBB34_427:
	s_delay_alu instid0(SALU_CYCLE_1)
	s_or_b32 exec_lo, exec_lo, s1
	v_mov_b32_e32 v52, 0
	ds_load_b32 v52, v52 offset:40
	s_wait_dscnt 0x0
	v_mul_f32_e32 v51, v51, v52
	ds_store_b32 v7, v51 offset:40
.LBB34_428:
	s_or_b32 exec_lo, exec_lo, s0
	ds_load_b32 v51, v7 offset:44
	s_mov_b32 s0, exec_lo
	s_wait_dscnt 0x0
	ds_store_b32 v96, v51
	s_wait_dscnt 0x0
	s_barrier_signal -1
	s_barrier_wait -1
	v_cmpx_gt_u32_e32 11, v94
	s_cbranch_execz .LBB34_438
; %bb.429:
	v_cmp_ne_u32_e32 vcc_lo, 1, v50
	s_cbranch_vccnz .LBB34_431
; %bb.430:
	ds_load_b32 v51, v97
	ds_load_b32 v52, v96
	s_wait_dscnt 0x0
	v_mul_f32_e32 v51, v51, v52
	s_cbranch_execz .LBB34_432
	s_branch .LBB34_433
.LBB34_431:
                                        ; implicit-def: $vgpr51
.LBB34_432:
	ds_load_b32 v51, v96
.LBB34_433:
	s_mov_b32 s1, exec_lo
	v_cmpx_ne_u32_e32 10, v94
	s_cbranch_execz .LBB34_437
; %bb.434:
	v_add_nc_u32_e32 v52, 0x94, v6
	v_add3_u32 v53, v95, v6, 0x124
	v_mov_b32_e32 v54, v94
	s_mov_b32 s2, 0
.LBB34_435:                             ; =>This Inner Loop Header: Depth=1
	ds_load_b32 v55, v53
	ds_load_b32 v56, v52
	v_dual_add_nc_u32 v54, 1, v54 :: v_dual_add_nc_u32 v52, 4, v52
	v_add_nc_u32_e32 v53, 4, v53
	s_delay_alu instid0(VALU_DEP_2)
	v_cmp_lt_u32_e32 vcc_lo, 9, v54
	s_or_b32 s2, vcc_lo, s2
	s_wait_dscnt 0x0
	v_fmac_f32_e32 v51, v55, v56
	s_and_not1_b32 exec_lo, exec_lo, s2
	s_cbranch_execnz .LBB34_435
; %bb.436:
	s_or_b32 exec_lo, exec_lo, s2
.LBB34_437:
	s_delay_alu instid0(SALU_CYCLE_1)
	s_or_b32 exec_lo, exec_lo, s1
	v_mov_b32_e32 v52, 0
	ds_load_b32 v52, v52 offset:44
	s_wait_dscnt 0x0
	v_mul_f32_e32 v51, v51, v52
	ds_store_b32 v7, v51 offset:44
.LBB34_438:
	s_or_b32 exec_lo, exec_lo, s0
	ds_load_b32 v51, v7 offset:48
	s_mov_b32 s0, exec_lo
	s_wait_dscnt 0x0
	ds_store_b32 v96, v51
	s_wait_dscnt 0x0
	s_barrier_signal -1
	s_barrier_wait -1
	v_cmpx_gt_u32_e32 12, v94
	s_cbranch_execz .LBB34_448
; %bb.439:
	v_cmp_ne_u32_e32 vcc_lo, 1, v50
	s_cbranch_vccnz .LBB34_441
; %bb.440:
	ds_load_b32 v51, v97
	ds_load_b32 v52, v96
	s_wait_dscnt 0x0
	v_mul_f32_e32 v51, v51, v52
	s_cbranch_execz .LBB34_442
	s_branch .LBB34_443
.LBB34_441:
                                        ; implicit-def: $vgpr51
.LBB34_442:
	ds_load_b32 v51, v96
.LBB34_443:
	s_mov_b32 s1, exec_lo
	v_cmpx_ne_u32_e32 11, v94
	s_cbranch_execz .LBB34_447
; %bb.444:
	v_add_nc_u32_e32 v52, 0x94, v6
	v_add3_u32 v53, v95, v6, 0x124
	v_mov_b32_e32 v54, v94
	s_mov_b32 s2, 0
.LBB34_445:                             ; =>This Inner Loop Header: Depth=1
	ds_load_b32 v55, v53
	ds_load_b32 v56, v52
	v_dual_add_nc_u32 v54, 1, v54 :: v_dual_add_nc_u32 v52, 4, v52
	v_add_nc_u32_e32 v53, 4, v53
	s_delay_alu instid0(VALU_DEP_2)
	v_cmp_lt_u32_e32 vcc_lo, 10, v54
	s_or_b32 s2, vcc_lo, s2
	s_wait_dscnt 0x0
	v_fmac_f32_e32 v51, v55, v56
	s_and_not1_b32 exec_lo, exec_lo, s2
	s_cbranch_execnz .LBB34_445
; %bb.446:
	s_or_b32 exec_lo, exec_lo, s2
.LBB34_447:
	s_delay_alu instid0(SALU_CYCLE_1)
	s_or_b32 exec_lo, exec_lo, s1
	v_mov_b32_e32 v52, 0
	ds_load_b32 v52, v52 offset:48
	s_wait_dscnt 0x0
	v_mul_f32_e32 v51, v51, v52
	ds_store_b32 v7, v51 offset:48
.LBB34_448:
	s_or_b32 exec_lo, exec_lo, s0
	ds_load_b32 v51, v7 offset:52
	s_mov_b32 s0, exec_lo
	s_wait_dscnt 0x0
	ds_store_b32 v96, v51
	s_wait_dscnt 0x0
	s_barrier_signal -1
	s_barrier_wait -1
	v_cmpx_gt_u32_e32 13, v94
	s_cbranch_execz .LBB34_458
; %bb.449:
	v_cmp_ne_u32_e32 vcc_lo, 1, v50
	s_cbranch_vccnz .LBB34_451
; %bb.450:
	ds_load_b32 v51, v97
	ds_load_b32 v52, v96
	s_wait_dscnt 0x0
	v_mul_f32_e32 v51, v51, v52
	s_cbranch_execz .LBB34_452
	s_branch .LBB34_453
.LBB34_451:
                                        ; implicit-def: $vgpr51
.LBB34_452:
	ds_load_b32 v51, v96
.LBB34_453:
	s_mov_b32 s1, exec_lo
	v_cmpx_ne_u32_e32 12, v94
	s_cbranch_execz .LBB34_457
; %bb.454:
	v_add_nc_u32_e32 v52, 0x94, v6
	v_add3_u32 v53, v95, v6, 0x124
	v_mov_b32_e32 v54, v94
	s_mov_b32 s2, 0
.LBB34_455:                             ; =>This Inner Loop Header: Depth=1
	ds_load_b32 v55, v53
	ds_load_b32 v56, v52
	v_dual_add_nc_u32 v54, 1, v54 :: v_dual_add_nc_u32 v52, 4, v52
	v_add_nc_u32_e32 v53, 4, v53
	s_delay_alu instid0(VALU_DEP_2)
	v_cmp_lt_u32_e32 vcc_lo, 11, v54
	s_or_b32 s2, vcc_lo, s2
	s_wait_dscnt 0x0
	v_fmac_f32_e32 v51, v55, v56
	s_and_not1_b32 exec_lo, exec_lo, s2
	s_cbranch_execnz .LBB34_455
; %bb.456:
	s_or_b32 exec_lo, exec_lo, s2
.LBB34_457:
	s_delay_alu instid0(SALU_CYCLE_1)
	s_or_b32 exec_lo, exec_lo, s1
	v_mov_b32_e32 v52, 0
	ds_load_b32 v52, v52 offset:52
	s_wait_dscnt 0x0
	v_mul_f32_e32 v51, v51, v52
	ds_store_b32 v7, v51 offset:52
.LBB34_458:
	s_or_b32 exec_lo, exec_lo, s0
	ds_load_b32 v51, v7 offset:56
	s_mov_b32 s0, exec_lo
	s_wait_dscnt 0x0
	ds_store_b32 v96, v51
	s_wait_dscnt 0x0
	s_barrier_signal -1
	s_barrier_wait -1
	v_cmpx_gt_u32_e32 14, v94
	s_cbranch_execz .LBB34_468
; %bb.459:
	v_cmp_ne_u32_e32 vcc_lo, 1, v50
	s_cbranch_vccnz .LBB34_461
; %bb.460:
	ds_load_b32 v51, v97
	ds_load_b32 v52, v96
	s_wait_dscnt 0x0
	v_mul_f32_e32 v51, v51, v52
	s_cbranch_execz .LBB34_462
	s_branch .LBB34_463
.LBB34_461:
                                        ; implicit-def: $vgpr51
.LBB34_462:
	ds_load_b32 v51, v96
.LBB34_463:
	s_mov_b32 s1, exec_lo
	v_cmpx_ne_u32_e32 13, v94
	s_cbranch_execz .LBB34_467
; %bb.464:
	v_add_nc_u32_e32 v52, 0x94, v6
	v_add3_u32 v53, v95, v6, 0x124
	v_mov_b32_e32 v54, v94
	s_mov_b32 s2, 0
.LBB34_465:                             ; =>This Inner Loop Header: Depth=1
	ds_load_b32 v55, v53
	ds_load_b32 v56, v52
	v_dual_add_nc_u32 v54, 1, v54 :: v_dual_add_nc_u32 v52, 4, v52
	v_add_nc_u32_e32 v53, 4, v53
	s_delay_alu instid0(VALU_DEP_2)
	v_cmp_lt_u32_e32 vcc_lo, 12, v54
	s_or_b32 s2, vcc_lo, s2
	s_wait_dscnt 0x0
	v_fmac_f32_e32 v51, v55, v56
	s_and_not1_b32 exec_lo, exec_lo, s2
	s_cbranch_execnz .LBB34_465
; %bb.466:
	s_or_b32 exec_lo, exec_lo, s2
.LBB34_467:
	s_delay_alu instid0(SALU_CYCLE_1)
	s_or_b32 exec_lo, exec_lo, s1
	v_mov_b32_e32 v52, 0
	ds_load_b32 v52, v52 offset:56
	s_wait_dscnt 0x0
	v_mul_f32_e32 v51, v51, v52
	ds_store_b32 v7, v51 offset:56
.LBB34_468:
	s_or_b32 exec_lo, exec_lo, s0
	ds_load_b32 v51, v7 offset:60
	s_mov_b32 s0, exec_lo
	s_wait_dscnt 0x0
	ds_store_b32 v96, v51
	s_wait_dscnt 0x0
	s_barrier_signal -1
	s_barrier_wait -1
	v_cmpx_gt_u32_e32 15, v94
	s_cbranch_execz .LBB34_478
; %bb.469:
	v_cmp_ne_u32_e32 vcc_lo, 1, v50
	s_cbranch_vccnz .LBB34_471
; %bb.470:
	ds_load_b32 v51, v97
	ds_load_b32 v52, v96
	s_wait_dscnt 0x0
	v_mul_f32_e32 v51, v51, v52
	s_cbranch_execz .LBB34_472
	s_branch .LBB34_473
.LBB34_471:
                                        ; implicit-def: $vgpr51
.LBB34_472:
	ds_load_b32 v51, v96
.LBB34_473:
	s_mov_b32 s1, exec_lo
	v_cmpx_ne_u32_e32 14, v94
	s_cbranch_execz .LBB34_477
; %bb.474:
	v_add_nc_u32_e32 v52, 0x94, v6
	v_add3_u32 v53, v95, v6, 0x124
	v_mov_b32_e32 v54, v94
	s_mov_b32 s2, 0
.LBB34_475:                             ; =>This Inner Loop Header: Depth=1
	ds_load_b32 v55, v53
	ds_load_b32 v56, v52
	v_dual_add_nc_u32 v54, 1, v54 :: v_dual_add_nc_u32 v52, 4, v52
	v_add_nc_u32_e32 v53, 4, v53
	s_delay_alu instid0(VALU_DEP_2)
	v_cmp_lt_u32_e32 vcc_lo, 13, v54
	s_or_b32 s2, vcc_lo, s2
	s_wait_dscnt 0x0
	v_fmac_f32_e32 v51, v55, v56
	s_and_not1_b32 exec_lo, exec_lo, s2
	s_cbranch_execnz .LBB34_475
; %bb.476:
	s_or_b32 exec_lo, exec_lo, s2
.LBB34_477:
	s_delay_alu instid0(SALU_CYCLE_1)
	s_or_b32 exec_lo, exec_lo, s1
	v_mov_b32_e32 v52, 0
	ds_load_b32 v52, v52 offset:60
	s_wait_dscnt 0x0
	v_mul_f32_e32 v51, v51, v52
	ds_store_b32 v7, v51 offset:60
.LBB34_478:
	s_or_b32 exec_lo, exec_lo, s0
	ds_load_b32 v51, v7 offset:64
	s_mov_b32 s0, exec_lo
	s_wait_dscnt 0x0
	ds_store_b32 v96, v51
	s_wait_dscnt 0x0
	s_barrier_signal -1
	s_barrier_wait -1
	v_cmpx_gt_u32_e32 16, v94
	s_cbranch_execz .LBB34_488
; %bb.479:
	v_cmp_ne_u32_e32 vcc_lo, 1, v50
	s_cbranch_vccnz .LBB34_481
; %bb.480:
	ds_load_b32 v51, v97
	ds_load_b32 v52, v96
	s_wait_dscnt 0x0
	v_mul_f32_e32 v51, v51, v52
	s_cbranch_execz .LBB34_482
	s_branch .LBB34_483
.LBB34_481:
                                        ; implicit-def: $vgpr51
.LBB34_482:
	ds_load_b32 v51, v96
.LBB34_483:
	s_mov_b32 s1, exec_lo
	v_cmpx_ne_u32_e32 15, v94
	s_cbranch_execz .LBB34_487
; %bb.484:
	v_add_nc_u32_e32 v52, 0x94, v6
	v_add3_u32 v53, v95, v6, 0x124
	v_mov_b32_e32 v54, v94
	s_mov_b32 s2, 0
.LBB34_485:                             ; =>This Inner Loop Header: Depth=1
	ds_load_b32 v55, v53
	ds_load_b32 v56, v52
	v_dual_add_nc_u32 v54, 1, v54 :: v_dual_add_nc_u32 v52, 4, v52
	v_add_nc_u32_e32 v53, 4, v53
	s_delay_alu instid0(VALU_DEP_2)
	v_cmp_lt_u32_e32 vcc_lo, 14, v54
	s_or_b32 s2, vcc_lo, s2
	s_wait_dscnt 0x0
	v_fmac_f32_e32 v51, v55, v56
	s_and_not1_b32 exec_lo, exec_lo, s2
	s_cbranch_execnz .LBB34_485
; %bb.486:
	s_or_b32 exec_lo, exec_lo, s2
.LBB34_487:
	s_delay_alu instid0(SALU_CYCLE_1)
	s_or_b32 exec_lo, exec_lo, s1
	v_mov_b32_e32 v52, 0
	ds_load_b32 v52, v52 offset:64
	s_wait_dscnt 0x0
	v_mul_f32_e32 v51, v51, v52
	ds_store_b32 v7, v51 offset:64
.LBB34_488:
	s_or_b32 exec_lo, exec_lo, s0
	ds_load_b32 v51, v7 offset:68
	s_mov_b32 s0, exec_lo
	s_wait_dscnt 0x0
	ds_store_b32 v96, v51
	s_wait_dscnt 0x0
	s_barrier_signal -1
	s_barrier_wait -1
	v_cmpx_gt_u32_e32 17, v94
	s_cbranch_execz .LBB34_498
; %bb.489:
	v_cmp_ne_u32_e32 vcc_lo, 1, v50
	s_cbranch_vccnz .LBB34_491
; %bb.490:
	ds_load_b32 v51, v97
	ds_load_b32 v52, v96
	s_wait_dscnt 0x0
	v_mul_f32_e32 v51, v51, v52
	s_cbranch_execz .LBB34_492
	s_branch .LBB34_493
.LBB34_491:
                                        ; implicit-def: $vgpr51
.LBB34_492:
	ds_load_b32 v51, v96
.LBB34_493:
	s_mov_b32 s1, exec_lo
	v_cmpx_ne_u32_e32 16, v94
	s_cbranch_execz .LBB34_497
; %bb.494:
	v_add_nc_u32_e32 v52, 0x94, v6
	v_add3_u32 v53, v95, v6, 0x124
	v_mov_b32_e32 v54, v94
	s_mov_b32 s2, 0
.LBB34_495:                             ; =>This Inner Loop Header: Depth=1
	ds_load_b32 v55, v53
	ds_load_b32 v56, v52
	v_dual_add_nc_u32 v54, 1, v54 :: v_dual_add_nc_u32 v52, 4, v52
	v_add_nc_u32_e32 v53, 4, v53
	s_delay_alu instid0(VALU_DEP_2)
	v_cmp_lt_u32_e32 vcc_lo, 15, v54
	s_or_b32 s2, vcc_lo, s2
	s_wait_dscnt 0x0
	v_fmac_f32_e32 v51, v55, v56
	s_and_not1_b32 exec_lo, exec_lo, s2
	s_cbranch_execnz .LBB34_495
; %bb.496:
	s_or_b32 exec_lo, exec_lo, s2
.LBB34_497:
	s_delay_alu instid0(SALU_CYCLE_1)
	s_or_b32 exec_lo, exec_lo, s1
	v_mov_b32_e32 v52, 0
	ds_load_b32 v52, v52 offset:68
	s_wait_dscnt 0x0
	v_mul_f32_e32 v51, v51, v52
	ds_store_b32 v7, v51 offset:68
.LBB34_498:
	s_or_b32 exec_lo, exec_lo, s0
	ds_load_b32 v51, v7 offset:72
	s_mov_b32 s0, exec_lo
	s_wait_dscnt 0x0
	ds_store_b32 v96, v51
	s_wait_dscnt 0x0
	s_barrier_signal -1
	s_barrier_wait -1
	v_cmpx_gt_u32_e32 18, v94
	s_cbranch_execz .LBB34_508
; %bb.499:
	v_cmp_ne_u32_e32 vcc_lo, 1, v50
	s_cbranch_vccnz .LBB34_501
; %bb.500:
	ds_load_b32 v51, v97
	ds_load_b32 v52, v96
	s_wait_dscnt 0x0
	v_mul_f32_e32 v51, v51, v52
	s_cbranch_execz .LBB34_502
	s_branch .LBB34_503
.LBB34_501:
                                        ; implicit-def: $vgpr51
.LBB34_502:
	ds_load_b32 v51, v96
.LBB34_503:
	s_mov_b32 s1, exec_lo
	v_cmpx_ne_u32_e32 17, v94
	s_cbranch_execz .LBB34_507
; %bb.504:
	v_add_nc_u32_e32 v52, 0x94, v6
	v_add3_u32 v53, v95, v6, 0x124
	v_mov_b32_e32 v54, v94
	s_mov_b32 s2, 0
.LBB34_505:                             ; =>This Inner Loop Header: Depth=1
	ds_load_b32 v55, v53
	ds_load_b32 v56, v52
	v_dual_add_nc_u32 v54, 1, v54 :: v_dual_add_nc_u32 v52, 4, v52
	v_add_nc_u32_e32 v53, 4, v53
	s_delay_alu instid0(VALU_DEP_2)
	v_cmp_lt_u32_e32 vcc_lo, 16, v54
	s_or_b32 s2, vcc_lo, s2
	s_wait_dscnt 0x0
	v_fmac_f32_e32 v51, v55, v56
	s_and_not1_b32 exec_lo, exec_lo, s2
	s_cbranch_execnz .LBB34_505
; %bb.506:
	s_or_b32 exec_lo, exec_lo, s2
.LBB34_507:
	s_delay_alu instid0(SALU_CYCLE_1)
	s_or_b32 exec_lo, exec_lo, s1
	v_mov_b32_e32 v52, 0
	ds_load_b32 v52, v52 offset:72
	s_wait_dscnt 0x0
	v_mul_f32_e32 v51, v51, v52
	ds_store_b32 v7, v51 offset:72
.LBB34_508:
	s_or_b32 exec_lo, exec_lo, s0
	ds_load_b32 v51, v7 offset:76
	s_mov_b32 s0, exec_lo
	s_wait_dscnt 0x0
	ds_store_b32 v96, v51
	s_wait_dscnt 0x0
	s_barrier_signal -1
	s_barrier_wait -1
	v_cmpx_gt_u32_e32 19, v94
	s_cbranch_execz .LBB34_518
; %bb.509:
	v_cmp_ne_u32_e32 vcc_lo, 1, v50
	s_cbranch_vccnz .LBB34_511
; %bb.510:
	ds_load_b32 v51, v97
	ds_load_b32 v52, v96
	s_wait_dscnt 0x0
	v_mul_f32_e32 v51, v51, v52
	s_cbranch_execz .LBB34_512
	s_branch .LBB34_513
.LBB34_511:
                                        ; implicit-def: $vgpr51
.LBB34_512:
	ds_load_b32 v51, v96
.LBB34_513:
	s_mov_b32 s1, exec_lo
	v_cmpx_ne_u32_e32 18, v94
	s_cbranch_execz .LBB34_517
; %bb.514:
	v_add_nc_u32_e32 v52, 0x94, v6
	v_add3_u32 v53, v95, v6, 0x124
	v_mov_b32_e32 v54, v94
	s_mov_b32 s2, 0
.LBB34_515:                             ; =>This Inner Loop Header: Depth=1
	ds_load_b32 v55, v53
	ds_load_b32 v56, v52
	v_dual_add_nc_u32 v54, 1, v54 :: v_dual_add_nc_u32 v52, 4, v52
	v_add_nc_u32_e32 v53, 4, v53
	s_delay_alu instid0(VALU_DEP_2)
	v_cmp_lt_u32_e32 vcc_lo, 17, v54
	s_or_b32 s2, vcc_lo, s2
	s_wait_dscnt 0x0
	v_fmac_f32_e32 v51, v55, v56
	s_and_not1_b32 exec_lo, exec_lo, s2
	s_cbranch_execnz .LBB34_515
; %bb.516:
	s_or_b32 exec_lo, exec_lo, s2
.LBB34_517:
	s_delay_alu instid0(SALU_CYCLE_1)
	s_or_b32 exec_lo, exec_lo, s1
	v_mov_b32_e32 v52, 0
	ds_load_b32 v52, v52 offset:76
	s_wait_dscnt 0x0
	v_mul_f32_e32 v51, v51, v52
	ds_store_b32 v7, v51 offset:76
.LBB34_518:
	s_or_b32 exec_lo, exec_lo, s0
	ds_load_b32 v51, v7 offset:80
	s_mov_b32 s0, exec_lo
	s_wait_dscnt 0x0
	ds_store_b32 v96, v51
	s_wait_dscnt 0x0
	s_barrier_signal -1
	s_barrier_wait -1
	v_cmpx_gt_u32_e32 20, v94
	s_cbranch_execz .LBB34_528
; %bb.519:
	v_cmp_ne_u32_e32 vcc_lo, 1, v50
	s_cbranch_vccnz .LBB34_521
; %bb.520:
	ds_load_b32 v51, v97
	ds_load_b32 v52, v96
	s_wait_dscnt 0x0
	v_mul_f32_e32 v51, v51, v52
	s_cbranch_execz .LBB34_522
	s_branch .LBB34_523
.LBB34_521:
                                        ; implicit-def: $vgpr51
.LBB34_522:
	ds_load_b32 v51, v96
.LBB34_523:
	s_mov_b32 s1, exec_lo
	v_cmpx_ne_u32_e32 19, v94
	s_cbranch_execz .LBB34_527
; %bb.524:
	v_add_nc_u32_e32 v52, 0x94, v6
	v_add3_u32 v53, v95, v6, 0x124
	v_mov_b32_e32 v54, v94
	s_mov_b32 s2, 0
.LBB34_525:                             ; =>This Inner Loop Header: Depth=1
	ds_load_b32 v55, v53
	ds_load_b32 v56, v52
	v_dual_add_nc_u32 v54, 1, v54 :: v_dual_add_nc_u32 v52, 4, v52
	v_add_nc_u32_e32 v53, 4, v53
	s_delay_alu instid0(VALU_DEP_2)
	v_cmp_lt_u32_e32 vcc_lo, 18, v54
	s_or_b32 s2, vcc_lo, s2
	s_wait_dscnt 0x0
	v_fmac_f32_e32 v51, v55, v56
	s_and_not1_b32 exec_lo, exec_lo, s2
	s_cbranch_execnz .LBB34_525
; %bb.526:
	s_or_b32 exec_lo, exec_lo, s2
.LBB34_527:
	s_delay_alu instid0(SALU_CYCLE_1)
	s_or_b32 exec_lo, exec_lo, s1
	v_mov_b32_e32 v52, 0
	ds_load_b32 v52, v52 offset:80
	s_wait_dscnt 0x0
	v_mul_f32_e32 v51, v51, v52
	ds_store_b32 v7, v51 offset:80
.LBB34_528:
	s_or_b32 exec_lo, exec_lo, s0
	ds_load_b32 v51, v7 offset:84
	s_mov_b32 s0, exec_lo
	s_wait_dscnt 0x0
	ds_store_b32 v96, v51
	s_wait_dscnt 0x0
	s_barrier_signal -1
	s_barrier_wait -1
	v_cmpx_gt_u32_e32 21, v94
	s_cbranch_execz .LBB34_538
; %bb.529:
	v_cmp_ne_u32_e32 vcc_lo, 1, v50
	s_cbranch_vccnz .LBB34_531
; %bb.530:
	ds_load_b32 v51, v97
	ds_load_b32 v52, v96
	s_wait_dscnt 0x0
	v_mul_f32_e32 v51, v51, v52
	s_cbranch_execz .LBB34_532
	s_branch .LBB34_533
.LBB34_531:
                                        ; implicit-def: $vgpr51
.LBB34_532:
	ds_load_b32 v51, v96
.LBB34_533:
	s_mov_b32 s1, exec_lo
	v_cmpx_ne_u32_e32 20, v94
	s_cbranch_execz .LBB34_537
; %bb.534:
	v_add_nc_u32_e32 v52, 0x94, v6
	v_add3_u32 v53, v95, v6, 0x124
	v_mov_b32_e32 v54, v94
	s_mov_b32 s2, 0
.LBB34_535:                             ; =>This Inner Loop Header: Depth=1
	ds_load_b32 v55, v53
	ds_load_b32 v56, v52
	v_dual_add_nc_u32 v54, 1, v54 :: v_dual_add_nc_u32 v52, 4, v52
	v_add_nc_u32_e32 v53, 4, v53
	s_delay_alu instid0(VALU_DEP_2)
	v_cmp_lt_u32_e32 vcc_lo, 19, v54
	s_or_b32 s2, vcc_lo, s2
	s_wait_dscnt 0x0
	v_fmac_f32_e32 v51, v55, v56
	s_and_not1_b32 exec_lo, exec_lo, s2
	s_cbranch_execnz .LBB34_535
; %bb.536:
	s_or_b32 exec_lo, exec_lo, s2
.LBB34_537:
	s_delay_alu instid0(SALU_CYCLE_1)
	s_or_b32 exec_lo, exec_lo, s1
	v_mov_b32_e32 v52, 0
	ds_load_b32 v52, v52 offset:84
	s_wait_dscnt 0x0
	v_mul_f32_e32 v51, v51, v52
	ds_store_b32 v7, v51 offset:84
.LBB34_538:
	s_or_b32 exec_lo, exec_lo, s0
	ds_load_b32 v51, v7 offset:88
	s_mov_b32 s0, exec_lo
	s_wait_dscnt 0x0
	ds_store_b32 v96, v51
	s_wait_dscnt 0x0
	s_barrier_signal -1
	s_barrier_wait -1
	v_cmpx_gt_u32_e32 22, v94
	s_cbranch_execz .LBB34_548
; %bb.539:
	v_cmp_ne_u32_e32 vcc_lo, 1, v50
	s_cbranch_vccnz .LBB34_541
; %bb.540:
	ds_load_b32 v51, v97
	ds_load_b32 v52, v96
	s_wait_dscnt 0x0
	v_mul_f32_e32 v51, v51, v52
	s_cbranch_execz .LBB34_542
	s_branch .LBB34_543
.LBB34_541:
                                        ; implicit-def: $vgpr51
.LBB34_542:
	ds_load_b32 v51, v96
.LBB34_543:
	s_mov_b32 s1, exec_lo
	v_cmpx_ne_u32_e32 21, v94
	s_cbranch_execz .LBB34_547
; %bb.544:
	v_add_nc_u32_e32 v52, 0x94, v6
	v_add3_u32 v53, v95, v6, 0x124
	v_mov_b32_e32 v54, v94
	s_mov_b32 s2, 0
.LBB34_545:                             ; =>This Inner Loop Header: Depth=1
	ds_load_b32 v55, v53
	ds_load_b32 v56, v52
	v_dual_add_nc_u32 v54, 1, v54 :: v_dual_add_nc_u32 v52, 4, v52
	v_add_nc_u32_e32 v53, 4, v53
	s_delay_alu instid0(VALU_DEP_2)
	v_cmp_lt_u32_e32 vcc_lo, 20, v54
	s_or_b32 s2, vcc_lo, s2
	s_wait_dscnt 0x0
	v_fmac_f32_e32 v51, v55, v56
	s_and_not1_b32 exec_lo, exec_lo, s2
	s_cbranch_execnz .LBB34_545
; %bb.546:
	s_or_b32 exec_lo, exec_lo, s2
.LBB34_547:
	s_delay_alu instid0(SALU_CYCLE_1)
	s_or_b32 exec_lo, exec_lo, s1
	v_mov_b32_e32 v52, 0
	ds_load_b32 v52, v52 offset:88
	s_wait_dscnt 0x0
	v_mul_f32_e32 v51, v51, v52
	ds_store_b32 v7, v51 offset:88
.LBB34_548:
	s_or_b32 exec_lo, exec_lo, s0
	ds_load_b32 v51, v7 offset:92
	s_mov_b32 s0, exec_lo
	s_wait_dscnt 0x0
	ds_store_b32 v96, v51
	s_wait_dscnt 0x0
	s_barrier_signal -1
	s_barrier_wait -1
	v_cmpx_gt_u32_e32 23, v94
	s_cbranch_execz .LBB34_558
; %bb.549:
	v_cmp_ne_u32_e32 vcc_lo, 1, v50
	s_cbranch_vccnz .LBB34_551
; %bb.550:
	ds_load_b32 v51, v97
	ds_load_b32 v52, v96
	s_wait_dscnt 0x0
	v_mul_f32_e32 v51, v51, v52
	s_cbranch_execz .LBB34_552
	s_branch .LBB34_553
.LBB34_551:
                                        ; implicit-def: $vgpr51
.LBB34_552:
	ds_load_b32 v51, v96
.LBB34_553:
	s_mov_b32 s1, exec_lo
	v_cmpx_ne_u32_e32 22, v94
	s_cbranch_execz .LBB34_557
; %bb.554:
	v_add_nc_u32_e32 v52, 0x94, v6
	v_add3_u32 v53, v95, v6, 0x124
	v_mov_b32_e32 v54, v94
	s_mov_b32 s2, 0
.LBB34_555:                             ; =>This Inner Loop Header: Depth=1
	ds_load_b32 v55, v53
	ds_load_b32 v56, v52
	v_dual_add_nc_u32 v54, 1, v54 :: v_dual_add_nc_u32 v52, 4, v52
	v_add_nc_u32_e32 v53, 4, v53
	s_delay_alu instid0(VALU_DEP_2)
	v_cmp_lt_u32_e32 vcc_lo, 21, v54
	s_or_b32 s2, vcc_lo, s2
	s_wait_dscnt 0x0
	v_fmac_f32_e32 v51, v55, v56
	s_and_not1_b32 exec_lo, exec_lo, s2
	s_cbranch_execnz .LBB34_555
; %bb.556:
	s_or_b32 exec_lo, exec_lo, s2
.LBB34_557:
	s_delay_alu instid0(SALU_CYCLE_1)
	s_or_b32 exec_lo, exec_lo, s1
	v_mov_b32_e32 v52, 0
	ds_load_b32 v52, v52 offset:92
	s_wait_dscnt 0x0
	v_mul_f32_e32 v51, v51, v52
	ds_store_b32 v7, v51 offset:92
.LBB34_558:
	s_or_b32 exec_lo, exec_lo, s0
	ds_load_b32 v51, v7 offset:96
	s_mov_b32 s0, exec_lo
	s_wait_dscnt 0x0
	ds_store_b32 v96, v51
	s_wait_dscnt 0x0
	s_barrier_signal -1
	s_barrier_wait -1
	v_cmpx_gt_u32_e32 24, v94
	s_cbranch_execz .LBB34_568
; %bb.559:
	v_cmp_ne_u32_e32 vcc_lo, 1, v50
	s_cbranch_vccnz .LBB34_561
; %bb.560:
	ds_load_b32 v51, v97
	ds_load_b32 v52, v96
	s_wait_dscnt 0x0
	v_mul_f32_e32 v51, v51, v52
	s_cbranch_execz .LBB34_562
	s_branch .LBB34_563
.LBB34_561:
                                        ; implicit-def: $vgpr51
.LBB34_562:
	ds_load_b32 v51, v96
.LBB34_563:
	s_mov_b32 s1, exec_lo
	v_cmpx_ne_u32_e32 23, v94
	s_cbranch_execz .LBB34_567
; %bb.564:
	v_add_nc_u32_e32 v52, 0x94, v6
	v_add3_u32 v53, v95, v6, 0x124
	v_mov_b32_e32 v54, v94
	s_mov_b32 s2, 0
.LBB34_565:                             ; =>This Inner Loop Header: Depth=1
	ds_load_b32 v55, v53
	ds_load_b32 v56, v52
	v_dual_add_nc_u32 v54, 1, v54 :: v_dual_add_nc_u32 v52, 4, v52
	v_add_nc_u32_e32 v53, 4, v53
	s_delay_alu instid0(VALU_DEP_2)
	v_cmp_lt_u32_e32 vcc_lo, 22, v54
	s_or_b32 s2, vcc_lo, s2
	s_wait_dscnt 0x0
	v_fmac_f32_e32 v51, v55, v56
	s_and_not1_b32 exec_lo, exec_lo, s2
	s_cbranch_execnz .LBB34_565
; %bb.566:
	s_or_b32 exec_lo, exec_lo, s2
.LBB34_567:
	s_delay_alu instid0(SALU_CYCLE_1)
	s_or_b32 exec_lo, exec_lo, s1
	v_mov_b32_e32 v52, 0
	ds_load_b32 v52, v52 offset:96
	s_wait_dscnt 0x0
	v_mul_f32_e32 v51, v51, v52
	ds_store_b32 v7, v51 offset:96
.LBB34_568:
	s_or_b32 exec_lo, exec_lo, s0
	ds_load_b32 v51, v7 offset:100
	s_mov_b32 s0, exec_lo
	s_wait_dscnt 0x0
	ds_store_b32 v96, v51
	s_wait_dscnt 0x0
	s_barrier_signal -1
	s_barrier_wait -1
	v_cmpx_gt_u32_e32 25, v94
	s_cbranch_execz .LBB34_578
; %bb.569:
	v_cmp_ne_u32_e32 vcc_lo, 1, v50
	s_cbranch_vccnz .LBB34_571
; %bb.570:
	ds_load_b32 v51, v97
	ds_load_b32 v52, v96
	s_wait_dscnt 0x0
	v_mul_f32_e32 v51, v51, v52
	s_cbranch_execz .LBB34_572
	s_branch .LBB34_573
.LBB34_571:
                                        ; implicit-def: $vgpr51
.LBB34_572:
	ds_load_b32 v51, v96
.LBB34_573:
	s_mov_b32 s1, exec_lo
	v_cmpx_ne_u32_e32 24, v94
	s_cbranch_execz .LBB34_577
; %bb.574:
	v_add_nc_u32_e32 v52, 0x94, v6
	v_add3_u32 v53, v95, v6, 0x124
	v_mov_b32_e32 v54, v94
	s_mov_b32 s2, 0
.LBB34_575:                             ; =>This Inner Loop Header: Depth=1
	ds_load_b32 v55, v53
	ds_load_b32 v56, v52
	v_dual_add_nc_u32 v54, 1, v54 :: v_dual_add_nc_u32 v52, 4, v52
	v_add_nc_u32_e32 v53, 4, v53
	s_delay_alu instid0(VALU_DEP_2)
	v_cmp_lt_u32_e32 vcc_lo, 23, v54
	s_or_b32 s2, vcc_lo, s2
	s_wait_dscnt 0x0
	v_fmac_f32_e32 v51, v55, v56
	s_and_not1_b32 exec_lo, exec_lo, s2
	s_cbranch_execnz .LBB34_575
; %bb.576:
	s_or_b32 exec_lo, exec_lo, s2
.LBB34_577:
	s_delay_alu instid0(SALU_CYCLE_1)
	s_or_b32 exec_lo, exec_lo, s1
	v_mov_b32_e32 v52, 0
	ds_load_b32 v52, v52 offset:100
	s_wait_dscnt 0x0
	v_mul_f32_e32 v51, v51, v52
	ds_store_b32 v7, v51 offset:100
.LBB34_578:
	s_or_b32 exec_lo, exec_lo, s0
	ds_load_b32 v51, v7 offset:104
	s_mov_b32 s0, exec_lo
	s_wait_dscnt 0x0
	ds_store_b32 v96, v51
	s_wait_dscnt 0x0
	s_barrier_signal -1
	s_barrier_wait -1
	v_cmpx_gt_u32_e32 26, v94
	s_cbranch_execz .LBB34_588
; %bb.579:
	v_cmp_ne_u32_e32 vcc_lo, 1, v50
	s_cbranch_vccnz .LBB34_581
; %bb.580:
	ds_load_b32 v51, v97
	ds_load_b32 v52, v96
	s_wait_dscnt 0x0
	v_mul_f32_e32 v51, v51, v52
	s_cbranch_execz .LBB34_582
	s_branch .LBB34_583
.LBB34_581:
                                        ; implicit-def: $vgpr51
.LBB34_582:
	ds_load_b32 v51, v96
.LBB34_583:
	s_mov_b32 s1, exec_lo
	v_cmpx_ne_u32_e32 25, v94
	s_cbranch_execz .LBB34_587
; %bb.584:
	v_add_nc_u32_e32 v52, 0x94, v6
	v_add3_u32 v53, v95, v6, 0x124
	v_mov_b32_e32 v54, v94
	s_mov_b32 s2, 0
.LBB34_585:                             ; =>This Inner Loop Header: Depth=1
	ds_load_b32 v55, v53
	ds_load_b32 v56, v52
	v_dual_add_nc_u32 v54, 1, v54 :: v_dual_add_nc_u32 v52, 4, v52
	v_add_nc_u32_e32 v53, 4, v53
	s_delay_alu instid0(VALU_DEP_2)
	v_cmp_lt_u32_e32 vcc_lo, 24, v54
	s_or_b32 s2, vcc_lo, s2
	s_wait_dscnt 0x0
	v_fmac_f32_e32 v51, v55, v56
	s_and_not1_b32 exec_lo, exec_lo, s2
	s_cbranch_execnz .LBB34_585
; %bb.586:
	s_or_b32 exec_lo, exec_lo, s2
.LBB34_587:
	s_delay_alu instid0(SALU_CYCLE_1)
	s_or_b32 exec_lo, exec_lo, s1
	v_mov_b32_e32 v52, 0
	ds_load_b32 v52, v52 offset:104
	s_wait_dscnt 0x0
	v_mul_f32_e32 v51, v51, v52
	ds_store_b32 v7, v51 offset:104
.LBB34_588:
	s_or_b32 exec_lo, exec_lo, s0
	ds_load_b32 v51, v7 offset:108
	s_mov_b32 s0, exec_lo
	s_wait_dscnt 0x0
	ds_store_b32 v96, v51
	s_wait_dscnt 0x0
	s_barrier_signal -1
	s_barrier_wait -1
	v_cmpx_gt_u32_e32 27, v94
	s_cbranch_execz .LBB34_598
; %bb.589:
	v_cmp_ne_u32_e32 vcc_lo, 1, v50
	s_cbranch_vccnz .LBB34_591
; %bb.590:
	ds_load_b32 v51, v97
	ds_load_b32 v52, v96
	s_wait_dscnt 0x0
	v_mul_f32_e32 v51, v51, v52
	s_cbranch_execz .LBB34_592
	s_branch .LBB34_593
.LBB34_591:
                                        ; implicit-def: $vgpr51
.LBB34_592:
	ds_load_b32 v51, v96
.LBB34_593:
	s_mov_b32 s1, exec_lo
	v_cmpx_ne_u32_e32 26, v94
	s_cbranch_execz .LBB34_597
; %bb.594:
	v_add_nc_u32_e32 v52, 0x94, v6
	v_add3_u32 v53, v95, v6, 0x124
	v_mov_b32_e32 v54, v94
	s_mov_b32 s2, 0
.LBB34_595:                             ; =>This Inner Loop Header: Depth=1
	ds_load_b32 v55, v53
	ds_load_b32 v56, v52
	v_dual_add_nc_u32 v54, 1, v54 :: v_dual_add_nc_u32 v52, 4, v52
	v_add_nc_u32_e32 v53, 4, v53
	s_delay_alu instid0(VALU_DEP_2)
	v_cmp_lt_u32_e32 vcc_lo, 25, v54
	s_or_b32 s2, vcc_lo, s2
	s_wait_dscnt 0x0
	v_fmac_f32_e32 v51, v55, v56
	s_and_not1_b32 exec_lo, exec_lo, s2
	s_cbranch_execnz .LBB34_595
; %bb.596:
	s_or_b32 exec_lo, exec_lo, s2
.LBB34_597:
	s_delay_alu instid0(SALU_CYCLE_1)
	s_or_b32 exec_lo, exec_lo, s1
	v_mov_b32_e32 v52, 0
	ds_load_b32 v52, v52 offset:108
	s_wait_dscnt 0x0
	v_mul_f32_e32 v51, v51, v52
	ds_store_b32 v7, v51 offset:108
.LBB34_598:
	s_or_b32 exec_lo, exec_lo, s0
	ds_load_b32 v51, v7 offset:112
	s_mov_b32 s0, exec_lo
	s_wait_dscnt 0x0
	ds_store_b32 v96, v51
	s_wait_dscnt 0x0
	s_barrier_signal -1
	s_barrier_wait -1
	v_cmpx_gt_u32_e32 28, v94
	s_cbranch_execz .LBB34_608
; %bb.599:
	v_cmp_ne_u32_e32 vcc_lo, 1, v50
	s_cbranch_vccnz .LBB34_601
; %bb.600:
	ds_load_b32 v51, v97
	ds_load_b32 v52, v96
	s_wait_dscnt 0x0
	v_mul_f32_e32 v51, v51, v52
	s_cbranch_execz .LBB34_602
	s_branch .LBB34_603
.LBB34_601:
                                        ; implicit-def: $vgpr51
.LBB34_602:
	ds_load_b32 v51, v96
.LBB34_603:
	s_mov_b32 s1, exec_lo
	v_cmpx_ne_u32_e32 27, v94
	s_cbranch_execz .LBB34_607
; %bb.604:
	v_add_nc_u32_e32 v52, 0x94, v6
	v_add3_u32 v53, v95, v6, 0x124
	v_mov_b32_e32 v54, v94
	s_mov_b32 s2, 0
.LBB34_605:                             ; =>This Inner Loop Header: Depth=1
	ds_load_b32 v55, v53
	ds_load_b32 v56, v52
	v_dual_add_nc_u32 v54, 1, v54 :: v_dual_add_nc_u32 v52, 4, v52
	v_add_nc_u32_e32 v53, 4, v53
	s_delay_alu instid0(VALU_DEP_2)
	v_cmp_lt_u32_e32 vcc_lo, 26, v54
	s_or_b32 s2, vcc_lo, s2
	s_wait_dscnt 0x0
	v_fmac_f32_e32 v51, v55, v56
	s_and_not1_b32 exec_lo, exec_lo, s2
	s_cbranch_execnz .LBB34_605
; %bb.606:
	s_or_b32 exec_lo, exec_lo, s2
.LBB34_607:
	s_delay_alu instid0(SALU_CYCLE_1)
	s_or_b32 exec_lo, exec_lo, s1
	v_mov_b32_e32 v52, 0
	ds_load_b32 v52, v52 offset:112
	s_wait_dscnt 0x0
	v_mul_f32_e32 v51, v51, v52
	ds_store_b32 v7, v51 offset:112
.LBB34_608:
	s_or_b32 exec_lo, exec_lo, s0
	ds_load_b32 v51, v7 offset:116
	s_mov_b32 s0, exec_lo
	s_wait_dscnt 0x0
	ds_store_b32 v96, v51
	s_wait_dscnt 0x0
	s_barrier_signal -1
	s_barrier_wait -1
	v_cmpx_gt_u32_e32 29, v94
	s_cbranch_execz .LBB34_618
; %bb.609:
	v_cmp_ne_u32_e32 vcc_lo, 1, v50
	s_cbranch_vccnz .LBB34_611
; %bb.610:
	ds_load_b32 v51, v97
	ds_load_b32 v52, v96
	s_wait_dscnt 0x0
	v_mul_f32_e32 v51, v51, v52
	s_cbranch_execz .LBB34_612
	s_branch .LBB34_613
.LBB34_611:
                                        ; implicit-def: $vgpr51
.LBB34_612:
	ds_load_b32 v51, v96
.LBB34_613:
	s_mov_b32 s1, exec_lo
	v_cmpx_ne_u32_e32 28, v94
	s_cbranch_execz .LBB34_617
; %bb.614:
	v_add_nc_u32_e32 v52, 0x94, v6
	v_add3_u32 v53, v95, v6, 0x124
	v_mov_b32_e32 v54, v94
	s_mov_b32 s2, 0
.LBB34_615:                             ; =>This Inner Loop Header: Depth=1
	ds_load_b32 v55, v53
	ds_load_b32 v56, v52
	v_dual_add_nc_u32 v54, 1, v54 :: v_dual_add_nc_u32 v52, 4, v52
	v_add_nc_u32_e32 v53, 4, v53
	s_delay_alu instid0(VALU_DEP_2)
	v_cmp_lt_u32_e32 vcc_lo, 27, v54
	s_or_b32 s2, vcc_lo, s2
	s_wait_dscnt 0x0
	v_fmac_f32_e32 v51, v55, v56
	s_and_not1_b32 exec_lo, exec_lo, s2
	s_cbranch_execnz .LBB34_615
; %bb.616:
	s_or_b32 exec_lo, exec_lo, s2
.LBB34_617:
	s_delay_alu instid0(SALU_CYCLE_1)
	s_or_b32 exec_lo, exec_lo, s1
	v_mov_b32_e32 v52, 0
	ds_load_b32 v52, v52 offset:116
	s_wait_dscnt 0x0
	v_mul_f32_e32 v51, v51, v52
	ds_store_b32 v7, v51 offset:116
.LBB34_618:
	s_or_b32 exec_lo, exec_lo, s0
	ds_load_b32 v51, v7 offset:120
	s_mov_b32 s0, exec_lo
	s_wait_dscnt 0x0
	ds_store_b32 v96, v51
	s_wait_dscnt 0x0
	s_barrier_signal -1
	s_barrier_wait -1
	v_cmpx_gt_u32_e32 30, v94
	s_cbranch_execz .LBB34_628
; %bb.619:
	v_cmp_ne_u32_e32 vcc_lo, 1, v50
	s_cbranch_vccnz .LBB34_621
; %bb.620:
	ds_load_b32 v51, v97
	ds_load_b32 v52, v96
	s_wait_dscnt 0x0
	v_mul_f32_e32 v51, v51, v52
	s_cbranch_execz .LBB34_622
	s_branch .LBB34_623
.LBB34_621:
                                        ; implicit-def: $vgpr51
.LBB34_622:
	ds_load_b32 v51, v96
.LBB34_623:
	s_mov_b32 s1, exec_lo
	v_cmpx_ne_u32_e32 29, v94
	s_cbranch_execz .LBB34_627
; %bb.624:
	v_add_nc_u32_e32 v52, 0x94, v6
	v_add3_u32 v53, v95, v6, 0x124
	v_mov_b32_e32 v54, v94
	s_mov_b32 s2, 0
.LBB34_625:                             ; =>This Inner Loop Header: Depth=1
	ds_load_b32 v55, v53
	ds_load_b32 v56, v52
	v_dual_add_nc_u32 v54, 1, v54 :: v_dual_add_nc_u32 v52, 4, v52
	v_add_nc_u32_e32 v53, 4, v53
	s_delay_alu instid0(VALU_DEP_2)
	v_cmp_lt_u32_e32 vcc_lo, 28, v54
	s_or_b32 s2, vcc_lo, s2
	s_wait_dscnt 0x0
	v_fmac_f32_e32 v51, v55, v56
	s_and_not1_b32 exec_lo, exec_lo, s2
	s_cbranch_execnz .LBB34_625
; %bb.626:
	s_or_b32 exec_lo, exec_lo, s2
.LBB34_627:
	s_delay_alu instid0(SALU_CYCLE_1)
	s_or_b32 exec_lo, exec_lo, s1
	v_mov_b32_e32 v52, 0
	ds_load_b32 v52, v52 offset:120
	s_wait_dscnt 0x0
	v_mul_f32_e32 v51, v51, v52
	ds_store_b32 v7, v51 offset:120
.LBB34_628:
	s_or_b32 exec_lo, exec_lo, s0
	ds_load_b32 v51, v7 offset:124
	s_mov_b32 s0, exec_lo
	s_wait_dscnt 0x0
	ds_store_b32 v96, v51
	s_wait_dscnt 0x0
	s_barrier_signal -1
	s_barrier_wait -1
	v_cmpx_gt_u32_e32 31, v94
	s_cbranch_execz .LBB34_638
; %bb.629:
	v_cmp_ne_u32_e32 vcc_lo, 1, v50
	s_cbranch_vccnz .LBB34_631
; %bb.630:
	ds_load_b32 v51, v97
	ds_load_b32 v52, v96
	s_wait_dscnt 0x0
	v_mul_f32_e32 v51, v51, v52
	s_cbranch_execz .LBB34_632
	s_branch .LBB34_633
.LBB34_631:
                                        ; implicit-def: $vgpr51
.LBB34_632:
	ds_load_b32 v51, v96
.LBB34_633:
	s_mov_b32 s1, exec_lo
	v_cmpx_ne_u32_e32 30, v94
	s_cbranch_execz .LBB34_637
; %bb.634:
	v_add_nc_u32_e32 v52, 0x94, v6
	v_add3_u32 v53, v95, v6, 0x124
	v_mov_b32_e32 v54, v94
	s_mov_b32 s2, 0
.LBB34_635:                             ; =>This Inner Loop Header: Depth=1
	ds_load_b32 v55, v53
	ds_load_b32 v56, v52
	v_dual_add_nc_u32 v54, 1, v54 :: v_dual_add_nc_u32 v52, 4, v52
	v_add_nc_u32_e32 v53, 4, v53
	s_delay_alu instid0(VALU_DEP_2)
	v_cmp_lt_u32_e32 vcc_lo, 29, v54
	s_or_b32 s2, vcc_lo, s2
	s_wait_dscnt 0x0
	v_fmac_f32_e32 v51, v55, v56
	s_and_not1_b32 exec_lo, exec_lo, s2
	s_cbranch_execnz .LBB34_635
; %bb.636:
	s_or_b32 exec_lo, exec_lo, s2
.LBB34_637:
	s_delay_alu instid0(SALU_CYCLE_1)
	s_or_b32 exec_lo, exec_lo, s1
	v_mov_b32_e32 v52, 0
	ds_load_b32 v52, v52 offset:124
	s_wait_dscnt 0x0
	v_mul_f32_e32 v51, v51, v52
	ds_store_b32 v7, v51 offset:124
.LBB34_638:
	s_or_b32 exec_lo, exec_lo, s0
	ds_load_b32 v51, v7 offset:128
	s_mov_b32 s0, exec_lo
	s_wait_dscnt 0x0
	ds_store_b32 v96, v51
	s_wait_dscnt 0x0
	s_barrier_signal -1
	s_barrier_wait -1
	v_cmpx_gt_u32_e32 32, v94
	s_cbranch_execz .LBB34_648
; %bb.639:
	v_cmp_ne_u32_e32 vcc_lo, 1, v50
	s_cbranch_vccnz .LBB34_641
; %bb.640:
	ds_load_b32 v51, v97
	ds_load_b32 v52, v96
	s_wait_dscnt 0x0
	v_mul_f32_e32 v51, v51, v52
	s_cbranch_execz .LBB34_642
	s_branch .LBB34_643
.LBB34_641:
                                        ; implicit-def: $vgpr51
.LBB34_642:
	ds_load_b32 v51, v96
.LBB34_643:
	s_mov_b32 s1, exec_lo
	v_cmpx_ne_u32_e32 31, v94
	s_cbranch_execz .LBB34_647
; %bb.644:
	v_add_nc_u32_e32 v52, 0x94, v6
	v_add3_u32 v53, v95, v6, 0x124
	v_mov_b32_e32 v54, v94
	s_mov_b32 s2, 0
.LBB34_645:                             ; =>This Inner Loop Header: Depth=1
	ds_load_b32 v55, v53
	ds_load_b32 v56, v52
	v_dual_add_nc_u32 v54, 1, v54 :: v_dual_add_nc_u32 v52, 4, v52
	v_add_nc_u32_e32 v53, 4, v53
	s_delay_alu instid0(VALU_DEP_2)
	v_cmp_lt_u32_e32 vcc_lo, 30, v54
	s_or_b32 s2, vcc_lo, s2
	s_wait_dscnt 0x0
	v_fmac_f32_e32 v51, v55, v56
	s_and_not1_b32 exec_lo, exec_lo, s2
	s_cbranch_execnz .LBB34_645
; %bb.646:
	s_or_b32 exec_lo, exec_lo, s2
.LBB34_647:
	s_delay_alu instid0(SALU_CYCLE_1)
	s_or_b32 exec_lo, exec_lo, s1
	v_mov_b32_e32 v52, 0
	ds_load_b32 v52, v52 offset:128
	s_wait_dscnt 0x0
	v_mul_f32_e32 v51, v51, v52
	ds_store_b32 v7, v51 offset:128
.LBB34_648:
	s_or_b32 exec_lo, exec_lo, s0
	ds_load_b32 v51, v7 offset:132
	v_cmp_gt_u32_e64 s0, 33, v94
	s_wait_dscnt 0x0
	ds_store_b32 v96, v51
	s_wait_dscnt 0x0
	s_barrier_signal -1
	s_barrier_wait -1
	s_and_saveexec_b32 s1, s0
	s_cbranch_execz .LBB34_658
; %bb.649:
	v_cmp_ne_u32_e32 vcc_lo, 1, v50
	s_cbranch_vccnz .LBB34_651
; %bb.650:
	ds_load_b32 v51, v97
	ds_load_b32 v52, v96
	s_wait_dscnt 0x0
	v_mul_f32_e32 v51, v51, v52
	s_cbranch_execz .LBB34_652
	s_branch .LBB34_653
.LBB34_651:
                                        ; implicit-def: $vgpr51
.LBB34_652:
	ds_load_b32 v51, v96
.LBB34_653:
	s_mov_b32 s2, exec_lo
	v_cmpx_ne_u32_e32 32, v94
	s_cbranch_execz .LBB34_657
; %bb.654:
	v_add_nc_u32_e32 v52, 0x94, v6
	v_add3_u32 v53, v95, v6, 0x124
	v_mov_b32_e32 v54, v94
	s_mov_b32 s3, 0
.LBB34_655:                             ; =>This Inner Loop Header: Depth=1
	ds_load_b32 v55, v53
	ds_load_b32 v56, v52
	v_dual_add_nc_u32 v54, 1, v54 :: v_dual_add_nc_u32 v52, 4, v52
	v_add_nc_u32_e32 v53, 4, v53
	s_delay_alu instid0(VALU_DEP_2)
	v_cmp_lt_u32_e32 vcc_lo, 31, v54
	s_or_b32 s3, vcc_lo, s3
	s_wait_dscnt 0x0
	v_fmac_f32_e32 v51, v55, v56
	s_and_not1_b32 exec_lo, exec_lo, s3
	s_cbranch_execnz .LBB34_655
; %bb.656:
	s_or_b32 exec_lo, exec_lo, s3
.LBB34_657:
	s_delay_alu instid0(SALU_CYCLE_1)
	s_or_b32 exec_lo, exec_lo, s2
	v_mov_b32_e32 v52, 0
	ds_load_b32 v52, v52 offset:132
	s_wait_dscnt 0x0
	v_mul_f32_e32 v51, v51, v52
	ds_store_b32 v7, v51 offset:132
.LBB34_658:
	s_or_b32 exec_lo, exec_lo, s1
	ds_load_b32 v51, v7 offset:136
	s_mov_b32 s1, exec_lo
	s_wait_dscnt 0x0
	ds_store_b32 v96, v51
	s_wait_dscnt 0x0
	s_barrier_signal -1
	s_barrier_wait -1
	v_cmpx_ne_u32_e32 34, v94
	s_cbranch_execz .LBB34_668
; %bb.659:
	v_cmp_ne_u32_e32 vcc_lo, 1, v50
	s_cbranch_vccnz .LBB34_661
; %bb.660:
	ds_load_b32 v50, v97
	ds_load_b32 v51, v96
	s_wait_dscnt 0x0
	v_mul_f32_e32 v50, v50, v51
	s_cbranch_execz .LBB34_662
	s_branch .LBB34_663
.LBB34_661:
                                        ; implicit-def: $vgpr50
.LBB34_662:
	ds_load_b32 v50, v96
.LBB34_663:
	s_and_saveexec_b32 s2, s0
	s_cbranch_execz .LBB34_667
; %bb.664:
	v_add_nc_u32_e32 v51, 0x94, v6
	v_add3_u32 v6, v95, v6, 0x124
	s_mov_b32 s0, 0
.LBB34_665:                             ; =>This Inner Loop Header: Depth=1
	ds_load_b32 v52, v6
	ds_load_b32 v53, v51
	v_dual_add_nc_u32 v94, 1, v94 :: v_dual_add_nc_u32 v51, 4, v51
	v_add_nc_u32_e32 v6, 4, v6
	s_delay_alu instid0(VALU_DEP_2)
	v_cmp_lt_u32_e32 vcc_lo, 32, v94
	s_or_b32 s0, vcc_lo, s0
	s_wait_dscnt 0x0
	v_fmac_f32_e32 v50, v52, v53
	s_and_not1_b32 exec_lo, exec_lo, s0
	s_cbranch_execnz .LBB34_665
; %bb.666:
	s_or_b32 exec_lo, exec_lo, s0
.LBB34_667:
	s_delay_alu instid0(SALU_CYCLE_1)
	s_or_b32 exec_lo, exec_lo, s2
	v_mov_b32_e32 v6, 0
	ds_load_b32 v6, v6 offset:136
	s_wait_dscnt 0x0
	v_mul_f32_e32 v6, v50, v6
	ds_store_b32 v7, v6 offset:136
.LBB34_668:
	s_or_b32 exec_lo, exec_lo, s1
.LBB34_669:
	ds_load_b128 v[50:53], v7
	ds_load_b128 v[54:57], v7 offset:16
	ds_load_b128 v[58:61], v7 offset:32
	;; [unrolled: 1-line block ×7, first 2 shown]
	s_wait_dscnt 0x7
	s_clause 0x3
	global_store_b32 v[2:3], v50, off
	global_store_b32 v[4:5], v51, off
	global_store_b32 v[72:73], v52, off
	global_store_b32 v[74:75], v53, off
	s_wait_dscnt 0x6
	s_clause 0x3
	global_store_b32 v[76:77], v54, off
	global_store_b32 v[78:79], v55, off
	global_store_b32 v[80:81], v56, off
	global_store_b32 v[82:83], v57, off
	;; [unrolled: 6-line block ×3, first 2 shown]
	s_wait_dscnt 0x4
	global_store_b32 v[92:93], v62, off
	s_wait_xcnt 0xb
	ds_load_b96 v[2:4], v7 offset:128
	s_clause 0x2
	global_store_b32 v[8:9], v63, off
	global_store_b32 v[10:11], v64, off
	global_store_b32 v[12:13], v65, off
	s_wait_dscnt 0x4
	s_clause 0x3
	global_store_b32 v[14:15], v66, off
	global_store_b32 v[16:17], v67, off
	global_store_b32 v[18:19], v68, off
	global_store_b32 v[20:21], v69, off
	s_wait_dscnt 0x3
	s_clause 0x3
	global_store_b32 v[22:23], v94, off
	;; [unrolled: 6-line block ×5, first 2 shown]
	global_store_b32 v[46:47], v3, off
	global_store_b32 v[48:49], v4, off
.LBB34_670:
	s_sendmsg sendmsg(MSG_DEALLOC_VGPRS)
	s_endpgm
	.section	.rodata,"a",@progbits
	.p2align	6, 0x0
	.amdhsa_kernel _ZN9rocsolver6v33100L18trti2_kernel_smallILi35EfPfEEv13rocblas_fill_17rocblas_diagonal_T1_iil
		.amdhsa_group_segment_fixed_size 9248
		.amdhsa_private_segment_fixed_size 0
		.amdhsa_kernarg_size 32
		.amdhsa_user_sgpr_count 4
		.amdhsa_user_sgpr_dispatch_ptr 1
		.amdhsa_user_sgpr_queue_ptr 0
		.amdhsa_user_sgpr_kernarg_segment_ptr 1
		.amdhsa_user_sgpr_dispatch_id 0
		.amdhsa_user_sgpr_kernarg_preload_length 0
		.amdhsa_user_sgpr_kernarg_preload_offset 0
		.amdhsa_user_sgpr_private_segment_size 0
		.amdhsa_wavefront_size32 1
		.amdhsa_uses_dynamic_stack 0
		.amdhsa_enable_private_segment 0
		.amdhsa_system_sgpr_workgroup_id_x 1
		.amdhsa_system_sgpr_workgroup_id_y 0
		.amdhsa_system_sgpr_workgroup_id_z 0
		.amdhsa_system_sgpr_workgroup_info 0
		.amdhsa_system_vgpr_workitem_id 2
		.amdhsa_next_free_vgpr 108
		.amdhsa_next_free_sgpr 14
		.amdhsa_named_barrier_count 0
		.amdhsa_reserve_vcc 1
		.amdhsa_float_round_mode_32 0
		.amdhsa_float_round_mode_16_64 0
		.amdhsa_float_denorm_mode_32 3
		.amdhsa_float_denorm_mode_16_64 3
		.amdhsa_fp16_overflow 0
		.amdhsa_memory_ordered 1
		.amdhsa_forward_progress 1
		.amdhsa_inst_pref_size 140
		.amdhsa_round_robin_scheduling 0
		.amdhsa_exception_fp_ieee_invalid_op 0
		.amdhsa_exception_fp_denorm_src 0
		.amdhsa_exception_fp_ieee_div_zero 0
		.amdhsa_exception_fp_ieee_overflow 0
		.amdhsa_exception_fp_ieee_underflow 0
		.amdhsa_exception_fp_ieee_inexact 0
		.amdhsa_exception_int_div_zero 0
	.end_amdhsa_kernel
	.section	.text._ZN9rocsolver6v33100L18trti2_kernel_smallILi35EfPfEEv13rocblas_fill_17rocblas_diagonal_T1_iil,"axG",@progbits,_ZN9rocsolver6v33100L18trti2_kernel_smallILi35EfPfEEv13rocblas_fill_17rocblas_diagonal_T1_iil,comdat
.Lfunc_end34:
	.size	_ZN9rocsolver6v33100L18trti2_kernel_smallILi35EfPfEEv13rocblas_fill_17rocblas_diagonal_T1_iil, .Lfunc_end34-_ZN9rocsolver6v33100L18trti2_kernel_smallILi35EfPfEEv13rocblas_fill_17rocblas_diagonal_T1_iil
                                        ; -- End function
	.set _ZN9rocsolver6v33100L18trti2_kernel_smallILi35EfPfEEv13rocblas_fill_17rocblas_diagonal_T1_iil.num_vgpr, 108
	.set _ZN9rocsolver6v33100L18trti2_kernel_smallILi35EfPfEEv13rocblas_fill_17rocblas_diagonal_T1_iil.num_agpr, 0
	.set _ZN9rocsolver6v33100L18trti2_kernel_smallILi35EfPfEEv13rocblas_fill_17rocblas_diagonal_T1_iil.numbered_sgpr, 14
	.set _ZN9rocsolver6v33100L18trti2_kernel_smallILi35EfPfEEv13rocblas_fill_17rocblas_diagonal_T1_iil.num_named_barrier, 0
	.set _ZN9rocsolver6v33100L18trti2_kernel_smallILi35EfPfEEv13rocblas_fill_17rocblas_diagonal_T1_iil.private_seg_size, 0
	.set _ZN9rocsolver6v33100L18trti2_kernel_smallILi35EfPfEEv13rocblas_fill_17rocblas_diagonal_T1_iil.uses_vcc, 1
	.set _ZN9rocsolver6v33100L18trti2_kernel_smallILi35EfPfEEv13rocblas_fill_17rocblas_diagonal_T1_iil.uses_flat_scratch, 0
	.set _ZN9rocsolver6v33100L18trti2_kernel_smallILi35EfPfEEv13rocblas_fill_17rocblas_diagonal_T1_iil.has_dyn_sized_stack, 0
	.set _ZN9rocsolver6v33100L18trti2_kernel_smallILi35EfPfEEv13rocblas_fill_17rocblas_diagonal_T1_iil.has_recursion, 0
	.set _ZN9rocsolver6v33100L18trti2_kernel_smallILi35EfPfEEv13rocblas_fill_17rocblas_diagonal_T1_iil.has_indirect_call, 0
	.section	.AMDGPU.csdata,"",@progbits
; Kernel info:
; codeLenInByte = 17852
; TotalNumSgprs: 16
; NumVgprs: 108
; ScratchSize: 0
; MemoryBound: 0
; FloatMode: 240
; IeeeMode: 1
; LDSByteSize: 9248 bytes/workgroup (compile time only)
; SGPRBlocks: 0
; VGPRBlocks: 6
; NumSGPRsForWavesPerEU: 16
; NumVGPRsForWavesPerEU: 108
; NamedBarCnt: 0
; Occupancy: 9
; WaveLimiterHint : 0
; COMPUTE_PGM_RSRC2:SCRATCH_EN: 0
; COMPUTE_PGM_RSRC2:USER_SGPR: 4
; COMPUTE_PGM_RSRC2:TRAP_HANDLER: 0
; COMPUTE_PGM_RSRC2:TGID_X_EN: 1
; COMPUTE_PGM_RSRC2:TGID_Y_EN: 0
; COMPUTE_PGM_RSRC2:TGID_Z_EN: 0
; COMPUTE_PGM_RSRC2:TIDIG_COMP_CNT: 2
	.section	.text._ZN9rocsolver6v33100L18trti2_kernel_smallILi36EfPfEEv13rocblas_fill_17rocblas_diagonal_T1_iil,"axG",@progbits,_ZN9rocsolver6v33100L18trti2_kernel_smallILi36EfPfEEv13rocblas_fill_17rocblas_diagonal_T1_iil,comdat
	.globl	_ZN9rocsolver6v33100L18trti2_kernel_smallILi36EfPfEEv13rocblas_fill_17rocblas_diagonal_T1_iil ; -- Begin function _ZN9rocsolver6v33100L18trti2_kernel_smallILi36EfPfEEv13rocblas_fill_17rocblas_diagonal_T1_iil
	.p2align	8
	.type	_ZN9rocsolver6v33100L18trti2_kernel_smallILi36EfPfEEv13rocblas_fill_17rocblas_diagonal_T1_iil,@function
_ZN9rocsolver6v33100L18trti2_kernel_smallILi36EfPfEEv13rocblas_fill_17rocblas_diagonal_T1_iil: ; @_ZN9rocsolver6v33100L18trti2_kernel_smallILi36EfPfEEv13rocblas_fill_17rocblas_diagonal_T1_iil
; %bb.0:
	v_and_b32_e32 v96, 0x3ff, v0
	s_mov_b32 s4, exec_lo
	s_delay_alu instid0(VALU_DEP_1)
	v_cmpx_gt_u32_e32 36, v96
	s_cbranch_execz .LBB35_690
; %bb.1:
	s_load_b64 s[12:13], s[0:1], 0x4
	s_load_b256 s[4:11], s[2:3], 0x0
	s_wait_xcnt 0x0
	s_bfe_u32 s0, ttmp6, 0x4000c
	s_and_b32 s1, ttmp6, 15
	s_add_co_i32 s0, s0, 1
	s_getreg_b32 s2, hwreg(HW_REG_IB_STS2, 6, 4)
	s_mul_i32 s0, ttmp9, s0
	v_dual_mov_b32 v7, 0 :: v_dual_lshlrev_b32 v6, 2, v96
	s_add_co_i32 s0, s1, s0
	v_bfe_u32 v1, v0, 10, 10
	v_mov_b32_e32 v75, -1.0
	s_wait_kmcnt 0x0
	s_lshr_b32 s12, s12, 16
	v_add3_u32 v8, s9, s9, v96
	s_ashr_i32 s1, s8, 31
	s_cmp_eq_u32 s2, 0
	s_mul_i32 s12, s12, s13
	s_cselect_b32 s2, ttmp9, s0
	v_add_nc_u32_e32 v10, s9, v8
	s_ashr_i32 s3, s2, 31
	s_mov_b32 s0, s8
	s_mul_u64 s[2:3], s[10:11], s[2:3]
	s_lshl_b64 s[0:1], s[0:1], 2
	v_add_nc_u32_e32 v12, s9, v10
	s_lshl_b64 s[2:3], s[2:3], 2
	v_mul_u32_u24_e32 v1, s13, v1
	s_add_nc_u64 s[2:3], s[6:7], s[2:3]
	v_mul_u32_u24_e32 v9, s12, v96
	v_add_nc_u32_e32 v14, s9, v12
	s_add_nc_u64 s[6:7], s[2:3], s[0:1]
	s_mov_b32 s0, s9
	v_add_nc_u64_e32 v[2:3], s[6:7], v[6:7]
	s_ashr_i32 s1, s9, 31
	v_add_nc_u32_e32 v16, s9, v14
	v_bfe_u32 v7, v0, 20, 10
	s_cmp_lg_u32 s5, 0x84
	v_ashrrev_i32_e32 v11, 31, v10
	s_cselect_b32 s3, -1, 0
	v_add_nc_u32_e32 v18, s9, v16
	v_lshl_add_u64 v[4:5], s[0:1], 2, v[2:3]
	v_add3_u32 v74, v9, v1, v7
	v_ashrrev_i32_e32 v13, 31, v12
	s_cmp_eq_u32 s5, 0x84
	v_add_nc_u32_e32 v20, s9, v18
	s_clause 0x7
	global_load_b32 v76, v96, s[6:7] scale_offset
	global_load_b32 v77, v[4:5], off
	global_load_b32 v78, v8, s[6:7] scale_offset
	global_load_b32 v79, v10, s[6:7] scale_offset
	;; [unrolled: 1-line block ×6, first 2 shown]
	v_mul_lo_u32 v97, 0x90, v74
	v_dual_ashrrev_i32 v9, 31, v8 :: v_dual_ashrrev_i32 v15, 31, v14
	v_dual_add_nc_u32 v22, s9, v20 :: v_dual_ashrrev_i32 v19, 31, v18
	s_delay_alu instid0(VALU_DEP_1) | instskip(NEXT) | instid1(VALU_DEP_4)
	v_add_nc_u32_e32 v24, s9, v22
	v_add_nc_u32_e32 v7, 0x120, v97
	s_delay_alu instid0(VALU_DEP_2) | instskip(NEXT) | instid1(VALU_DEP_1)
	v_add_nc_u32_e32 v26, s9, v24
	v_dual_add_nc_u32 v28, s9, v26 :: v_dual_ashrrev_i32 v17, 31, v16
	s_delay_alu instid0(VALU_DEP_1) | instskip(NEXT) | instid1(VALU_DEP_1)
	v_dual_ashrrev_i32 v23, 31, v22 :: v_dual_add_nc_u32 v30, s9, v28
	v_dual_ashrrev_i32 v25, 31, v24 :: v_dual_ashrrev_i32 v31, 31, v30
	v_dual_add_nc_u32 v32, s9, v30 :: v_dual_ashrrev_i32 v21, 31, v20
	s_delay_alu instid0(VALU_DEP_1) | instskip(NEXT) | instid1(VALU_DEP_1)
	v_dual_ashrrev_i32 v27, 31, v26 :: v_dual_add_nc_u32 v34, s9, v32
	v_add_nc_u32_e32 v36, s9, v34
	s_delay_alu instid0(VALU_DEP_1) | instskip(NEXT) | instid1(VALU_DEP_1)
	v_add_nc_u32_e32 v38, s9, v36
	v_add_nc_u32_e32 v40, s9, v38
	s_clause 0x7
	global_load_b32 v84, v20, s[6:7] scale_offset
	global_load_b32 v85, v22, s[6:7] scale_offset
	;; [unrolled: 1-line block ×8, first 2 shown]
	v_dual_ashrrev_i32 v29, 31, v28 :: v_dual_ashrrev_i32 v35, 31, v34
	v_add_nc_u32_e32 v42, s9, v40
	s_delay_alu instid0(VALU_DEP_1) | instskip(SKIP_1) | instid1(VALU_DEP_1)
	v_dual_ashrrev_i32 v37, 31, v36 :: v_dual_ashrrev_i32 v43, 31, v42
	v_dual_add_nc_u32 v44, s9, v42 :: v_dual_ashrrev_i32 v33, 31, v32
	v_dual_ashrrev_i32 v39, 31, v38 :: v_dual_add_nc_u32 v46, s9, v44
	s_delay_alu instid0(VALU_DEP_1) | instskip(NEXT) | instid1(VALU_DEP_1)
	v_add_nc_u32_e32 v48, s9, v46
	v_add_nc_u32_e32 v50, s9, v48
	s_delay_alu instid0(VALU_DEP_1) | instskip(NEXT) | instid1(VALU_DEP_1)
	v_dual_add_nc_u32 v52, s9, v50 :: v_dual_ashrrev_i32 v41, 31, v40
	v_dual_ashrrev_i32 v47, 31, v46 :: v_dual_add_nc_u32 v54, s9, v52
	s_delay_alu instid0(VALU_DEP_1)
	v_dual_ashrrev_i32 v49, 31, v48 :: v_dual_ashrrev_i32 v55, 31, v54
	v_add_nc_u32_e32 v56, s9, v54
	s_clause 0x7
	global_load_b32 v92, v36, s[6:7] scale_offset
	global_load_b32 v93, v38, s[6:7] scale_offset
	global_load_b32 v94, v40, s[6:7] scale_offset
	global_load_b32 v95, v42, s[6:7] scale_offset
	global_load_b32 v98, v44, s[6:7] scale_offset
	global_load_b32 v99, v46, s[6:7] scale_offset
	global_load_b32 v100, v48, s[6:7] scale_offset
	global_load_b32 v101, v50, s[6:7] scale_offset
	v_dual_ashrrev_i32 v45, 31, v44 :: v_dual_ashrrev_i32 v51, 31, v50
	v_add_nc_u32_e32 v58, s9, v56
	s_delay_alu instid0(VALU_DEP_1) | instskip(NEXT) | instid1(VALU_DEP_1)
	v_add_nc_u32_e32 v60, s9, v58
	v_add_nc_u32_e32 v62, s9, v60
	s_delay_alu instid0(VALU_DEP_1) | instskip(NEXT) | instid1(VALU_DEP_1)
	v_dual_add_nc_u32 v64, s9, v62 :: v_dual_ashrrev_i32 v53, 31, v52
	v_dual_ashrrev_i32 v59, 31, v58 :: v_dual_add_nc_u32 v66, s9, v64
	s_delay_alu instid0(VALU_DEP_1)
	v_dual_ashrrev_i32 v61, 31, v60 :: v_dual_ashrrev_i32 v67, 31, v66
	v_add_nc_u32_e32 v0, s9, v66
	s_clause 0x7
	global_load_b32 v102, v52, s[6:7] scale_offset
	global_load_b32 v103, v54, s[6:7] scale_offset
	;; [unrolled: 1-line block ×8, first 2 shown]
	v_dual_ashrrev_i32 v57, 31, v56 :: v_dual_ashrrev_i32 v63, 31, v62
	v_dual_add_nc_u32 v68, s9, v0 :: v_dual_ashrrev_i32 v1, 31, v0
	s_delay_alu instid0(VALU_DEP_1) | instskip(NEXT) | instid1(VALU_DEP_1)
	v_add_nc_u32_e32 v70, s9, v68
	v_dual_ashrrev_i32 v65, 31, v64 :: v_dual_ashrrev_i32 v71, 31, v70
	v_dual_add_nc_u32 v72, s9, v70 :: v_dual_ashrrev_i32 v69, 31, v68
	s_delay_alu instid0(VALU_DEP_1)
	v_ashrrev_i32_e32 v73, 31, v72
	s_wait_loadcnt 0x1c
	ds_store_b128 v97, v[76:79] offset:288
	s_wait_loadcnt 0x18
	ds_store_b128 v97, v[80:83] offset:304
	s_clause 0x3
	global_load_b32 v76, v0, s[6:7] scale_offset
	global_load_b32 v77, v68, s[6:7] scale_offset
	;; [unrolled: 1-line block ×4, first 2 shown]
	s_wait_loadcnt 0x18
	ds_store_b128 v97, v[84:87] offset:320
	s_wait_loadcnt 0x14
	ds_store_b128 v97, v[88:91] offset:336
	s_wait_loadcnt 0x10
	ds_store_b128 v97, v[92:95] offset:352
	s_wait_loadcnt 0xc
	ds_store_b128 v97, v[98:101] offset:368
	s_wait_loadcnt 0x8
	ds_store_b128 v97, v[102:105] offset:384
	s_wait_loadcnt 0x4
	ds_store_b128 v97, v[106:109] offset:400
	s_wait_loadcnt 0x0
	ds_store_b128 v97, v[76:79] offset:416
	s_cbranch_scc1 .LBB35_3
; %bb.2:
	v_lshl_add_u32 v76, v96, 2, v7
	ds_load_b32 v75, v76
	s_wait_dscnt 0x0
	v_div_scale_f32 v77, null, v75, v75, 1.0
	s_delay_alu instid0(VALU_DEP_1) | instskip(SKIP_1) | instid1(TRANS32_DEP_1)
	v_rcp_f32_e32 v78, v77
	v_nop
	v_fma_f32 v79, -v77, v78, 1.0
	s_delay_alu instid0(VALU_DEP_1) | instskip(SKIP_1) | instid1(VALU_DEP_1)
	v_fmac_f32_e32 v78, v79, v78
	v_div_scale_f32 v79, vcc_lo, 1.0, v75, 1.0
	v_mul_f32_e32 v80, v79, v78
	s_delay_alu instid0(VALU_DEP_1) | instskip(NEXT) | instid1(VALU_DEP_1)
	v_fma_f32 v81, -v77, v80, v79
	v_fmac_f32_e32 v80, v81, v78
	s_delay_alu instid0(VALU_DEP_1) | instskip(NEXT) | instid1(VALU_DEP_1)
	v_fma_f32 v77, -v77, v80, v79
	v_div_fmas_f32 v77, v77, v78, v80
	s_delay_alu instid0(VALU_DEP_1) | instskip(NEXT) | instid1(VALU_DEP_1)
	v_div_fixup_f32 v77, v77, v75, 1.0
	v_xor_b32_e32 v75, 0x80000000, v77
	ds_store_b32 v76, v77
.LBB35_3:
	v_add_nc_u32_e32 v98, 0x90, v6
	v_add_nc_u32_e32 v99, v7, v6
	s_cmp_eq_u32 s4, 0x79
	s_mov_b32 s1, -1
	ds_store_b32 v6, v75
	s_cbranch_scc1 .LBB35_347
; %bb.4:
	ds_load_b32 v75, v7 offset:136
	v_cmp_eq_u32_e64 s0, 35, v96
	s_wait_dscnt 0x0
	ds_store_b32 v98, v75
	s_wait_dscnt 0x0
	s_barrier_signal -1
	s_barrier_wait -1
	s_and_saveexec_b32 s1, s0
	s_cbranch_execz .LBB35_10
; %bb.5:
	s_and_b32 vcc_lo, exec_lo, s3
	s_cbranch_vccz .LBB35_7
; %bb.6:
	ds_load_b32 v75, v99
	ds_load_b32 v76, v98
	s_wait_dscnt 0x0
	v_mul_f32_e32 v75, v75, v76
	s_cbranch_execz .LBB35_8
	s_branch .LBB35_9
.LBB35_7:
                                        ; implicit-def: $vgpr75
.LBB35_8:
	ds_load_b32 v75, v98
.LBB35_9:
	v_mov_b32_e32 v76, 0
	ds_load_b32 v76, v76 offset:136
	s_wait_dscnt 0x0
	v_mul_f32_e32 v75, v75, v76
	ds_store_b32 v7, v75 offset:136
.LBB35_10:
	s_or_b32 exec_lo, exec_lo, s1
	ds_load_b32 v75, v7 offset:132
	v_cmp_lt_u32_e64 s1, 33, v96
	s_wait_dscnt 0x0
	ds_store_b32 v98, v75
	s_wait_dscnt 0x0
	s_barrier_signal -1
	s_barrier_wait -1
	s_and_saveexec_b32 s2, s1
	s_cbranch_execz .LBB35_16
; %bb.11:
	s_and_not1_b32 vcc_lo, exec_lo, s3
	s_cbranch_vccnz .LBB35_13
; %bb.12:
	ds_load_b32 v75, v99
	ds_load_b32 v76, v98
	s_wait_dscnt 0x0
	v_mul_f32_e32 v75, v75, v76
	s_cbranch_execz .LBB35_14
	s_branch .LBB35_15
.LBB35_13:
                                        ; implicit-def: $vgpr75
.LBB35_14:
	ds_load_b32 v75, v98
.LBB35_15:
	v_mov_b32_e32 v76, 0
	ds_load_b32 v78, v7 offset:136
	ds_load_2addr_b32 v[76:77], v76 offset0:33 offset1:70
	s_wait_dscnt 0x0
	v_fma_f32 v77, v78, v77, v75
	s_delay_alu instid0(VALU_DEP_1) | instskip(NEXT) | instid1(VALU_DEP_1)
	v_cndmask_b32_e64 v75, v75, v77, s0
	v_mul_f32_e32 v75, v75, v76
	ds_store_b32 v7, v75 offset:132
.LBB35_16:
	s_or_b32 exec_lo, exec_lo, s2
	ds_load_b32 v75, v7 offset:128
	v_cmp_lt_u32_e64 s0, 32, v96
	s_wait_dscnt 0x0
	ds_store_b32 v98, v75
	s_wait_dscnt 0x0
	s_barrier_signal -1
	s_barrier_wait -1
	s_and_saveexec_b32 s2, s0
	s_cbranch_execz .LBB35_26
; %bb.17:
	s_and_not1_b32 vcc_lo, exec_lo, s3
	s_cbranch_vccnz .LBB35_19
; %bb.18:
	ds_load_b32 v75, v99
	ds_load_b32 v76, v98
	s_wait_dscnt 0x0
	v_mul_f32_e32 v75, v75, v76
	s_cbranch_execz .LBB35_20
	s_branch .LBB35_21
.LBB35_19:
                                        ; implicit-def: $vgpr75
.LBB35_20:
	ds_load_b32 v75, v98
.LBB35_21:
	s_and_saveexec_b32 s4, s1
	s_cbranch_execz .LBB35_25
; %bb.22:
	s_movk_i32 s1, 0x90
	v_subrev_nc_u32_e32 v77, 33, v96
	v_mad_u32 v76, v74, s1, 0x1a4
	s_movk_i32 s5, 0x114
	s_mov_b32 s1, 0
.LBB35_23:                              ; =>This Inner Loop Header: Depth=1
	s_delay_alu instid0(VALU_DEP_2)
	v_dual_mov_b32 v78, s5 :: v_dual_add_nc_u32 v77, -1, v77
	s_add_co_i32 s5, s5, 4
	ds_load_b32 v79, v76
	ds_load_b32 v78, v78
	v_add_nc_u32_e32 v76, 4, v76
	v_cmp_eq_u32_e32 vcc_lo, 0, v77
	s_or_b32 s1, vcc_lo, s1
	s_wait_dscnt 0x0
	v_fmac_f32_e32 v75, v79, v78
	s_and_not1_b32 exec_lo, exec_lo, s1
	s_cbranch_execnz .LBB35_23
; %bb.24:
	s_or_b32 exec_lo, exec_lo, s1
.LBB35_25:
	s_delay_alu instid0(SALU_CYCLE_1)
	s_or_b32 exec_lo, exec_lo, s4
	v_mov_b32_e32 v76, 0
	ds_load_b32 v76, v76 offset:128
	s_wait_dscnt 0x0
	v_mul_f32_e32 v75, v75, v76
	ds_store_b32 v7, v75 offset:128
.LBB35_26:
	s_or_b32 exec_lo, exec_lo, s2
	ds_load_b32 v75, v7 offset:124
	v_cmp_lt_u32_e64 s1, 31, v96
	s_wait_dscnt 0x0
	ds_store_b32 v98, v75
	s_wait_dscnt 0x0
	s_barrier_signal -1
	s_barrier_wait -1
	s_and_saveexec_b32 s2, s1
	s_cbranch_execz .LBB35_36
; %bb.27:
	s_and_not1_b32 vcc_lo, exec_lo, s3
	s_cbranch_vccnz .LBB35_29
; %bb.28:
	ds_load_b32 v75, v99
	ds_load_b32 v76, v98
	s_wait_dscnt 0x0
	v_mul_f32_e32 v75, v75, v76
	s_cbranch_execz .LBB35_30
	s_branch .LBB35_31
.LBB35_29:
                                        ; implicit-def: $vgpr75
.LBB35_30:
	ds_load_b32 v75, v98
.LBB35_31:
	s_and_saveexec_b32 s4, s0
	s_cbranch_execz .LBB35_35
; %bb.32:
	s_movk_i32 s0, 0x90
	v_subrev_nc_u32_e32 v77, 32, v96
	v_mad_u32 v76, v74, s0, 0x1a0
	s_movk_i32 s5, 0x110
	s_mov_b32 s0, 0
.LBB35_33:                              ; =>This Inner Loop Header: Depth=1
	s_delay_alu instid0(VALU_DEP_2)
	v_dual_mov_b32 v78, s5 :: v_dual_add_nc_u32 v77, -1, v77
	s_add_co_i32 s5, s5, 4
	ds_load_b32 v79, v76
	ds_load_b32 v78, v78
	v_add_nc_u32_e32 v76, 4, v76
	v_cmp_eq_u32_e32 vcc_lo, 0, v77
	s_or_b32 s0, vcc_lo, s0
	s_wait_dscnt 0x0
	v_fmac_f32_e32 v75, v79, v78
	s_and_not1_b32 exec_lo, exec_lo, s0
	s_cbranch_execnz .LBB35_33
; %bb.34:
	s_or_b32 exec_lo, exec_lo, s0
.LBB35_35:
	s_delay_alu instid0(SALU_CYCLE_1)
	s_or_b32 exec_lo, exec_lo, s4
	v_mov_b32_e32 v76, 0
	ds_load_b32 v76, v76 offset:124
	s_wait_dscnt 0x0
	v_mul_f32_e32 v75, v75, v76
	ds_store_b32 v7, v75 offset:124
.LBB35_36:
	;; [unrolled: 57-line block ×8, first 2 shown]
	s_or_b32 exec_lo, exec_lo, s2
	ds_load_b32 v75, v7 offset:96
	v_cmp_lt_u32_e64 s0, 24, v96
	s_wait_dscnt 0x0
	ds_store_b32 v98, v75
	s_wait_dscnt 0x0
	s_barrier_signal -1
	s_barrier_wait -1
	s_and_saveexec_b32 s2, s0
	s_cbranch_execz .LBB35_106
; %bb.97:
	s_and_not1_b32 vcc_lo, exec_lo, s3
	s_cbranch_vccnz .LBB35_99
; %bb.98:
	ds_load_b32 v75, v99
	ds_load_b32 v76, v98
	s_wait_dscnt 0x0
	v_mul_f32_e32 v75, v75, v76
	s_cbranch_execz .LBB35_100
	s_branch .LBB35_101
.LBB35_99:
                                        ; implicit-def: $vgpr75
.LBB35_100:
	ds_load_b32 v75, v98
.LBB35_101:
	s_and_saveexec_b32 s4, s1
	s_cbranch_execz .LBB35_105
; %bb.102:
	s_movk_i32 s1, 0x90
	v_subrev_nc_u32_e32 v77, 25, v96
	v_mad_u32 v76, v74, s1, 0x184
	s_movk_i32 s5, 0xf4
	s_mov_b32 s1, 0
.LBB35_103:                             ; =>This Inner Loop Header: Depth=1
	s_delay_alu instid0(VALU_DEP_2)
	v_dual_mov_b32 v78, s5 :: v_dual_add_nc_u32 v77, -1, v77
	s_add_co_i32 s5, s5, 4
	ds_load_b32 v79, v76
	ds_load_b32 v78, v78
	v_add_nc_u32_e32 v76, 4, v76
	v_cmp_eq_u32_e32 vcc_lo, 0, v77
	s_or_b32 s1, vcc_lo, s1
	s_wait_dscnt 0x0
	v_fmac_f32_e32 v75, v79, v78
	s_and_not1_b32 exec_lo, exec_lo, s1
	s_cbranch_execnz .LBB35_103
; %bb.104:
	s_or_b32 exec_lo, exec_lo, s1
.LBB35_105:
	s_delay_alu instid0(SALU_CYCLE_1)
	s_or_b32 exec_lo, exec_lo, s4
	v_mov_b32_e32 v76, 0
	ds_load_b32 v76, v76 offset:96
	s_wait_dscnt 0x0
	v_mul_f32_e32 v75, v75, v76
	ds_store_b32 v7, v75 offset:96
.LBB35_106:
	s_or_b32 exec_lo, exec_lo, s2
	ds_load_b32 v75, v7 offset:92
	v_cmp_lt_u32_e64 s1, 23, v96
	s_wait_dscnt 0x0
	ds_store_b32 v98, v75
	s_wait_dscnt 0x0
	s_barrier_signal -1
	s_barrier_wait -1
	s_and_saveexec_b32 s2, s1
	s_cbranch_execz .LBB35_116
; %bb.107:
	s_and_not1_b32 vcc_lo, exec_lo, s3
	s_cbranch_vccnz .LBB35_109
; %bb.108:
	ds_load_b32 v75, v99
	ds_load_b32 v76, v98
	s_wait_dscnt 0x0
	v_mul_f32_e32 v75, v75, v76
	s_cbranch_execz .LBB35_110
	s_branch .LBB35_111
.LBB35_109:
                                        ; implicit-def: $vgpr75
.LBB35_110:
	ds_load_b32 v75, v98
.LBB35_111:
	s_and_saveexec_b32 s4, s0
	s_cbranch_execz .LBB35_115
; %bb.112:
	s_movk_i32 s0, 0x90
	v_subrev_nc_u32_e32 v77, 24, v96
	v_mad_u32 v76, v74, s0, 0x180
	s_movk_i32 s5, 0xf0
	s_mov_b32 s0, 0
.LBB35_113:                             ; =>This Inner Loop Header: Depth=1
	s_delay_alu instid0(VALU_DEP_2)
	v_dual_mov_b32 v78, s5 :: v_dual_add_nc_u32 v77, -1, v77
	s_add_co_i32 s5, s5, 4
	ds_load_b32 v79, v76
	ds_load_b32 v78, v78
	v_add_nc_u32_e32 v76, 4, v76
	v_cmp_eq_u32_e32 vcc_lo, 0, v77
	s_or_b32 s0, vcc_lo, s0
	s_wait_dscnt 0x0
	v_fmac_f32_e32 v75, v79, v78
	s_and_not1_b32 exec_lo, exec_lo, s0
	s_cbranch_execnz .LBB35_113
; %bb.114:
	s_or_b32 exec_lo, exec_lo, s0
.LBB35_115:
	s_delay_alu instid0(SALU_CYCLE_1)
	s_or_b32 exec_lo, exec_lo, s4
	v_mov_b32_e32 v76, 0
	ds_load_b32 v76, v76 offset:92
	s_wait_dscnt 0x0
	v_mul_f32_e32 v75, v75, v76
	ds_store_b32 v7, v75 offset:92
.LBB35_116:
	s_or_b32 exec_lo, exec_lo, s2
	ds_load_b32 v75, v7 offset:88
	v_cmp_lt_u32_e64 s0, 22, v96
	s_wait_dscnt 0x0
	ds_store_b32 v98, v75
	s_wait_dscnt 0x0
	s_barrier_signal -1
	s_barrier_wait -1
	s_and_saveexec_b32 s2, s0
	s_cbranch_execz .LBB35_126
; %bb.117:
	s_and_not1_b32 vcc_lo, exec_lo, s3
	s_cbranch_vccnz .LBB35_119
; %bb.118:
	ds_load_b32 v75, v99
	ds_load_b32 v76, v98
	s_wait_dscnt 0x0
	v_mul_f32_e32 v75, v75, v76
	s_cbranch_execz .LBB35_120
	s_branch .LBB35_121
.LBB35_119:
                                        ; implicit-def: $vgpr75
.LBB35_120:
	ds_load_b32 v75, v98
.LBB35_121:
	s_and_saveexec_b32 s4, s1
	s_cbranch_execz .LBB35_125
; %bb.122:
	s_movk_i32 s1, 0x90
	v_subrev_nc_u32_e32 v77, 23, v96
	v_mad_u32 v76, v74, s1, 0x17c
	s_movk_i32 s5, 0xec
	s_mov_b32 s1, 0
.LBB35_123:                             ; =>This Inner Loop Header: Depth=1
	s_delay_alu instid0(VALU_DEP_2)
	v_dual_mov_b32 v78, s5 :: v_dual_add_nc_u32 v77, -1, v77
	s_add_co_i32 s5, s5, 4
	ds_load_b32 v79, v76
	ds_load_b32 v78, v78
	v_add_nc_u32_e32 v76, 4, v76
	v_cmp_eq_u32_e32 vcc_lo, 0, v77
	s_or_b32 s1, vcc_lo, s1
	s_wait_dscnt 0x0
	v_fmac_f32_e32 v75, v79, v78
	s_and_not1_b32 exec_lo, exec_lo, s1
	s_cbranch_execnz .LBB35_123
; %bb.124:
	s_or_b32 exec_lo, exec_lo, s1
.LBB35_125:
	s_delay_alu instid0(SALU_CYCLE_1)
	s_or_b32 exec_lo, exec_lo, s4
	v_mov_b32_e32 v76, 0
	ds_load_b32 v76, v76 offset:88
	s_wait_dscnt 0x0
	v_mul_f32_e32 v75, v75, v76
	ds_store_b32 v7, v75 offset:88
.LBB35_126:
	s_or_b32 exec_lo, exec_lo, s2
	ds_load_b32 v75, v7 offset:84
	v_cmp_lt_u32_e64 s1, 21, v96
	s_wait_dscnt 0x0
	ds_store_b32 v98, v75
	s_wait_dscnt 0x0
	s_barrier_signal -1
	s_barrier_wait -1
	s_and_saveexec_b32 s2, s1
	s_cbranch_execz .LBB35_136
; %bb.127:
	s_and_not1_b32 vcc_lo, exec_lo, s3
	s_cbranch_vccnz .LBB35_129
; %bb.128:
	ds_load_b32 v75, v99
	ds_load_b32 v76, v98
	s_wait_dscnt 0x0
	v_mul_f32_e32 v75, v75, v76
	s_cbranch_execz .LBB35_130
	s_branch .LBB35_131
.LBB35_129:
                                        ; implicit-def: $vgpr75
.LBB35_130:
	ds_load_b32 v75, v98
.LBB35_131:
	s_and_saveexec_b32 s4, s0
	s_cbranch_execz .LBB35_135
; %bb.132:
	s_movk_i32 s0, 0x90
	v_subrev_nc_u32_e32 v77, 22, v96
	v_mad_u32 v76, v74, s0, 0x178
	s_movk_i32 s5, 0xe8
	s_mov_b32 s0, 0
.LBB35_133:                             ; =>This Inner Loop Header: Depth=1
	s_delay_alu instid0(VALU_DEP_2)
	v_dual_mov_b32 v78, s5 :: v_dual_add_nc_u32 v77, -1, v77
	s_add_co_i32 s5, s5, 4
	ds_load_b32 v79, v76
	ds_load_b32 v78, v78
	v_add_nc_u32_e32 v76, 4, v76
	v_cmp_eq_u32_e32 vcc_lo, 0, v77
	s_or_b32 s0, vcc_lo, s0
	s_wait_dscnt 0x0
	v_fmac_f32_e32 v75, v79, v78
	s_and_not1_b32 exec_lo, exec_lo, s0
	s_cbranch_execnz .LBB35_133
; %bb.134:
	s_or_b32 exec_lo, exec_lo, s0
.LBB35_135:
	s_delay_alu instid0(SALU_CYCLE_1)
	s_or_b32 exec_lo, exec_lo, s4
	v_mov_b32_e32 v76, 0
	ds_load_b32 v76, v76 offset:84
	s_wait_dscnt 0x0
	v_mul_f32_e32 v75, v75, v76
	ds_store_b32 v7, v75 offset:84
.LBB35_136:
	s_or_b32 exec_lo, exec_lo, s2
	ds_load_b32 v75, v7 offset:80
	v_cmp_lt_u32_e64 s0, 20, v96
	s_wait_dscnt 0x0
	ds_store_b32 v98, v75
	s_wait_dscnt 0x0
	s_barrier_signal -1
	s_barrier_wait -1
	s_and_saveexec_b32 s2, s0
	s_cbranch_execz .LBB35_146
; %bb.137:
	s_and_not1_b32 vcc_lo, exec_lo, s3
	s_cbranch_vccnz .LBB35_139
; %bb.138:
	ds_load_b32 v75, v99
	ds_load_b32 v76, v98
	s_wait_dscnt 0x0
	v_mul_f32_e32 v75, v75, v76
	s_cbranch_execz .LBB35_140
	s_branch .LBB35_141
.LBB35_139:
                                        ; implicit-def: $vgpr75
.LBB35_140:
	ds_load_b32 v75, v98
.LBB35_141:
	s_and_saveexec_b32 s4, s1
	s_cbranch_execz .LBB35_145
; %bb.142:
	s_movk_i32 s1, 0x90
	v_subrev_nc_u32_e32 v77, 21, v96
	v_mad_u32 v76, v74, s1, 0x174
	s_movk_i32 s5, 0xe4
	s_mov_b32 s1, 0
.LBB35_143:                             ; =>This Inner Loop Header: Depth=1
	s_delay_alu instid0(VALU_DEP_2)
	v_dual_mov_b32 v78, s5 :: v_dual_add_nc_u32 v77, -1, v77
	s_add_co_i32 s5, s5, 4
	ds_load_b32 v79, v76
	ds_load_b32 v78, v78
	v_add_nc_u32_e32 v76, 4, v76
	v_cmp_eq_u32_e32 vcc_lo, 0, v77
	s_or_b32 s1, vcc_lo, s1
	s_wait_dscnt 0x0
	v_fmac_f32_e32 v75, v79, v78
	s_and_not1_b32 exec_lo, exec_lo, s1
	s_cbranch_execnz .LBB35_143
; %bb.144:
	s_or_b32 exec_lo, exec_lo, s1
.LBB35_145:
	s_delay_alu instid0(SALU_CYCLE_1)
	s_or_b32 exec_lo, exec_lo, s4
	v_mov_b32_e32 v76, 0
	ds_load_b32 v76, v76 offset:80
	s_wait_dscnt 0x0
	v_mul_f32_e32 v75, v75, v76
	ds_store_b32 v7, v75 offset:80
.LBB35_146:
	s_or_b32 exec_lo, exec_lo, s2
	ds_load_b32 v75, v7 offset:76
	v_cmp_lt_u32_e64 s1, 19, v96
	s_wait_dscnt 0x0
	ds_store_b32 v98, v75
	s_wait_dscnt 0x0
	s_barrier_signal -1
	s_barrier_wait -1
	s_and_saveexec_b32 s2, s1
	s_cbranch_execz .LBB35_156
; %bb.147:
	s_and_not1_b32 vcc_lo, exec_lo, s3
	s_cbranch_vccnz .LBB35_149
; %bb.148:
	ds_load_b32 v75, v99
	ds_load_b32 v76, v98
	s_wait_dscnt 0x0
	v_mul_f32_e32 v75, v75, v76
	s_cbranch_execz .LBB35_150
	s_branch .LBB35_151
.LBB35_149:
                                        ; implicit-def: $vgpr75
.LBB35_150:
	ds_load_b32 v75, v98
.LBB35_151:
	s_and_saveexec_b32 s4, s0
	s_cbranch_execz .LBB35_155
; %bb.152:
	s_movk_i32 s0, 0x90
	v_subrev_nc_u32_e32 v77, 20, v96
	v_mad_u32 v76, v74, s0, 0x170
	s_movk_i32 s5, 0xe0
	s_mov_b32 s0, 0
.LBB35_153:                             ; =>This Inner Loop Header: Depth=1
	s_delay_alu instid0(VALU_DEP_2)
	v_dual_mov_b32 v78, s5 :: v_dual_add_nc_u32 v77, -1, v77
	s_add_co_i32 s5, s5, 4
	ds_load_b32 v79, v76
	ds_load_b32 v78, v78
	v_add_nc_u32_e32 v76, 4, v76
	v_cmp_eq_u32_e32 vcc_lo, 0, v77
	s_or_b32 s0, vcc_lo, s0
	s_wait_dscnt 0x0
	v_fmac_f32_e32 v75, v79, v78
	s_and_not1_b32 exec_lo, exec_lo, s0
	s_cbranch_execnz .LBB35_153
; %bb.154:
	s_or_b32 exec_lo, exec_lo, s0
.LBB35_155:
	s_delay_alu instid0(SALU_CYCLE_1)
	s_or_b32 exec_lo, exec_lo, s4
	v_mov_b32_e32 v76, 0
	ds_load_b32 v76, v76 offset:76
	s_wait_dscnt 0x0
	v_mul_f32_e32 v75, v75, v76
	ds_store_b32 v7, v75 offset:76
.LBB35_156:
	s_or_b32 exec_lo, exec_lo, s2
	ds_load_b32 v75, v7 offset:72
	v_cmp_lt_u32_e64 s0, 18, v96
	s_wait_dscnt 0x0
	ds_store_b32 v98, v75
	s_wait_dscnt 0x0
	s_barrier_signal -1
	s_barrier_wait -1
	s_and_saveexec_b32 s2, s0
	s_cbranch_execz .LBB35_166
; %bb.157:
	s_and_not1_b32 vcc_lo, exec_lo, s3
	s_cbranch_vccnz .LBB35_159
; %bb.158:
	ds_load_b32 v75, v99
	ds_load_b32 v76, v98
	s_wait_dscnt 0x0
	v_mul_f32_e32 v75, v75, v76
	s_cbranch_execz .LBB35_160
	s_branch .LBB35_161
.LBB35_159:
                                        ; implicit-def: $vgpr75
.LBB35_160:
	ds_load_b32 v75, v98
.LBB35_161:
	s_and_saveexec_b32 s4, s1
	s_cbranch_execz .LBB35_165
; %bb.162:
	s_movk_i32 s1, 0x90
	v_subrev_nc_u32_e32 v77, 19, v96
	v_mad_u32 v76, v74, s1, 0x16c
	s_movk_i32 s5, 0xdc
	s_mov_b32 s1, 0
.LBB35_163:                             ; =>This Inner Loop Header: Depth=1
	s_delay_alu instid0(VALU_DEP_2)
	v_dual_mov_b32 v78, s5 :: v_dual_add_nc_u32 v77, -1, v77
	s_add_co_i32 s5, s5, 4
	ds_load_b32 v79, v76
	ds_load_b32 v78, v78
	v_add_nc_u32_e32 v76, 4, v76
	v_cmp_eq_u32_e32 vcc_lo, 0, v77
	s_or_b32 s1, vcc_lo, s1
	s_wait_dscnt 0x0
	v_fmac_f32_e32 v75, v79, v78
	s_and_not1_b32 exec_lo, exec_lo, s1
	s_cbranch_execnz .LBB35_163
; %bb.164:
	s_or_b32 exec_lo, exec_lo, s1
.LBB35_165:
	s_delay_alu instid0(SALU_CYCLE_1)
	s_or_b32 exec_lo, exec_lo, s4
	v_mov_b32_e32 v76, 0
	ds_load_b32 v76, v76 offset:72
	s_wait_dscnt 0x0
	v_mul_f32_e32 v75, v75, v76
	ds_store_b32 v7, v75 offset:72
.LBB35_166:
	s_or_b32 exec_lo, exec_lo, s2
	ds_load_b32 v75, v7 offset:68
	v_cmp_lt_u32_e64 s1, 17, v96
	s_wait_dscnt 0x0
	ds_store_b32 v98, v75
	s_wait_dscnt 0x0
	s_barrier_signal -1
	s_barrier_wait -1
	s_and_saveexec_b32 s2, s1
	s_cbranch_execz .LBB35_176
; %bb.167:
	s_and_not1_b32 vcc_lo, exec_lo, s3
	s_cbranch_vccnz .LBB35_169
; %bb.168:
	ds_load_b32 v75, v99
	ds_load_b32 v76, v98
	s_wait_dscnt 0x0
	v_mul_f32_e32 v75, v75, v76
	s_cbranch_execz .LBB35_170
	s_branch .LBB35_171
.LBB35_169:
                                        ; implicit-def: $vgpr75
.LBB35_170:
	ds_load_b32 v75, v98
.LBB35_171:
	s_and_saveexec_b32 s4, s0
	s_cbranch_execz .LBB35_175
; %bb.172:
	s_movk_i32 s0, 0x90
	v_subrev_nc_u32_e32 v77, 18, v96
	v_mad_u32 v76, v74, s0, 0x168
	s_movk_i32 s5, 0xd8
	s_mov_b32 s0, 0
.LBB35_173:                             ; =>This Inner Loop Header: Depth=1
	s_delay_alu instid0(VALU_DEP_2)
	v_dual_mov_b32 v78, s5 :: v_dual_add_nc_u32 v77, -1, v77
	s_add_co_i32 s5, s5, 4
	ds_load_b32 v79, v76
	ds_load_b32 v78, v78
	v_add_nc_u32_e32 v76, 4, v76
	v_cmp_eq_u32_e32 vcc_lo, 0, v77
	s_or_b32 s0, vcc_lo, s0
	s_wait_dscnt 0x0
	v_fmac_f32_e32 v75, v79, v78
	s_and_not1_b32 exec_lo, exec_lo, s0
	s_cbranch_execnz .LBB35_173
; %bb.174:
	s_or_b32 exec_lo, exec_lo, s0
.LBB35_175:
	s_delay_alu instid0(SALU_CYCLE_1)
	s_or_b32 exec_lo, exec_lo, s4
	v_mov_b32_e32 v76, 0
	ds_load_b32 v76, v76 offset:68
	s_wait_dscnt 0x0
	v_mul_f32_e32 v75, v75, v76
	ds_store_b32 v7, v75 offset:68
.LBB35_176:
	s_or_b32 exec_lo, exec_lo, s2
	ds_load_b32 v75, v7 offset:64
	v_cmp_lt_u32_e64 s0, 16, v96
	s_wait_dscnt 0x0
	ds_store_b32 v98, v75
	s_wait_dscnt 0x0
	s_barrier_signal -1
	s_barrier_wait -1
	s_and_saveexec_b32 s2, s0
	s_cbranch_execz .LBB35_186
; %bb.177:
	s_and_not1_b32 vcc_lo, exec_lo, s3
	s_cbranch_vccnz .LBB35_179
; %bb.178:
	ds_load_b32 v75, v99
	ds_load_b32 v76, v98
	s_wait_dscnt 0x0
	v_mul_f32_e32 v75, v75, v76
	s_cbranch_execz .LBB35_180
	s_branch .LBB35_181
.LBB35_179:
                                        ; implicit-def: $vgpr75
.LBB35_180:
	ds_load_b32 v75, v98
.LBB35_181:
	s_and_saveexec_b32 s4, s1
	s_cbranch_execz .LBB35_185
; %bb.182:
	s_movk_i32 s1, 0x90
	v_subrev_nc_u32_e32 v77, 17, v96
	v_mad_u32 v76, v74, s1, 0x164
	s_movk_i32 s5, 0xd4
	s_mov_b32 s1, 0
.LBB35_183:                             ; =>This Inner Loop Header: Depth=1
	s_delay_alu instid0(VALU_DEP_2)
	v_dual_mov_b32 v78, s5 :: v_dual_add_nc_u32 v77, -1, v77
	s_add_co_i32 s5, s5, 4
	ds_load_b32 v79, v76
	ds_load_b32 v78, v78
	v_add_nc_u32_e32 v76, 4, v76
	v_cmp_eq_u32_e32 vcc_lo, 0, v77
	s_or_b32 s1, vcc_lo, s1
	s_wait_dscnt 0x0
	v_fmac_f32_e32 v75, v79, v78
	s_and_not1_b32 exec_lo, exec_lo, s1
	s_cbranch_execnz .LBB35_183
; %bb.184:
	s_or_b32 exec_lo, exec_lo, s1
.LBB35_185:
	s_delay_alu instid0(SALU_CYCLE_1)
	s_or_b32 exec_lo, exec_lo, s4
	v_mov_b32_e32 v76, 0
	ds_load_b32 v76, v76 offset:64
	s_wait_dscnt 0x0
	v_mul_f32_e32 v75, v75, v76
	ds_store_b32 v7, v75 offset:64
.LBB35_186:
	s_or_b32 exec_lo, exec_lo, s2
	ds_load_b32 v75, v7 offset:60
	v_cmp_lt_u32_e64 s1, 15, v96
	s_wait_dscnt 0x0
	ds_store_b32 v98, v75
	s_wait_dscnt 0x0
	s_barrier_signal -1
	s_barrier_wait -1
	s_and_saveexec_b32 s2, s1
	s_cbranch_execz .LBB35_196
; %bb.187:
	s_and_not1_b32 vcc_lo, exec_lo, s3
	s_cbranch_vccnz .LBB35_189
; %bb.188:
	ds_load_b32 v75, v99
	ds_load_b32 v76, v98
	s_wait_dscnt 0x0
	v_mul_f32_e32 v75, v75, v76
	s_cbranch_execz .LBB35_190
	s_branch .LBB35_191
.LBB35_189:
                                        ; implicit-def: $vgpr75
.LBB35_190:
	ds_load_b32 v75, v98
.LBB35_191:
	s_and_saveexec_b32 s4, s0
	s_cbranch_execz .LBB35_195
; %bb.192:
	s_movk_i32 s0, 0x90
	v_add_nc_u32_e32 v77, -16, v96
	v_mad_u32 v76, v74, s0, 0x160
	s_movk_i32 s5, 0xd0
	s_mov_b32 s0, 0
.LBB35_193:                             ; =>This Inner Loop Header: Depth=1
	s_delay_alu instid0(VALU_DEP_2)
	v_dual_mov_b32 v78, s5 :: v_dual_add_nc_u32 v77, -1, v77
	s_add_co_i32 s5, s5, 4
	ds_load_b32 v79, v76
	ds_load_b32 v78, v78
	v_add_nc_u32_e32 v76, 4, v76
	v_cmp_eq_u32_e32 vcc_lo, 0, v77
	s_or_b32 s0, vcc_lo, s0
	s_wait_dscnt 0x0
	v_fmac_f32_e32 v75, v79, v78
	s_and_not1_b32 exec_lo, exec_lo, s0
	s_cbranch_execnz .LBB35_193
; %bb.194:
	s_or_b32 exec_lo, exec_lo, s0
.LBB35_195:
	s_delay_alu instid0(SALU_CYCLE_1)
	s_or_b32 exec_lo, exec_lo, s4
	v_mov_b32_e32 v76, 0
	ds_load_b32 v76, v76 offset:60
	s_wait_dscnt 0x0
	v_mul_f32_e32 v75, v75, v76
	ds_store_b32 v7, v75 offset:60
.LBB35_196:
	s_or_b32 exec_lo, exec_lo, s2
	ds_load_b32 v75, v7 offset:56
	v_cmp_lt_u32_e64 s0, 14, v96
	s_wait_dscnt 0x0
	ds_store_b32 v98, v75
	s_wait_dscnt 0x0
	s_barrier_signal -1
	s_barrier_wait -1
	s_and_saveexec_b32 s2, s0
	s_cbranch_execz .LBB35_206
; %bb.197:
	s_and_not1_b32 vcc_lo, exec_lo, s3
	s_cbranch_vccnz .LBB35_199
; %bb.198:
	ds_load_b32 v75, v99
	ds_load_b32 v76, v98
	s_wait_dscnt 0x0
	v_mul_f32_e32 v75, v75, v76
	s_cbranch_execz .LBB35_200
	s_branch .LBB35_201
.LBB35_199:
                                        ; implicit-def: $vgpr75
.LBB35_200:
	ds_load_b32 v75, v98
.LBB35_201:
	s_and_saveexec_b32 s4, s1
	s_cbranch_execz .LBB35_205
; %bb.202:
	s_movk_i32 s1, 0x90
	v_add_nc_u32_e32 v77, -15, v96
	v_mad_u32 v76, v74, s1, 0x15c
	s_movk_i32 s5, 0xcc
	s_mov_b32 s1, 0
.LBB35_203:                             ; =>This Inner Loop Header: Depth=1
	s_delay_alu instid0(VALU_DEP_2)
	v_dual_mov_b32 v78, s5 :: v_dual_add_nc_u32 v77, -1, v77
	s_add_co_i32 s5, s5, 4
	ds_load_b32 v79, v76
	ds_load_b32 v78, v78
	v_add_nc_u32_e32 v76, 4, v76
	v_cmp_eq_u32_e32 vcc_lo, 0, v77
	s_or_b32 s1, vcc_lo, s1
	s_wait_dscnt 0x0
	v_fmac_f32_e32 v75, v79, v78
	s_and_not1_b32 exec_lo, exec_lo, s1
	s_cbranch_execnz .LBB35_203
; %bb.204:
	s_or_b32 exec_lo, exec_lo, s1
.LBB35_205:
	s_delay_alu instid0(SALU_CYCLE_1)
	s_or_b32 exec_lo, exec_lo, s4
	v_mov_b32_e32 v76, 0
	ds_load_b32 v76, v76 offset:56
	s_wait_dscnt 0x0
	v_mul_f32_e32 v75, v75, v76
	ds_store_b32 v7, v75 offset:56
.LBB35_206:
	;; [unrolled: 57-line block ×15, first 2 shown]
	s_or_b32 exec_lo, exec_lo, s1
	ds_load_b32 v75, v7
	s_mov_b32 s1, 0
	s_mov_b32 s2, exec_lo
	s_wait_dscnt 0x0
	ds_store_b32 v98, v75
	s_wait_dscnt 0x0
	s_barrier_signal -1
	s_barrier_wait -1
	v_cmpx_ne_u32_e32 0, v96
	s_cbranch_execz .LBB35_346
; %bb.337:
	s_and_not1_b32 vcc_lo, exec_lo, s3
	s_cbranch_vccnz .LBB35_339
; %bb.338:
	ds_load_b32 v75, v99
	ds_load_b32 v76, v98
	s_wait_dscnt 0x0
	v_mul_f32_e32 v75, v75, v76
	s_cbranch_execz .LBB35_340
	s_branch .LBB35_341
.LBB35_339:
                                        ; implicit-def: $vgpr75
.LBB35_340:
	ds_load_b32 v75, v98
.LBB35_341:
	s_and_saveexec_b32 s4, s0
	s_cbranch_execz .LBB35_345
; %bb.342:
	s_movk_i32 s0, 0x90
	v_add_nc_u32_e32 v76, -1, v96
	v_mad_u32 v74, v74, s0, 0x124
	s_movk_i32 s5, 0x94
	s_mov_b32 s0, 0
.LBB35_343:                             ; =>This Inner Loop Header: Depth=1
	s_delay_alu instid0(VALU_DEP_2)
	v_dual_mov_b32 v77, s5 :: v_dual_add_nc_u32 v76, -1, v76
	s_add_co_i32 s5, s5, 4
	ds_load_b32 v78, v74
	ds_load_b32 v77, v77
	v_add_nc_u32_e32 v74, 4, v74
	v_cmp_eq_u32_e32 vcc_lo, 0, v76
	s_or_b32 s0, vcc_lo, s0
	s_wait_dscnt 0x0
	v_fmac_f32_e32 v75, v78, v77
	s_and_not1_b32 exec_lo, exec_lo, s0
	s_cbranch_execnz .LBB35_343
; %bb.344:
	s_or_b32 exec_lo, exec_lo, s0
.LBB35_345:
	s_delay_alu instid0(SALU_CYCLE_1)
	s_or_b32 exec_lo, exec_lo, s4
	v_mov_b32_e32 v74, 0
	ds_load_b32 v74, v74
	s_wait_dscnt 0x0
	v_mul_f32_e32 v74, v75, v74
	ds_store_b32 v7, v74
.LBB35_346:
	s_or_b32 exec_lo, exec_lo, s2
.LBB35_347:
	v_lshl_add_u64 v[74:75], v[8:9], 2, s[6:7]
	v_lshl_add_u64 v[76:77], v[10:11], 2, s[6:7]
	;; [unrolled: 1-line block ×34, first 2 shown]
	s_and_b32 vcc_lo, exec_lo, s1
	s_cbranch_vccz .LBB35_689
; %bb.348:
	ds_load_b32 v52, v7 offset:4
	v_cmp_eq_u32_e64 s0, 0, v96
	s_wait_dscnt 0x0
	ds_store_b32 v98, v52
	s_wait_dscnt 0x0
	s_barrier_signal -1
	s_barrier_wait -1
	s_and_saveexec_b32 s1, s0
	s_cbranch_execz .LBB35_354
; %bb.349:
	s_and_b32 vcc_lo, exec_lo, s3
	s_cbranch_vccz .LBB35_351
; %bb.350:
	ds_load_b32 v52, v99
	ds_load_b32 v53, v98
	s_wait_dscnt 0x0
	v_mul_f32_e32 v52, v52, v53
	s_cbranch_execz .LBB35_352
	s_branch .LBB35_353
.LBB35_351:
                                        ; implicit-def: $vgpr52
.LBB35_352:
	ds_load_b32 v52, v98
.LBB35_353:
	v_mov_b32_e32 v53, 0
	ds_load_b32 v53, v53 offset:4
	s_wait_dscnt 0x0
	v_mul_f32_e32 v52, v52, v53
	ds_store_b32 v7, v52 offset:4
.LBB35_354:
	s_or_b32 exec_lo, exec_lo, s1
	ds_load_b32 v53, v7 offset:8
	v_cndmask_b32_e64 v52, 0, 1, s3
	s_mov_b32 s1, exec_lo
	s_wait_dscnt 0x0
	ds_store_b32 v98, v53
	s_wait_dscnt 0x0
	s_barrier_signal -1
	s_barrier_wait -1
	v_cmpx_gt_u32_e32 2, v96
	s_cbranch_execz .LBB35_360
; %bb.355:
	s_and_not1_b32 vcc_lo, exec_lo, s3
	s_cbranch_vccnz .LBB35_357
; %bb.356:
	ds_load_b32 v53, v99
	ds_load_b32 v54, v98
	s_wait_dscnt 0x0
	v_mul_f32_e32 v53, v53, v54
	s_cbranch_execz .LBB35_358
	s_branch .LBB35_359
.LBB35_357:
                                        ; implicit-def: $vgpr53
.LBB35_358:
	ds_load_b32 v53, v98
.LBB35_359:
	v_mov_b32_e32 v54, 0
	ds_load_b32 v56, v7 offset:4
	ds_load_2addr_b32 v[54:55], v54 offset0:2 offset1:37
	s_wait_dscnt 0x0
	v_fma_f32 v55, v56, v55, v53
	s_delay_alu instid0(VALU_DEP_1) | instskip(NEXT) | instid1(VALU_DEP_1)
	v_cndmask_b32_e64 v53, v53, v55, s0
	v_mul_f32_e32 v53, v53, v54
	ds_store_b32 v7, v53 offset:8
.LBB35_360:
	s_or_b32 exec_lo, exec_lo, s1
	ds_load_b32 v53, v7 offset:12
	s_mov_b32 s1, exec_lo
	s_wait_dscnt 0x0
	ds_store_b32 v98, v53
	s_wait_dscnt 0x0
	s_barrier_signal -1
	s_barrier_wait -1
	v_cmpx_gt_u32_e32 3, v96
	s_cbranch_execz .LBB35_368
; %bb.361:
	v_cmp_ne_u32_e32 vcc_lo, 1, v52
	s_cbranch_vccnz .LBB35_363
; %bb.362:
	ds_load_b32 v53, v99
	ds_load_b32 v54, v98
	s_wait_dscnt 0x0
	v_mul_f32_e32 v53, v53, v54
	s_cbranch_execz .LBB35_364
	s_branch .LBB35_365
.LBB35_363:
                                        ; implicit-def: $vgpr53
.LBB35_364:
	ds_load_b32 v53, v98
.LBB35_365:
	s_mov_b32 s2, exec_lo
	v_cmpx_ne_u32_e32 2, v96
	s_cbranch_execz .LBB35_367
; %bb.366:
	ds_load_b32 v54, v99 offset:4
	ds_load_b32 v55, v98 offset:4
	s_wait_dscnt 0x0
	v_dual_mov_b32 v56, 0 :: v_dual_fmac_f32 v53, v54, v55
	ds_load_b32 v57, v7 offset:8
	ds_load_b32 v56, v56 offset:152
	s_wait_dscnt 0x0
	v_fma_f32 v54, v57, v56, v53
	s_delay_alu instid0(VALU_DEP_1)
	v_cndmask_b32_e64 v53, v53, v54, s0
.LBB35_367:
	s_or_b32 exec_lo, exec_lo, s2
	v_mov_b32_e32 v54, 0
	ds_load_b32 v54, v54 offset:12
	s_wait_dscnt 0x0
	v_mul_f32_e32 v53, v53, v54
	ds_store_b32 v7, v53 offset:12
.LBB35_368:
	s_or_b32 exec_lo, exec_lo, s1
	ds_load_b32 v53, v7 offset:16
	s_mov_b32 s0, exec_lo
	s_wait_dscnt 0x0
	ds_store_b32 v98, v53
	s_wait_dscnt 0x0
	s_barrier_signal -1
	s_barrier_wait -1
	v_cmpx_gt_u32_e32 4, v96
	s_cbranch_execz .LBB35_378
; %bb.369:
	v_cmp_ne_u32_e32 vcc_lo, 1, v52
	s_cbranch_vccnz .LBB35_371
; %bb.370:
	ds_load_b32 v53, v99
	ds_load_b32 v54, v98
	s_wait_dscnt 0x0
	v_mul_f32_e32 v53, v53, v54
	s_cbranch_execz .LBB35_372
	s_branch .LBB35_373
.LBB35_371:
                                        ; implicit-def: $vgpr53
.LBB35_372:
	ds_load_b32 v53, v98
.LBB35_373:
	s_mov_b32 s1, exec_lo
	v_cmpx_ne_u32_e32 3, v96
	s_cbranch_execz .LBB35_377
; %bb.374:
	v_add_nc_u32_e32 v54, 0x94, v6
	v_add3_u32 v55, v97, v6, 0x124
	v_mov_b32_e32 v56, v96
	s_mov_b32 s2, 0
.LBB35_375:                             ; =>This Inner Loop Header: Depth=1
	ds_load_b32 v57, v55
	ds_load_b32 v58, v54
	v_dual_add_nc_u32 v56, 1, v56 :: v_dual_add_nc_u32 v54, 4, v54
	v_add_nc_u32_e32 v55, 4, v55
	s_delay_alu instid0(VALU_DEP_2)
	v_cmp_lt_u32_e32 vcc_lo, 2, v56
	s_or_b32 s2, vcc_lo, s2
	s_wait_dscnt 0x0
	v_fmac_f32_e32 v53, v57, v58
	s_and_not1_b32 exec_lo, exec_lo, s2
	s_cbranch_execnz .LBB35_375
; %bb.376:
	s_or_b32 exec_lo, exec_lo, s2
.LBB35_377:
	s_delay_alu instid0(SALU_CYCLE_1)
	s_or_b32 exec_lo, exec_lo, s1
	v_mov_b32_e32 v54, 0
	ds_load_b32 v54, v54 offset:16
	s_wait_dscnt 0x0
	v_mul_f32_e32 v53, v53, v54
	ds_store_b32 v7, v53 offset:16
.LBB35_378:
	s_or_b32 exec_lo, exec_lo, s0
	ds_load_b32 v53, v7 offset:20
	s_mov_b32 s0, exec_lo
	s_wait_dscnt 0x0
	ds_store_b32 v98, v53
	s_wait_dscnt 0x0
	s_barrier_signal -1
	s_barrier_wait -1
	v_cmpx_gt_u32_e32 5, v96
	s_cbranch_execz .LBB35_388
; %bb.379:
	v_cmp_ne_u32_e32 vcc_lo, 1, v52
	s_cbranch_vccnz .LBB35_381
; %bb.380:
	ds_load_b32 v53, v99
	ds_load_b32 v54, v98
	s_wait_dscnt 0x0
	v_mul_f32_e32 v53, v53, v54
	s_cbranch_execz .LBB35_382
	s_branch .LBB35_383
.LBB35_381:
                                        ; implicit-def: $vgpr53
.LBB35_382:
	ds_load_b32 v53, v98
.LBB35_383:
	s_mov_b32 s1, exec_lo
	v_cmpx_ne_u32_e32 4, v96
	s_cbranch_execz .LBB35_387
; %bb.384:
	v_add_nc_u32_e32 v54, 0x94, v6
	v_add3_u32 v55, v97, v6, 0x124
	v_mov_b32_e32 v56, v96
	s_mov_b32 s2, 0
.LBB35_385:                             ; =>This Inner Loop Header: Depth=1
	ds_load_b32 v57, v55
	ds_load_b32 v58, v54
	v_dual_add_nc_u32 v56, 1, v56 :: v_dual_add_nc_u32 v54, 4, v54
	v_add_nc_u32_e32 v55, 4, v55
	s_delay_alu instid0(VALU_DEP_2)
	v_cmp_lt_u32_e32 vcc_lo, 3, v56
	s_or_b32 s2, vcc_lo, s2
	s_wait_dscnt 0x0
	v_fmac_f32_e32 v53, v57, v58
	s_and_not1_b32 exec_lo, exec_lo, s2
	s_cbranch_execnz .LBB35_385
; %bb.386:
	s_or_b32 exec_lo, exec_lo, s2
.LBB35_387:
	s_delay_alu instid0(SALU_CYCLE_1)
	s_or_b32 exec_lo, exec_lo, s1
	v_mov_b32_e32 v54, 0
	ds_load_b32 v54, v54 offset:20
	s_wait_dscnt 0x0
	v_mul_f32_e32 v53, v53, v54
	ds_store_b32 v7, v53 offset:20
.LBB35_388:
	;; [unrolled: 56-line block ×30, first 2 shown]
	s_or_b32 exec_lo, exec_lo, s0
	ds_load_b32 v53, v7 offset:136
	v_cmp_gt_u32_e64 s0, 34, v96
	s_wait_dscnt 0x0
	ds_store_b32 v98, v53
	s_wait_dscnt 0x0
	s_barrier_signal -1
	s_barrier_wait -1
	s_and_saveexec_b32 s1, s0
	s_cbranch_execz .LBB35_678
; %bb.669:
	v_cmp_ne_u32_e32 vcc_lo, 1, v52
	s_cbranch_vccnz .LBB35_671
; %bb.670:
	ds_load_b32 v53, v99
	ds_load_b32 v54, v98
	s_wait_dscnt 0x0
	v_mul_f32_e32 v53, v53, v54
	s_cbranch_execz .LBB35_672
	s_branch .LBB35_673
.LBB35_671:
                                        ; implicit-def: $vgpr53
.LBB35_672:
	ds_load_b32 v53, v98
.LBB35_673:
	s_mov_b32 s2, exec_lo
	v_cmpx_ne_u32_e32 33, v96
	s_cbranch_execz .LBB35_677
; %bb.674:
	v_add_nc_u32_e32 v54, 0x94, v6
	v_add3_u32 v55, v97, v6, 0x124
	v_mov_b32_e32 v56, v96
	s_mov_b32 s3, 0
.LBB35_675:                             ; =>This Inner Loop Header: Depth=1
	ds_load_b32 v57, v55
	ds_load_b32 v58, v54
	v_dual_add_nc_u32 v56, 1, v56 :: v_dual_add_nc_u32 v54, 4, v54
	v_add_nc_u32_e32 v55, 4, v55
	s_delay_alu instid0(VALU_DEP_2)
	v_cmp_lt_u32_e32 vcc_lo, 32, v56
	s_or_b32 s3, vcc_lo, s3
	s_wait_dscnt 0x0
	v_fmac_f32_e32 v53, v57, v58
	s_and_not1_b32 exec_lo, exec_lo, s3
	s_cbranch_execnz .LBB35_675
; %bb.676:
	s_or_b32 exec_lo, exec_lo, s3
.LBB35_677:
	s_delay_alu instid0(SALU_CYCLE_1)
	s_or_b32 exec_lo, exec_lo, s2
	v_mov_b32_e32 v54, 0
	ds_load_b32 v54, v54 offset:136
	s_wait_dscnt 0x0
	v_mul_f32_e32 v53, v53, v54
	ds_store_b32 v7, v53 offset:136
.LBB35_678:
	s_or_b32 exec_lo, exec_lo, s1
	ds_load_b32 v53, v7 offset:140
	s_mov_b32 s1, exec_lo
	s_wait_dscnt 0x0
	ds_store_b32 v98, v53
	s_wait_dscnt 0x0
	s_barrier_signal -1
	s_barrier_wait -1
	v_cmpx_ne_u32_e32 35, v96
	s_cbranch_execz .LBB35_688
; %bb.679:
	v_cmp_ne_u32_e32 vcc_lo, 1, v52
	s_cbranch_vccnz .LBB35_681
; %bb.680:
	ds_load_b32 v52, v99
	ds_load_b32 v53, v98
	s_wait_dscnt 0x0
	v_mul_f32_e32 v52, v52, v53
	s_cbranch_execz .LBB35_682
	s_branch .LBB35_683
.LBB35_681:
                                        ; implicit-def: $vgpr52
.LBB35_682:
	ds_load_b32 v52, v98
.LBB35_683:
	s_and_saveexec_b32 s2, s0
	s_cbranch_execz .LBB35_687
; %bb.684:
	v_add_nc_u32_e32 v53, 0x94, v6
	v_add3_u32 v6, v97, v6, 0x124
	s_mov_b32 s0, 0
.LBB35_685:                             ; =>This Inner Loop Header: Depth=1
	ds_load_b32 v54, v6
	ds_load_b32 v55, v53
	v_dual_add_nc_u32 v96, 1, v96 :: v_dual_add_nc_u32 v53, 4, v53
	v_add_nc_u32_e32 v6, 4, v6
	s_delay_alu instid0(VALU_DEP_2)
	v_cmp_lt_u32_e32 vcc_lo, 33, v96
	s_or_b32 s0, vcc_lo, s0
	s_wait_dscnt 0x0
	v_fmac_f32_e32 v52, v54, v55
	s_and_not1_b32 exec_lo, exec_lo, s0
	s_cbranch_execnz .LBB35_685
; %bb.686:
	s_or_b32 exec_lo, exec_lo, s0
.LBB35_687:
	s_delay_alu instid0(SALU_CYCLE_1)
	s_or_b32 exec_lo, exec_lo, s2
	v_mov_b32_e32 v6, 0
	ds_load_b32 v6, v6 offset:140
	s_wait_dscnt 0x0
	v_mul_f32_e32 v6, v52, v6
	ds_store_b32 v7, v6 offset:140
.LBB35_688:
	s_or_b32 exec_lo, exec_lo, s1
.LBB35_689:
	ds_load_b128 v[52:55], v7
	ds_load_b128 v[56:59], v7 offset:16
	ds_load_b128 v[60:63], v7 offset:32
	;; [unrolled: 1-line block ×6, first 2 shown]
	s_wait_dscnt 0x6
	s_clause 0x1
	global_store_b32 v[2:3], v52, off
	global_store_b32 v[4:5], v53, off
	s_wait_xcnt 0x0
	ds_load_b128 v[2:5], v7 offset:112
	s_clause 0x1
	global_store_b32 v[74:75], v54, off
	global_store_b32 v[76:77], v55, off
	s_wait_dscnt 0x6
	s_clause 0x3
	global_store_b32 v[78:79], v56, off
	global_store_b32 v[80:81], v57, off
	global_store_b32 v[82:83], v58, off
	global_store_b32 v[84:85], v59, off
	s_wait_dscnt 0x5
	s_clause 0x3
	global_store_b32 v[86:87], v60, off
	global_store_b32 v[88:89], v61, off
	;; [unrolled: 1-line block ×4, first 2 shown]
	s_wait_dscnt 0x4
	global_store_b32 v[94:95], v64, off
	s_wait_xcnt 0x9
	ds_load_b128 v[52:55], v7 offset:128
	s_clause 0x2
	global_store_b32 v[8:9], v65, off
	global_store_b32 v[10:11], v66, off
	global_store_b32 v[12:13], v67, off
	s_wait_dscnt 0x4
	s_clause 0x3
	global_store_b32 v[14:15], v68, off
	global_store_b32 v[16:17], v69, off
	global_store_b32 v[18:19], v70, off
	global_store_b32 v[20:21], v71, off
	s_wait_dscnt 0x3
	s_clause 0x3
	global_store_b32 v[22:23], v96, off
	;; [unrolled: 6-line block ×5, first 2 shown]
	global_store_b32 v[46:47], v53, off
	global_store_b32 v[48:49], v54, off
	;; [unrolled: 1-line block ×3, first 2 shown]
.LBB35_690:
	s_sendmsg sendmsg(MSG_DEALLOC_VGPRS)
	s_endpgm
	.section	.rodata,"a",@progbits
	.p2align	6, 0x0
	.amdhsa_kernel _ZN9rocsolver6v33100L18trti2_kernel_smallILi36EfPfEEv13rocblas_fill_17rocblas_diagonal_T1_iil
		.amdhsa_group_segment_fixed_size 9504
		.amdhsa_private_segment_fixed_size 0
		.amdhsa_kernarg_size 32
		.amdhsa_user_sgpr_count 4
		.amdhsa_user_sgpr_dispatch_ptr 1
		.amdhsa_user_sgpr_queue_ptr 0
		.amdhsa_user_sgpr_kernarg_segment_ptr 1
		.amdhsa_user_sgpr_dispatch_id 0
		.amdhsa_user_sgpr_kernarg_preload_length 0
		.amdhsa_user_sgpr_kernarg_preload_offset 0
		.amdhsa_user_sgpr_private_segment_size 0
		.amdhsa_wavefront_size32 1
		.amdhsa_uses_dynamic_stack 0
		.amdhsa_enable_private_segment 0
		.amdhsa_system_sgpr_workgroup_id_x 1
		.amdhsa_system_sgpr_workgroup_id_y 0
		.amdhsa_system_sgpr_workgroup_id_z 0
		.amdhsa_system_sgpr_workgroup_info 0
		.amdhsa_system_vgpr_workitem_id 2
		.amdhsa_next_free_vgpr 110
		.amdhsa_next_free_sgpr 14
		.amdhsa_named_barrier_count 0
		.amdhsa_reserve_vcc 1
		.amdhsa_float_round_mode_32 0
		.amdhsa_float_round_mode_16_64 0
		.amdhsa_float_denorm_mode_32 3
		.amdhsa_float_denorm_mode_16_64 3
		.amdhsa_fp16_overflow 0
		.amdhsa_memory_ordered 1
		.amdhsa_forward_progress 1
		.amdhsa_inst_pref_size 144
		.amdhsa_round_robin_scheduling 0
		.amdhsa_exception_fp_ieee_invalid_op 0
		.amdhsa_exception_fp_denorm_src 0
		.amdhsa_exception_fp_ieee_div_zero 0
		.amdhsa_exception_fp_ieee_overflow 0
		.amdhsa_exception_fp_ieee_underflow 0
		.amdhsa_exception_fp_ieee_inexact 0
		.amdhsa_exception_int_div_zero 0
	.end_amdhsa_kernel
	.section	.text._ZN9rocsolver6v33100L18trti2_kernel_smallILi36EfPfEEv13rocblas_fill_17rocblas_diagonal_T1_iil,"axG",@progbits,_ZN9rocsolver6v33100L18trti2_kernel_smallILi36EfPfEEv13rocblas_fill_17rocblas_diagonal_T1_iil,comdat
.Lfunc_end35:
	.size	_ZN9rocsolver6v33100L18trti2_kernel_smallILi36EfPfEEv13rocblas_fill_17rocblas_diagonal_T1_iil, .Lfunc_end35-_ZN9rocsolver6v33100L18trti2_kernel_smallILi36EfPfEEv13rocblas_fill_17rocblas_diagonal_T1_iil
                                        ; -- End function
	.set _ZN9rocsolver6v33100L18trti2_kernel_smallILi36EfPfEEv13rocblas_fill_17rocblas_diagonal_T1_iil.num_vgpr, 110
	.set _ZN9rocsolver6v33100L18trti2_kernel_smallILi36EfPfEEv13rocblas_fill_17rocblas_diagonal_T1_iil.num_agpr, 0
	.set _ZN9rocsolver6v33100L18trti2_kernel_smallILi36EfPfEEv13rocblas_fill_17rocblas_diagonal_T1_iil.numbered_sgpr, 14
	.set _ZN9rocsolver6v33100L18trti2_kernel_smallILi36EfPfEEv13rocblas_fill_17rocblas_diagonal_T1_iil.num_named_barrier, 0
	.set _ZN9rocsolver6v33100L18trti2_kernel_smallILi36EfPfEEv13rocblas_fill_17rocblas_diagonal_T1_iil.private_seg_size, 0
	.set _ZN9rocsolver6v33100L18trti2_kernel_smallILi36EfPfEEv13rocblas_fill_17rocblas_diagonal_T1_iil.uses_vcc, 1
	.set _ZN9rocsolver6v33100L18trti2_kernel_smallILi36EfPfEEv13rocblas_fill_17rocblas_diagonal_T1_iil.uses_flat_scratch, 0
	.set _ZN9rocsolver6v33100L18trti2_kernel_smallILi36EfPfEEv13rocblas_fill_17rocblas_diagonal_T1_iil.has_dyn_sized_stack, 0
	.set _ZN9rocsolver6v33100L18trti2_kernel_smallILi36EfPfEEv13rocblas_fill_17rocblas_diagonal_T1_iil.has_recursion, 0
	.set _ZN9rocsolver6v33100L18trti2_kernel_smallILi36EfPfEEv13rocblas_fill_17rocblas_diagonal_T1_iil.has_indirect_call, 0
	.section	.AMDGPU.csdata,"",@progbits
; Kernel info:
; codeLenInByte = 18372
; TotalNumSgprs: 16
; NumVgprs: 110
; ScratchSize: 0
; MemoryBound: 0
; FloatMode: 240
; IeeeMode: 1
; LDSByteSize: 9504 bytes/workgroup (compile time only)
; SGPRBlocks: 0
; VGPRBlocks: 6
; NumSGPRsForWavesPerEU: 16
; NumVGPRsForWavesPerEU: 110
; NamedBarCnt: 0
; Occupancy: 9
; WaveLimiterHint : 0
; COMPUTE_PGM_RSRC2:SCRATCH_EN: 0
; COMPUTE_PGM_RSRC2:USER_SGPR: 4
; COMPUTE_PGM_RSRC2:TRAP_HANDLER: 0
; COMPUTE_PGM_RSRC2:TGID_X_EN: 1
; COMPUTE_PGM_RSRC2:TGID_Y_EN: 0
; COMPUTE_PGM_RSRC2:TGID_Z_EN: 0
; COMPUTE_PGM_RSRC2:TIDIG_COMP_CNT: 2
	.section	.text._ZN9rocsolver6v33100L18trti2_kernel_smallILi37EfPfEEv13rocblas_fill_17rocblas_diagonal_T1_iil,"axG",@progbits,_ZN9rocsolver6v33100L18trti2_kernel_smallILi37EfPfEEv13rocblas_fill_17rocblas_diagonal_T1_iil,comdat
	.globl	_ZN9rocsolver6v33100L18trti2_kernel_smallILi37EfPfEEv13rocblas_fill_17rocblas_diagonal_T1_iil ; -- Begin function _ZN9rocsolver6v33100L18trti2_kernel_smallILi37EfPfEEv13rocblas_fill_17rocblas_diagonal_T1_iil
	.p2align	8
	.type	_ZN9rocsolver6v33100L18trti2_kernel_smallILi37EfPfEEv13rocblas_fill_17rocblas_diagonal_T1_iil,@function
_ZN9rocsolver6v33100L18trti2_kernel_smallILi37EfPfEEv13rocblas_fill_17rocblas_diagonal_T1_iil: ; @_ZN9rocsolver6v33100L18trti2_kernel_smallILi37EfPfEEv13rocblas_fill_17rocblas_diagonal_T1_iil
; %bb.0:
	v_and_b32_e32 v106, 0x3ff, v0
	s_mov_b32 s4, exec_lo
	s_delay_alu instid0(VALU_DEP_1)
	v_cmpx_gt_u32_e32 37, v106
	s_cbranch_execz .LBB36_710
; %bb.1:
	s_load_b64 s[12:13], s[0:1], 0x4
	s_load_b256 s[4:11], s[2:3], 0x0
	s_wait_xcnt 0x0
	s_bfe_u32 s0, ttmp6, 0x4000c
	s_and_b32 s1, ttmp6, 15
	s_add_co_i32 s0, s0, 1
	s_getreg_b32 s2, hwreg(HW_REG_IB_STS2, 6, 4)
	s_mul_i32 s0, ttmp9, s0
	v_dual_mov_b32 v7, 0 :: v_dual_lshlrev_b32 v6, 2, v106
	s_add_co_i32 s0, s1, s0
	v_bfe_u32 v1, v0, 10, 10
	v_mov_b32_e32 v77, -1.0
	s_wait_kmcnt 0x0
	s_lshr_b32 s12, s12, 16
	v_add3_u32 v8, s9, s9, v106
	s_ashr_i32 s1, s8, 31
	s_cmp_eq_u32 s2, 0
	s_mul_i32 s12, s12, s13
	s_cselect_b32 s2, ttmp9, s0
	v_add_nc_u32_e32 v10, s9, v8
	s_ashr_i32 s3, s2, 31
	s_mov_b32 s0, s8
	s_mul_u64 s[2:3], s[10:11], s[2:3]
	s_lshl_b64 s[0:1], s[0:1], 2
	v_add_nc_u32_e32 v12, s9, v10
	s_lshl_b64 s[2:3], s[2:3], 2
	v_mul_u32_u24_e32 v1, s13, v1
	s_add_nc_u64 s[2:3], s[6:7], s[2:3]
	v_mul_u32_u24_e32 v9, s12, v106
	v_add_nc_u32_e32 v14, s9, v12
	s_add_nc_u64 s[2:3], s[2:3], s[0:1]
	s_mov_b32 s0, s9
	v_add_nc_u64_e32 v[2:3], s[2:3], v[6:7]
	s_ashr_i32 s1, s9, 31
	v_add_nc_u32_e32 v16, s9, v14
	v_bfe_u32 v7, v0, 20, 10
	s_cmp_lg_u32 s5, 0x84
	v_ashrrev_i32_e32 v11, 31, v10
	s_cselect_b32 s6, -1, 0
	v_lshl_add_u64 v[4:5], s[0:1], 2, v[2:3]
	v_add_nc_u32_e32 v18, s9, v16
	s_clause 0x3
	global_load_b32 v78, v106, s[2:3] scale_offset
	global_load_b32 v79, v[4:5], off
	global_load_b32 v80, v8, s[2:3] scale_offset
	global_load_b32 v81, v10, s[2:3] scale_offset
	v_add3_u32 v76, v9, v1, v7
	v_add_nc_u32_e32 v20, s9, v18
	s_clause 0x3
	global_load_b32 v82, v12, s[2:3] scale_offset
	global_load_b32 v83, v14, s[2:3] scale_offset
	;; [unrolled: 1-line block ×4, first 2 shown]
	v_dual_ashrrev_i32 v9, 31, v8 :: v_dual_ashrrev_i32 v19, 31, v18
	v_mul_lo_u32 v107, 0x94, v76
	v_add_nc_u32_e32 v22, s9, v20
	s_cmp_eq_u32 s5, 0x84
	v_ashrrev_i32_e32 v15, 31, v14
	s_delay_alu instid0(VALU_DEP_2) | instskip(NEXT) | instid1(VALU_DEP_1)
	v_add_nc_u32_e32 v24, s9, v22
	v_add_nc_u32_e32 v26, s9, v24
	;; [unrolled: 1-line block ×3, first 2 shown]
	s_delay_alu instid0(VALU_DEP_2) | instskip(NEXT) | instid1(VALU_DEP_1)
	v_dual_add_nc_u32 v28, s9, v26 :: v_dual_ashrrev_i32 v13, 31, v12
	v_dual_ashrrev_i32 v23, 31, v22 :: v_dual_add_nc_u32 v30, s9, v28
	s_delay_alu instid0(VALU_DEP_1)
	v_dual_ashrrev_i32 v21, 31, v20 :: v_dual_ashrrev_i32 v31, 31, v30
	v_add_nc_u32_e32 v32, s9, v30
	s_clause 0x3
	global_load_b32 v86, v20, s[2:3] scale_offset
	global_load_b32 v87, v22, s[2:3] scale_offset
	global_load_b32 v88, v24, s[2:3] scale_offset
	global_load_b32 v89, v26, s[2:3] scale_offset
	v_dual_ashrrev_i32 v17, 31, v16 :: v_dual_ashrrev_i32 v27, 31, v26
	v_add_nc_u32_e32 v34, s9, v32
	s_delay_alu instid0(VALU_DEP_1) | instskip(NEXT) | instid1(VALU_DEP_1)
	v_add_nc_u32_e32 v36, s9, v34
	v_add_nc_u32_e32 v38, s9, v36
	s_delay_alu instid0(VALU_DEP_1)
	v_add_nc_u32_e32 v40, s9, v38
	s_clause 0x3
	global_load_b32 v90, v28, s[2:3] scale_offset
	global_load_b32 v91, v30, s[2:3] scale_offset
	global_load_b32 v92, v32, s[2:3] scale_offset
	global_load_b32 v93, v34, s[2:3] scale_offset
	v_dual_ashrrev_i32 v25, 31, v24 :: v_dual_ashrrev_i32 v35, 31, v34
	v_add_nc_u32_e32 v42, s9, v40
	s_delay_alu instid0(VALU_DEP_1) | instskip(SKIP_1) | instid1(VALU_DEP_1)
	v_dual_ashrrev_i32 v33, 31, v32 :: v_dual_ashrrev_i32 v43, 31, v42
	v_dual_add_nc_u32 v44, s9, v42 :: v_dual_ashrrev_i32 v29, 31, v28
	v_dual_ashrrev_i32 v39, 31, v38 :: v_dual_add_nc_u32 v46, s9, v44
	s_delay_alu instid0(VALU_DEP_1) | instskip(NEXT) | instid1(VALU_DEP_1)
	v_add_nc_u32_e32 v48, s9, v46
	v_add_nc_u32_e32 v50, s9, v48
	s_delay_alu instid0(VALU_DEP_1) | instskip(NEXT) | instid1(VALU_DEP_1)
	v_dual_add_nc_u32 v52, s9, v50 :: v_dual_ashrrev_i32 v37, 31, v36
	v_dual_ashrrev_i32 v47, 31, v46 :: v_dual_add_nc_u32 v54, s9, v52
	s_delay_alu instid0(VALU_DEP_1)
	v_dual_ashrrev_i32 v45, 31, v44 :: v_dual_ashrrev_i32 v55, 31, v54
	v_add_nc_u32_e32 v56, s9, v54
	s_clause 0x7
	global_load_b32 v94, v36, s[2:3] scale_offset
	global_load_b32 v95, v38, s[2:3] scale_offset
	global_load_b32 v96, v40, s[2:3] scale_offset
	global_load_b32 v97, v42, s[2:3] scale_offset
	global_load_b32 v98, v44, s[2:3] scale_offset
	global_load_b32 v99, v46, s[2:3] scale_offset
	global_load_b32 v100, v48, s[2:3] scale_offset
	global_load_b32 v101, v50, s[2:3] scale_offset
	v_dual_ashrrev_i32 v41, 31, v40 :: v_dual_ashrrev_i32 v51, 31, v50
	v_add_nc_u32_e32 v58, s9, v56
	s_delay_alu instid0(VALU_DEP_1) | instskip(NEXT) | instid1(VALU_DEP_1)
	v_add_nc_u32_e32 v60, s9, v58
	v_add_nc_u32_e32 v62, s9, v60
	s_delay_alu instid0(VALU_DEP_1) | instskip(NEXT) | instid1(VALU_DEP_1)
	v_dual_add_nc_u32 v64, s9, v62 :: v_dual_ashrrev_i32 v49, 31, v48
	v_dual_ashrrev_i32 v59, 31, v58 :: v_dual_add_nc_u32 v66, s9, v64
	s_delay_alu instid0(VALU_DEP_1) | instskip(SKIP_1) | instid1(VALU_DEP_1)
	v_dual_ashrrev_i32 v57, 31, v56 :: v_dual_ashrrev_i32 v67, 31, v66
	v_dual_add_nc_u32 v0, s9, v66 :: v_dual_ashrrev_i32 v53, 31, v52
	v_dual_ashrrev_i32 v63, 31, v62 :: v_dual_add_nc_u32 v68, s9, v0
	v_ashrrev_i32_e32 v1, 31, v0
	s_delay_alu instid0(VALU_DEP_2) | instskip(NEXT) | instid1(VALU_DEP_1)
	v_add_nc_u32_e32 v70, s9, v68
	v_dual_ashrrev_i32 v61, 31, v60 :: v_dual_ashrrev_i32 v71, 31, v70
	v_dual_add_nc_u32 v72, s9, v70 :: v_dual_ashrrev_i32 v69, 31, v68
	s_delay_alu instid0(VALU_DEP_1) | instskip(SKIP_1) | instid1(VALU_DEP_2)
	v_add_nc_u32_e32 v74, s9, v72
	v_ashrrev_i32_e32 v65, 31, v64
	v_dual_ashrrev_i32 v73, 31, v72 :: v_dual_ashrrev_i32 v75, 31, v74
	s_wait_loadcnt 0x14
	ds_store_b128 v107, v[78:81] offset:320
	s_clause 0x7
	global_load_b32 v78, v52, s[2:3] scale_offset
	global_load_b32 v79, v54, s[2:3] scale_offset
	global_load_b32 v80, v56, s[2:3] scale_offset
	global_load_b32 v81, v58, s[2:3] scale_offset
	global_load_b32 v102, v60, s[2:3] scale_offset
	global_load_b32 v103, v62, s[2:3] scale_offset
	global_load_b32 v104, v64, s[2:3] scale_offset
	global_load_b32 v105, v66, s[2:3] scale_offset
	s_wait_loadcnt 0x18
	ds_store_b128 v107, v[82:85] offset:336
	s_clause 0x4
	global_load_b32 v82, v0, s[2:3] scale_offset
	global_load_b32 v83, v68, s[2:3] scale_offset
	;; [unrolled: 1-line block ×5, first 2 shown]
	s_wait_loadcnt 0x19
	ds_store_b128 v107, v[86:89] offset:352
	s_wait_loadcnt 0x15
	ds_store_b128 v107, v[90:93] offset:368
	;; [unrolled: 2-line block ×7, first 2 shown]
	s_wait_loadcnt 0x0
	ds_store_b32 v107, v108 offset:464
	s_cbranch_scc1 .LBB36_3
; %bb.2:
	v_lshl_add_u32 v78, v106, 2, v7
	ds_load_b32 v77, v78
	s_wait_dscnt 0x0
	v_div_scale_f32 v79, null, v77, v77, 1.0
	s_delay_alu instid0(VALU_DEP_1) | instskip(SKIP_1) | instid1(TRANS32_DEP_1)
	v_rcp_f32_e32 v80, v79
	v_nop
	v_fma_f32 v81, -v79, v80, 1.0
	s_delay_alu instid0(VALU_DEP_1) | instskip(SKIP_1) | instid1(VALU_DEP_1)
	v_fmac_f32_e32 v80, v81, v80
	v_div_scale_f32 v81, vcc_lo, 1.0, v77, 1.0
	v_mul_f32_e32 v82, v81, v80
	s_delay_alu instid0(VALU_DEP_1) | instskip(NEXT) | instid1(VALU_DEP_1)
	v_fma_f32 v83, -v79, v82, v81
	v_fmac_f32_e32 v82, v83, v80
	s_delay_alu instid0(VALU_DEP_1) | instskip(NEXT) | instid1(VALU_DEP_1)
	v_fma_f32 v79, -v79, v82, v81
	v_div_fmas_f32 v79, v79, v80, v82
	s_delay_alu instid0(VALU_DEP_1) | instskip(NEXT) | instid1(VALU_DEP_1)
	v_div_fixup_f32 v79, v79, v77, 1.0
	v_xor_b32_e32 v77, 0x80000000, v79
	ds_store_b32 v78, v79
.LBB36_3:
	v_add_nc_u32_e32 v108, 0xa0, v6
	v_add_nc_u32_e32 v109, v7, v6
	s_cmp_eq_u32 s4, 0x79
	s_mov_b32 s1, -1
	ds_store_b32 v6, v77
	s_cbranch_scc1 .LBB36_357
; %bb.4:
	ds_load_b32 v77, v7 offset:140
	v_cmp_eq_u32_e64 s0, 36, v106
	s_wait_dscnt 0x0
	ds_store_b32 v108, v77
	s_wait_dscnt 0x0
	s_barrier_signal -1
	s_barrier_wait -1
	s_and_saveexec_b32 s1, s0
	s_cbranch_execz .LBB36_10
; %bb.5:
	s_and_b32 vcc_lo, exec_lo, s6
	s_cbranch_vccz .LBB36_7
; %bb.6:
	ds_load_b32 v77, v109
	ds_load_b32 v78, v108
	s_wait_dscnt 0x0
	v_mul_f32_e32 v77, v77, v78
	s_cbranch_execz .LBB36_8
	s_branch .LBB36_9
.LBB36_7:
                                        ; implicit-def: $vgpr77
.LBB36_8:
	ds_load_b32 v77, v108
.LBB36_9:
	v_mov_b32_e32 v78, 0
	ds_load_b32 v78, v78 offset:140
	s_wait_dscnt 0x0
	v_mul_f32_e32 v77, v77, v78
	ds_store_b32 v7, v77 offset:140
.LBB36_10:
	s_or_b32 exec_lo, exec_lo, s1
	ds_load_b32 v77, v7 offset:136
	v_cmp_lt_u32_e64 s1, 34, v106
	s_wait_dscnt 0x0
	ds_store_b32 v108, v77
	s_wait_dscnt 0x0
	s_barrier_signal -1
	s_barrier_wait -1
	s_and_saveexec_b32 s4, s1
	s_cbranch_execz .LBB36_16
; %bb.11:
	s_and_not1_b32 vcc_lo, exec_lo, s6
	s_cbranch_vccnz .LBB36_13
; %bb.12:
	ds_load_b32 v77, v109
	ds_load_b32 v78, v108
	s_wait_dscnt 0x0
	v_mul_f32_e32 v77, v77, v78
	s_cbranch_execz .LBB36_14
	s_branch .LBB36_15
.LBB36_13:
                                        ; implicit-def: $vgpr77
.LBB36_14:
	ds_load_b32 v77, v108
.LBB36_15:
	v_mov_b32_e32 v78, 0
	ds_load_b32 v80, v7 offset:140
	ds_load_2addr_b32 v[78:79], v78 offset0:34 offset1:75
	s_wait_dscnt 0x0
	v_fma_f32 v79, v80, v79, v77
	s_delay_alu instid0(VALU_DEP_1) | instskip(NEXT) | instid1(VALU_DEP_1)
	v_cndmask_b32_e64 v77, v77, v79, s0
	v_mul_f32_e32 v77, v77, v78
	ds_store_b32 v7, v77 offset:136
.LBB36_16:
	s_or_b32 exec_lo, exec_lo, s4
	ds_load_b32 v77, v7 offset:132
	v_cmp_lt_u32_e64 s0, 33, v106
	s_wait_dscnt 0x0
	ds_store_b32 v108, v77
	s_wait_dscnt 0x0
	s_barrier_signal -1
	s_barrier_wait -1
	s_and_saveexec_b32 s4, s0
	s_cbranch_execz .LBB36_26
; %bb.17:
	s_and_not1_b32 vcc_lo, exec_lo, s6
	s_cbranch_vccnz .LBB36_19
; %bb.18:
	ds_load_b32 v77, v109
	ds_load_b32 v78, v108
	s_wait_dscnt 0x0
	v_mul_f32_e32 v77, v77, v78
	s_cbranch_execz .LBB36_20
	s_branch .LBB36_21
.LBB36_19:
                                        ; implicit-def: $vgpr77
.LBB36_20:
	ds_load_b32 v77, v108
.LBB36_21:
	s_and_saveexec_b32 s5, s1
	s_cbranch_execz .LBB36_25
; %bb.22:
	s_movk_i32 s1, 0x94
	v_subrev_nc_u32_e32 v79, 34, v106
	v_mad_u32 v78, v76, s1, 0x1c8
	s_movk_i32 s7, 0x128
	s_mov_b32 s1, 0
.LBB36_23:                              ; =>This Inner Loop Header: Depth=1
	s_delay_alu instid0(VALU_DEP_2)
	v_dual_mov_b32 v80, s7 :: v_dual_add_nc_u32 v79, -1, v79
	s_add_co_i32 s7, s7, 4
	ds_load_b32 v81, v78
	ds_load_b32 v80, v80
	v_add_nc_u32_e32 v78, 4, v78
	v_cmp_eq_u32_e32 vcc_lo, 0, v79
	s_or_b32 s1, vcc_lo, s1
	s_wait_dscnt 0x0
	v_fmac_f32_e32 v77, v81, v80
	s_and_not1_b32 exec_lo, exec_lo, s1
	s_cbranch_execnz .LBB36_23
; %bb.24:
	s_or_b32 exec_lo, exec_lo, s1
.LBB36_25:
	s_delay_alu instid0(SALU_CYCLE_1)
	s_or_b32 exec_lo, exec_lo, s5
	v_mov_b32_e32 v78, 0
	ds_load_b32 v78, v78 offset:132
	s_wait_dscnt 0x0
	v_mul_f32_e32 v77, v77, v78
	ds_store_b32 v7, v77 offset:132
.LBB36_26:
	s_or_b32 exec_lo, exec_lo, s4
	ds_load_b32 v77, v7 offset:128
	v_cmp_lt_u32_e64 s1, 32, v106
	s_wait_dscnt 0x0
	ds_store_b32 v108, v77
	s_wait_dscnt 0x0
	s_barrier_signal -1
	s_barrier_wait -1
	s_and_saveexec_b32 s4, s1
	s_cbranch_execz .LBB36_36
; %bb.27:
	s_and_not1_b32 vcc_lo, exec_lo, s6
	s_cbranch_vccnz .LBB36_29
; %bb.28:
	ds_load_b32 v77, v109
	ds_load_b32 v78, v108
	s_wait_dscnt 0x0
	v_mul_f32_e32 v77, v77, v78
	s_cbranch_execz .LBB36_30
	s_branch .LBB36_31
.LBB36_29:
                                        ; implicit-def: $vgpr77
.LBB36_30:
	ds_load_b32 v77, v108
.LBB36_31:
	s_and_saveexec_b32 s5, s0
	s_cbranch_execz .LBB36_35
; %bb.32:
	s_movk_i32 s0, 0x94
	v_subrev_nc_u32_e32 v79, 33, v106
	v_mad_u32 v78, v76, s0, 0x1c4
	s_movk_i32 s7, 0x124
	s_mov_b32 s0, 0
.LBB36_33:                              ; =>This Inner Loop Header: Depth=1
	s_delay_alu instid0(VALU_DEP_2)
	v_dual_mov_b32 v80, s7 :: v_dual_add_nc_u32 v79, -1, v79
	s_add_co_i32 s7, s7, 4
	ds_load_b32 v81, v78
	ds_load_b32 v80, v80
	v_add_nc_u32_e32 v78, 4, v78
	v_cmp_eq_u32_e32 vcc_lo, 0, v79
	s_or_b32 s0, vcc_lo, s0
	s_wait_dscnt 0x0
	v_fmac_f32_e32 v77, v81, v80
	s_and_not1_b32 exec_lo, exec_lo, s0
	s_cbranch_execnz .LBB36_33
; %bb.34:
	s_or_b32 exec_lo, exec_lo, s0
.LBB36_35:
	s_delay_alu instid0(SALU_CYCLE_1)
	s_or_b32 exec_lo, exec_lo, s5
	v_mov_b32_e32 v78, 0
	ds_load_b32 v78, v78 offset:128
	s_wait_dscnt 0x0
	v_mul_f32_e32 v77, v77, v78
	ds_store_b32 v7, v77 offset:128
.LBB36_36:
	;; [unrolled: 57-line block ×8, first 2 shown]
	s_or_b32 exec_lo, exec_lo, s4
	ds_load_b32 v77, v7 offset:100
	v_cmp_lt_u32_e64 s0, 25, v106
	s_wait_dscnt 0x0
	ds_store_b32 v108, v77
	s_wait_dscnt 0x0
	s_barrier_signal -1
	s_barrier_wait -1
	s_and_saveexec_b32 s4, s0
	s_cbranch_execz .LBB36_106
; %bb.97:
	s_and_not1_b32 vcc_lo, exec_lo, s6
	s_cbranch_vccnz .LBB36_99
; %bb.98:
	ds_load_b32 v77, v109
	ds_load_b32 v78, v108
	s_wait_dscnt 0x0
	v_mul_f32_e32 v77, v77, v78
	s_cbranch_execz .LBB36_100
	s_branch .LBB36_101
.LBB36_99:
                                        ; implicit-def: $vgpr77
.LBB36_100:
	ds_load_b32 v77, v108
.LBB36_101:
	s_and_saveexec_b32 s5, s1
	s_cbranch_execz .LBB36_105
; %bb.102:
	s_movk_i32 s1, 0x94
	v_subrev_nc_u32_e32 v79, 26, v106
	v_mad_u32 v78, v76, s1, 0x1a8
	s_movk_i32 s7, 0x108
	s_mov_b32 s1, 0
.LBB36_103:                             ; =>This Inner Loop Header: Depth=1
	s_delay_alu instid0(VALU_DEP_2)
	v_dual_mov_b32 v80, s7 :: v_dual_add_nc_u32 v79, -1, v79
	s_add_co_i32 s7, s7, 4
	ds_load_b32 v81, v78
	ds_load_b32 v80, v80
	v_add_nc_u32_e32 v78, 4, v78
	v_cmp_eq_u32_e32 vcc_lo, 0, v79
	s_or_b32 s1, vcc_lo, s1
	s_wait_dscnt 0x0
	v_fmac_f32_e32 v77, v81, v80
	s_and_not1_b32 exec_lo, exec_lo, s1
	s_cbranch_execnz .LBB36_103
; %bb.104:
	s_or_b32 exec_lo, exec_lo, s1
.LBB36_105:
	s_delay_alu instid0(SALU_CYCLE_1)
	s_or_b32 exec_lo, exec_lo, s5
	v_mov_b32_e32 v78, 0
	ds_load_b32 v78, v78 offset:100
	s_wait_dscnt 0x0
	v_mul_f32_e32 v77, v77, v78
	ds_store_b32 v7, v77 offset:100
.LBB36_106:
	s_or_b32 exec_lo, exec_lo, s4
	ds_load_b32 v77, v7 offset:96
	v_cmp_lt_u32_e64 s1, 24, v106
	s_wait_dscnt 0x0
	ds_store_b32 v108, v77
	s_wait_dscnt 0x0
	s_barrier_signal -1
	s_barrier_wait -1
	s_and_saveexec_b32 s4, s1
	s_cbranch_execz .LBB36_116
; %bb.107:
	s_and_not1_b32 vcc_lo, exec_lo, s6
	s_cbranch_vccnz .LBB36_109
; %bb.108:
	ds_load_b32 v77, v109
	ds_load_b32 v78, v108
	s_wait_dscnt 0x0
	v_mul_f32_e32 v77, v77, v78
	s_cbranch_execz .LBB36_110
	s_branch .LBB36_111
.LBB36_109:
                                        ; implicit-def: $vgpr77
.LBB36_110:
	ds_load_b32 v77, v108
.LBB36_111:
	s_and_saveexec_b32 s5, s0
	s_cbranch_execz .LBB36_115
; %bb.112:
	s_movk_i32 s0, 0x94
	v_subrev_nc_u32_e32 v79, 25, v106
	v_mad_u32 v78, v76, s0, 0x1a4
	s_movk_i32 s7, 0x104
	s_mov_b32 s0, 0
.LBB36_113:                             ; =>This Inner Loop Header: Depth=1
	s_delay_alu instid0(VALU_DEP_2)
	v_dual_mov_b32 v80, s7 :: v_dual_add_nc_u32 v79, -1, v79
	s_add_co_i32 s7, s7, 4
	ds_load_b32 v81, v78
	ds_load_b32 v80, v80
	v_add_nc_u32_e32 v78, 4, v78
	v_cmp_eq_u32_e32 vcc_lo, 0, v79
	s_or_b32 s0, vcc_lo, s0
	s_wait_dscnt 0x0
	v_fmac_f32_e32 v77, v81, v80
	s_and_not1_b32 exec_lo, exec_lo, s0
	s_cbranch_execnz .LBB36_113
; %bb.114:
	s_or_b32 exec_lo, exec_lo, s0
.LBB36_115:
	s_delay_alu instid0(SALU_CYCLE_1)
	s_or_b32 exec_lo, exec_lo, s5
	v_mov_b32_e32 v78, 0
	ds_load_b32 v78, v78 offset:96
	s_wait_dscnt 0x0
	v_mul_f32_e32 v77, v77, v78
	ds_store_b32 v7, v77 offset:96
.LBB36_116:
	s_or_b32 exec_lo, exec_lo, s4
	ds_load_b32 v77, v7 offset:92
	v_cmp_lt_u32_e64 s0, 23, v106
	s_wait_dscnt 0x0
	ds_store_b32 v108, v77
	s_wait_dscnt 0x0
	s_barrier_signal -1
	s_barrier_wait -1
	s_and_saveexec_b32 s4, s0
	s_cbranch_execz .LBB36_126
; %bb.117:
	s_and_not1_b32 vcc_lo, exec_lo, s6
	s_cbranch_vccnz .LBB36_119
; %bb.118:
	ds_load_b32 v77, v109
	ds_load_b32 v78, v108
	s_wait_dscnt 0x0
	v_mul_f32_e32 v77, v77, v78
	s_cbranch_execz .LBB36_120
	s_branch .LBB36_121
.LBB36_119:
                                        ; implicit-def: $vgpr77
.LBB36_120:
	ds_load_b32 v77, v108
.LBB36_121:
	s_and_saveexec_b32 s5, s1
	s_cbranch_execz .LBB36_125
; %bb.122:
	s_movk_i32 s1, 0x94
	v_subrev_nc_u32_e32 v79, 24, v106
	v_mad_u32 v78, v76, s1, 0x1a0
	s_movk_i32 s7, 0x100
	s_mov_b32 s1, 0
.LBB36_123:                             ; =>This Inner Loop Header: Depth=1
	s_delay_alu instid0(VALU_DEP_2)
	v_dual_mov_b32 v80, s7 :: v_dual_add_nc_u32 v79, -1, v79
	s_add_co_i32 s7, s7, 4
	ds_load_b32 v81, v78
	ds_load_b32 v80, v80
	v_add_nc_u32_e32 v78, 4, v78
	v_cmp_eq_u32_e32 vcc_lo, 0, v79
	s_or_b32 s1, vcc_lo, s1
	s_wait_dscnt 0x0
	v_fmac_f32_e32 v77, v81, v80
	s_and_not1_b32 exec_lo, exec_lo, s1
	s_cbranch_execnz .LBB36_123
; %bb.124:
	s_or_b32 exec_lo, exec_lo, s1
.LBB36_125:
	s_delay_alu instid0(SALU_CYCLE_1)
	s_or_b32 exec_lo, exec_lo, s5
	v_mov_b32_e32 v78, 0
	ds_load_b32 v78, v78 offset:92
	s_wait_dscnt 0x0
	v_mul_f32_e32 v77, v77, v78
	ds_store_b32 v7, v77 offset:92
.LBB36_126:
	s_or_b32 exec_lo, exec_lo, s4
	ds_load_b32 v77, v7 offset:88
	v_cmp_lt_u32_e64 s1, 22, v106
	s_wait_dscnt 0x0
	ds_store_b32 v108, v77
	s_wait_dscnt 0x0
	s_barrier_signal -1
	s_barrier_wait -1
	s_and_saveexec_b32 s4, s1
	s_cbranch_execz .LBB36_136
; %bb.127:
	s_and_not1_b32 vcc_lo, exec_lo, s6
	s_cbranch_vccnz .LBB36_129
; %bb.128:
	ds_load_b32 v77, v109
	ds_load_b32 v78, v108
	s_wait_dscnt 0x0
	v_mul_f32_e32 v77, v77, v78
	s_cbranch_execz .LBB36_130
	s_branch .LBB36_131
.LBB36_129:
                                        ; implicit-def: $vgpr77
.LBB36_130:
	ds_load_b32 v77, v108
.LBB36_131:
	s_and_saveexec_b32 s5, s0
	s_cbranch_execz .LBB36_135
; %bb.132:
	s_movk_i32 s0, 0x94
	v_subrev_nc_u32_e32 v79, 23, v106
	v_mad_u32 v78, v76, s0, 0x19c
	s_movk_i32 s7, 0xfc
	s_mov_b32 s0, 0
.LBB36_133:                             ; =>This Inner Loop Header: Depth=1
	s_delay_alu instid0(VALU_DEP_2)
	v_dual_mov_b32 v80, s7 :: v_dual_add_nc_u32 v79, -1, v79
	s_add_co_i32 s7, s7, 4
	ds_load_b32 v81, v78
	ds_load_b32 v80, v80
	v_add_nc_u32_e32 v78, 4, v78
	v_cmp_eq_u32_e32 vcc_lo, 0, v79
	s_or_b32 s0, vcc_lo, s0
	s_wait_dscnt 0x0
	v_fmac_f32_e32 v77, v81, v80
	s_and_not1_b32 exec_lo, exec_lo, s0
	s_cbranch_execnz .LBB36_133
; %bb.134:
	s_or_b32 exec_lo, exec_lo, s0
.LBB36_135:
	s_delay_alu instid0(SALU_CYCLE_1)
	s_or_b32 exec_lo, exec_lo, s5
	v_mov_b32_e32 v78, 0
	ds_load_b32 v78, v78 offset:88
	s_wait_dscnt 0x0
	v_mul_f32_e32 v77, v77, v78
	ds_store_b32 v7, v77 offset:88
.LBB36_136:
	s_or_b32 exec_lo, exec_lo, s4
	ds_load_b32 v77, v7 offset:84
	v_cmp_lt_u32_e64 s0, 21, v106
	s_wait_dscnt 0x0
	ds_store_b32 v108, v77
	s_wait_dscnt 0x0
	s_barrier_signal -1
	s_barrier_wait -1
	s_and_saveexec_b32 s4, s0
	s_cbranch_execz .LBB36_146
; %bb.137:
	s_and_not1_b32 vcc_lo, exec_lo, s6
	s_cbranch_vccnz .LBB36_139
; %bb.138:
	ds_load_b32 v77, v109
	ds_load_b32 v78, v108
	s_wait_dscnt 0x0
	v_mul_f32_e32 v77, v77, v78
	s_cbranch_execz .LBB36_140
	s_branch .LBB36_141
.LBB36_139:
                                        ; implicit-def: $vgpr77
.LBB36_140:
	ds_load_b32 v77, v108
.LBB36_141:
	s_and_saveexec_b32 s5, s1
	s_cbranch_execz .LBB36_145
; %bb.142:
	s_movk_i32 s1, 0x94
	v_subrev_nc_u32_e32 v79, 22, v106
	v_mad_u32 v78, v76, s1, 0x198
	s_movk_i32 s7, 0xf8
	s_mov_b32 s1, 0
.LBB36_143:                             ; =>This Inner Loop Header: Depth=1
	s_delay_alu instid0(VALU_DEP_2)
	v_dual_mov_b32 v80, s7 :: v_dual_add_nc_u32 v79, -1, v79
	s_add_co_i32 s7, s7, 4
	ds_load_b32 v81, v78
	ds_load_b32 v80, v80
	v_add_nc_u32_e32 v78, 4, v78
	v_cmp_eq_u32_e32 vcc_lo, 0, v79
	s_or_b32 s1, vcc_lo, s1
	s_wait_dscnt 0x0
	v_fmac_f32_e32 v77, v81, v80
	s_and_not1_b32 exec_lo, exec_lo, s1
	s_cbranch_execnz .LBB36_143
; %bb.144:
	s_or_b32 exec_lo, exec_lo, s1
.LBB36_145:
	s_delay_alu instid0(SALU_CYCLE_1)
	s_or_b32 exec_lo, exec_lo, s5
	v_mov_b32_e32 v78, 0
	ds_load_b32 v78, v78 offset:84
	s_wait_dscnt 0x0
	v_mul_f32_e32 v77, v77, v78
	ds_store_b32 v7, v77 offset:84
.LBB36_146:
	s_or_b32 exec_lo, exec_lo, s4
	ds_load_b32 v77, v7 offset:80
	v_cmp_lt_u32_e64 s1, 20, v106
	s_wait_dscnt 0x0
	ds_store_b32 v108, v77
	s_wait_dscnt 0x0
	s_barrier_signal -1
	s_barrier_wait -1
	s_and_saveexec_b32 s4, s1
	s_cbranch_execz .LBB36_156
; %bb.147:
	s_and_not1_b32 vcc_lo, exec_lo, s6
	s_cbranch_vccnz .LBB36_149
; %bb.148:
	ds_load_b32 v77, v109
	ds_load_b32 v78, v108
	s_wait_dscnt 0x0
	v_mul_f32_e32 v77, v77, v78
	s_cbranch_execz .LBB36_150
	s_branch .LBB36_151
.LBB36_149:
                                        ; implicit-def: $vgpr77
.LBB36_150:
	ds_load_b32 v77, v108
.LBB36_151:
	s_and_saveexec_b32 s5, s0
	s_cbranch_execz .LBB36_155
; %bb.152:
	s_movk_i32 s0, 0x94
	v_subrev_nc_u32_e32 v79, 21, v106
	v_mad_u32 v78, v76, s0, 0x194
	s_movk_i32 s7, 0xf4
	s_mov_b32 s0, 0
.LBB36_153:                             ; =>This Inner Loop Header: Depth=1
	s_delay_alu instid0(VALU_DEP_2)
	v_dual_mov_b32 v80, s7 :: v_dual_add_nc_u32 v79, -1, v79
	s_add_co_i32 s7, s7, 4
	ds_load_b32 v81, v78
	ds_load_b32 v80, v80
	v_add_nc_u32_e32 v78, 4, v78
	v_cmp_eq_u32_e32 vcc_lo, 0, v79
	s_or_b32 s0, vcc_lo, s0
	s_wait_dscnt 0x0
	v_fmac_f32_e32 v77, v81, v80
	s_and_not1_b32 exec_lo, exec_lo, s0
	s_cbranch_execnz .LBB36_153
; %bb.154:
	s_or_b32 exec_lo, exec_lo, s0
.LBB36_155:
	s_delay_alu instid0(SALU_CYCLE_1)
	s_or_b32 exec_lo, exec_lo, s5
	v_mov_b32_e32 v78, 0
	ds_load_b32 v78, v78 offset:80
	s_wait_dscnt 0x0
	v_mul_f32_e32 v77, v77, v78
	ds_store_b32 v7, v77 offset:80
.LBB36_156:
	s_or_b32 exec_lo, exec_lo, s4
	ds_load_b32 v77, v7 offset:76
	v_cmp_lt_u32_e64 s0, 19, v106
	s_wait_dscnt 0x0
	ds_store_b32 v108, v77
	s_wait_dscnt 0x0
	s_barrier_signal -1
	s_barrier_wait -1
	s_and_saveexec_b32 s4, s0
	s_cbranch_execz .LBB36_166
; %bb.157:
	s_and_not1_b32 vcc_lo, exec_lo, s6
	s_cbranch_vccnz .LBB36_159
; %bb.158:
	ds_load_b32 v77, v109
	ds_load_b32 v78, v108
	s_wait_dscnt 0x0
	v_mul_f32_e32 v77, v77, v78
	s_cbranch_execz .LBB36_160
	s_branch .LBB36_161
.LBB36_159:
                                        ; implicit-def: $vgpr77
.LBB36_160:
	ds_load_b32 v77, v108
.LBB36_161:
	s_and_saveexec_b32 s5, s1
	s_cbranch_execz .LBB36_165
; %bb.162:
	s_movk_i32 s1, 0x94
	v_subrev_nc_u32_e32 v79, 20, v106
	v_mad_u32 v78, v76, s1, 0x190
	s_movk_i32 s7, 0xf0
	s_mov_b32 s1, 0
.LBB36_163:                             ; =>This Inner Loop Header: Depth=1
	s_delay_alu instid0(VALU_DEP_2)
	v_dual_mov_b32 v80, s7 :: v_dual_add_nc_u32 v79, -1, v79
	s_add_co_i32 s7, s7, 4
	ds_load_b32 v81, v78
	ds_load_b32 v80, v80
	v_add_nc_u32_e32 v78, 4, v78
	v_cmp_eq_u32_e32 vcc_lo, 0, v79
	s_or_b32 s1, vcc_lo, s1
	s_wait_dscnt 0x0
	v_fmac_f32_e32 v77, v81, v80
	s_and_not1_b32 exec_lo, exec_lo, s1
	s_cbranch_execnz .LBB36_163
; %bb.164:
	s_or_b32 exec_lo, exec_lo, s1
.LBB36_165:
	s_delay_alu instid0(SALU_CYCLE_1)
	s_or_b32 exec_lo, exec_lo, s5
	v_mov_b32_e32 v78, 0
	ds_load_b32 v78, v78 offset:76
	s_wait_dscnt 0x0
	v_mul_f32_e32 v77, v77, v78
	ds_store_b32 v7, v77 offset:76
.LBB36_166:
	s_or_b32 exec_lo, exec_lo, s4
	ds_load_b32 v77, v7 offset:72
	v_cmp_lt_u32_e64 s1, 18, v106
	s_wait_dscnt 0x0
	ds_store_b32 v108, v77
	s_wait_dscnt 0x0
	s_barrier_signal -1
	s_barrier_wait -1
	s_and_saveexec_b32 s4, s1
	s_cbranch_execz .LBB36_176
; %bb.167:
	s_and_not1_b32 vcc_lo, exec_lo, s6
	s_cbranch_vccnz .LBB36_169
; %bb.168:
	ds_load_b32 v77, v109
	ds_load_b32 v78, v108
	s_wait_dscnt 0x0
	v_mul_f32_e32 v77, v77, v78
	s_cbranch_execz .LBB36_170
	s_branch .LBB36_171
.LBB36_169:
                                        ; implicit-def: $vgpr77
.LBB36_170:
	ds_load_b32 v77, v108
.LBB36_171:
	s_and_saveexec_b32 s5, s0
	s_cbranch_execz .LBB36_175
; %bb.172:
	s_movk_i32 s0, 0x94
	v_subrev_nc_u32_e32 v79, 19, v106
	v_mad_u32 v78, v76, s0, 0x18c
	s_movk_i32 s7, 0xec
	s_mov_b32 s0, 0
.LBB36_173:                             ; =>This Inner Loop Header: Depth=1
	s_delay_alu instid0(VALU_DEP_2)
	v_dual_mov_b32 v80, s7 :: v_dual_add_nc_u32 v79, -1, v79
	s_add_co_i32 s7, s7, 4
	ds_load_b32 v81, v78
	ds_load_b32 v80, v80
	v_add_nc_u32_e32 v78, 4, v78
	v_cmp_eq_u32_e32 vcc_lo, 0, v79
	s_or_b32 s0, vcc_lo, s0
	s_wait_dscnt 0x0
	v_fmac_f32_e32 v77, v81, v80
	s_and_not1_b32 exec_lo, exec_lo, s0
	s_cbranch_execnz .LBB36_173
; %bb.174:
	s_or_b32 exec_lo, exec_lo, s0
.LBB36_175:
	s_delay_alu instid0(SALU_CYCLE_1)
	s_or_b32 exec_lo, exec_lo, s5
	v_mov_b32_e32 v78, 0
	ds_load_b32 v78, v78 offset:72
	s_wait_dscnt 0x0
	v_mul_f32_e32 v77, v77, v78
	ds_store_b32 v7, v77 offset:72
.LBB36_176:
	s_or_b32 exec_lo, exec_lo, s4
	ds_load_b32 v77, v7 offset:68
	v_cmp_lt_u32_e64 s0, 17, v106
	s_wait_dscnt 0x0
	ds_store_b32 v108, v77
	s_wait_dscnt 0x0
	s_barrier_signal -1
	s_barrier_wait -1
	s_and_saveexec_b32 s4, s0
	s_cbranch_execz .LBB36_186
; %bb.177:
	s_and_not1_b32 vcc_lo, exec_lo, s6
	s_cbranch_vccnz .LBB36_179
; %bb.178:
	ds_load_b32 v77, v109
	ds_load_b32 v78, v108
	s_wait_dscnt 0x0
	v_mul_f32_e32 v77, v77, v78
	s_cbranch_execz .LBB36_180
	s_branch .LBB36_181
.LBB36_179:
                                        ; implicit-def: $vgpr77
.LBB36_180:
	ds_load_b32 v77, v108
.LBB36_181:
	s_and_saveexec_b32 s5, s1
	s_cbranch_execz .LBB36_185
; %bb.182:
	s_movk_i32 s1, 0x94
	v_subrev_nc_u32_e32 v79, 18, v106
	v_mad_u32 v78, v76, s1, 0x188
	s_movk_i32 s7, 0xe8
	s_mov_b32 s1, 0
.LBB36_183:                             ; =>This Inner Loop Header: Depth=1
	s_delay_alu instid0(VALU_DEP_2)
	v_dual_mov_b32 v80, s7 :: v_dual_add_nc_u32 v79, -1, v79
	s_add_co_i32 s7, s7, 4
	ds_load_b32 v81, v78
	ds_load_b32 v80, v80
	v_add_nc_u32_e32 v78, 4, v78
	v_cmp_eq_u32_e32 vcc_lo, 0, v79
	s_or_b32 s1, vcc_lo, s1
	s_wait_dscnt 0x0
	v_fmac_f32_e32 v77, v81, v80
	s_and_not1_b32 exec_lo, exec_lo, s1
	s_cbranch_execnz .LBB36_183
; %bb.184:
	s_or_b32 exec_lo, exec_lo, s1
.LBB36_185:
	s_delay_alu instid0(SALU_CYCLE_1)
	s_or_b32 exec_lo, exec_lo, s5
	v_mov_b32_e32 v78, 0
	ds_load_b32 v78, v78 offset:68
	s_wait_dscnt 0x0
	v_mul_f32_e32 v77, v77, v78
	ds_store_b32 v7, v77 offset:68
.LBB36_186:
	s_or_b32 exec_lo, exec_lo, s4
	ds_load_b32 v77, v7 offset:64
	v_cmp_lt_u32_e64 s1, 16, v106
	s_wait_dscnt 0x0
	ds_store_b32 v108, v77
	s_wait_dscnt 0x0
	s_barrier_signal -1
	s_barrier_wait -1
	s_and_saveexec_b32 s4, s1
	s_cbranch_execz .LBB36_196
; %bb.187:
	s_and_not1_b32 vcc_lo, exec_lo, s6
	s_cbranch_vccnz .LBB36_189
; %bb.188:
	ds_load_b32 v77, v109
	ds_load_b32 v78, v108
	s_wait_dscnt 0x0
	v_mul_f32_e32 v77, v77, v78
	s_cbranch_execz .LBB36_190
	s_branch .LBB36_191
.LBB36_189:
                                        ; implicit-def: $vgpr77
.LBB36_190:
	ds_load_b32 v77, v108
.LBB36_191:
	s_and_saveexec_b32 s5, s0
	s_cbranch_execz .LBB36_195
; %bb.192:
	s_movk_i32 s0, 0x94
	v_subrev_nc_u32_e32 v79, 17, v106
	v_mad_u32 v78, v76, s0, 0x184
	s_movk_i32 s7, 0xe4
	s_mov_b32 s0, 0
.LBB36_193:                             ; =>This Inner Loop Header: Depth=1
	s_delay_alu instid0(VALU_DEP_2)
	v_dual_mov_b32 v80, s7 :: v_dual_add_nc_u32 v79, -1, v79
	s_add_co_i32 s7, s7, 4
	ds_load_b32 v81, v78
	ds_load_b32 v80, v80
	v_add_nc_u32_e32 v78, 4, v78
	v_cmp_eq_u32_e32 vcc_lo, 0, v79
	s_or_b32 s0, vcc_lo, s0
	s_wait_dscnt 0x0
	v_fmac_f32_e32 v77, v81, v80
	s_and_not1_b32 exec_lo, exec_lo, s0
	s_cbranch_execnz .LBB36_193
; %bb.194:
	s_or_b32 exec_lo, exec_lo, s0
.LBB36_195:
	s_delay_alu instid0(SALU_CYCLE_1)
	s_or_b32 exec_lo, exec_lo, s5
	v_mov_b32_e32 v78, 0
	ds_load_b32 v78, v78 offset:64
	s_wait_dscnt 0x0
	v_mul_f32_e32 v77, v77, v78
	ds_store_b32 v7, v77 offset:64
.LBB36_196:
	s_or_b32 exec_lo, exec_lo, s4
	ds_load_b32 v77, v7 offset:60
	v_cmp_lt_u32_e64 s0, 15, v106
	s_wait_dscnt 0x0
	ds_store_b32 v108, v77
	s_wait_dscnt 0x0
	s_barrier_signal -1
	s_barrier_wait -1
	s_and_saveexec_b32 s4, s0
	s_cbranch_execz .LBB36_206
; %bb.197:
	s_and_not1_b32 vcc_lo, exec_lo, s6
	s_cbranch_vccnz .LBB36_199
; %bb.198:
	ds_load_b32 v77, v109
	ds_load_b32 v78, v108
	s_wait_dscnt 0x0
	v_mul_f32_e32 v77, v77, v78
	s_cbranch_execz .LBB36_200
	s_branch .LBB36_201
.LBB36_199:
                                        ; implicit-def: $vgpr77
.LBB36_200:
	ds_load_b32 v77, v108
.LBB36_201:
	s_and_saveexec_b32 s5, s1
	s_cbranch_execz .LBB36_205
; %bb.202:
	s_movk_i32 s1, 0x94
	v_add_nc_u32_e32 v79, -16, v106
	v_mad_u32 v78, v76, s1, 0x180
	s_movk_i32 s7, 0xe0
	s_mov_b32 s1, 0
.LBB36_203:                             ; =>This Inner Loop Header: Depth=1
	s_delay_alu instid0(VALU_DEP_2)
	v_dual_mov_b32 v80, s7 :: v_dual_add_nc_u32 v79, -1, v79
	s_add_co_i32 s7, s7, 4
	ds_load_b32 v81, v78
	ds_load_b32 v80, v80
	v_add_nc_u32_e32 v78, 4, v78
	v_cmp_eq_u32_e32 vcc_lo, 0, v79
	s_or_b32 s1, vcc_lo, s1
	s_wait_dscnt 0x0
	v_fmac_f32_e32 v77, v81, v80
	s_and_not1_b32 exec_lo, exec_lo, s1
	s_cbranch_execnz .LBB36_203
; %bb.204:
	s_or_b32 exec_lo, exec_lo, s1
.LBB36_205:
	s_delay_alu instid0(SALU_CYCLE_1)
	s_or_b32 exec_lo, exec_lo, s5
	v_mov_b32_e32 v78, 0
	ds_load_b32 v78, v78 offset:60
	s_wait_dscnt 0x0
	v_mul_f32_e32 v77, v77, v78
	ds_store_b32 v7, v77 offset:60
.LBB36_206:
	s_or_b32 exec_lo, exec_lo, s4
	ds_load_b32 v77, v7 offset:56
	v_cmp_lt_u32_e64 s1, 14, v106
	s_wait_dscnt 0x0
	ds_store_b32 v108, v77
	s_wait_dscnt 0x0
	s_barrier_signal -1
	s_barrier_wait -1
	s_and_saveexec_b32 s4, s1
	s_cbranch_execz .LBB36_216
; %bb.207:
	s_and_not1_b32 vcc_lo, exec_lo, s6
	s_cbranch_vccnz .LBB36_209
; %bb.208:
	ds_load_b32 v77, v109
	ds_load_b32 v78, v108
	s_wait_dscnt 0x0
	v_mul_f32_e32 v77, v77, v78
	s_cbranch_execz .LBB36_210
	s_branch .LBB36_211
.LBB36_209:
                                        ; implicit-def: $vgpr77
.LBB36_210:
	ds_load_b32 v77, v108
.LBB36_211:
	s_and_saveexec_b32 s5, s0
	s_cbranch_execz .LBB36_215
; %bb.212:
	s_movk_i32 s0, 0x94
	v_add_nc_u32_e32 v79, -15, v106
	v_mad_u32 v78, v76, s0, 0x17c
	s_movk_i32 s7, 0xdc
	s_mov_b32 s0, 0
.LBB36_213:                             ; =>This Inner Loop Header: Depth=1
	s_delay_alu instid0(VALU_DEP_2)
	v_dual_mov_b32 v80, s7 :: v_dual_add_nc_u32 v79, -1, v79
	s_add_co_i32 s7, s7, 4
	ds_load_b32 v81, v78
	ds_load_b32 v80, v80
	v_add_nc_u32_e32 v78, 4, v78
	v_cmp_eq_u32_e32 vcc_lo, 0, v79
	s_or_b32 s0, vcc_lo, s0
	s_wait_dscnt 0x0
	v_fmac_f32_e32 v77, v81, v80
	s_and_not1_b32 exec_lo, exec_lo, s0
	s_cbranch_execnz .LBB36_213
; %bb.214:
	s_or_b32 exec_lo, exec_lo, s0
.LBB36_215:
	s_delay_alu instid0(SALU_CYCLE_1)
	s_or_b32 exec_lo, exec_lo, s5
	v_mov_b32_e32 v78, 0
	ds_load_b32 v78, v78 offset:56
	s_wait_dscnt 0x0
	v_mul_f32_e32 v77, v77, v78
	ds_store_b32 v7, v77 offset:56
.LBB36_216:
	;; [unrolled: 57-line block ×15, first 2 shown]
	s_or_b32 exec_lo, exec_lo, s4
	ds_load_b32 v77, v7
	s_mov_b32 s1, 0
	s_mov_b32 s4, exec_lo
	s_wait_dscnt 0x0
	ds_store_b32 v108, v77
	s_wait_dscnt 0x0
	s_barrier_signal -1
	s_barrier_wait -1
	v_cmpx_ne_u32_e32 0, v106
	s_cbranch_execz .LBB36_356
; %bb.347:
	s_and_not1_b32 vcc_lo, exec_lo, s6
	s_cbranch_vccnz .LBB36_349
; %bb.348:
	ds_load_b32 v77, v109
	ds_load_b32 v78, v108
	s_wait_dscnt 0x0
	v_mul_f32_e32 v77, v77, v78
	s_cbranch_execz .LBB36_350
	s_branch .LBB36_351
.LBB36_349:
                                        ; implicit-def: $vgpr77
.LBB36_350:
	ds_load_b32 v77, v108
.LBB36_351:
	s_and_saveexec_b32 s5, s0
	s_cbranch_execz .LBB36_355
; %bb.352:
	s_movk_i32 s0, 0x94
	v_add_nc_u32_e32 v78, -1, v106
	v_mad_u32 v76, v76, s0, 0x144
	s_movk_i32 s7, 0xa4
	s_mov_b32 s0, 0
.LBB36_353:                             ; =>This Inner Loop Header: Depth=1
	s_delay_alu instid0(VALU_DEP_2)
	v_dual_mov_b32 v79, s7 :: v_dual_add_nc_u32 v78, -1, v78
	s_add_co_i32 s7, s7, 4
	ds_load_b32 v80, v76
	ds_load_b32 v79, v79
	v_add_nc_u32_e32 v76, 4, v76
	v_cmp_eq_u32_e32 vcc_lo, 0, v78
	s_or_b32 s0, vcc_lo, s0
	s_wait_dscnt 0x0
	v_fmac_f32_e32 v77, v80, v79
	s_and_not1_b32 exec_lo, exec_lo, s0
	s_cbranch_execnz .LBB36_353
; %bb.354:
	s_or_b32 exec_lo, exec_lo, s0
.LBB36_355:
	s_delay_alu instid0(SALU_CYCLE_1)
	s_or_b32 exec_lo, exec_lo, s5
	v_mov_b32_e32 v76, 0
	ds_load_b32 v76, v76
	s_wait_dscnt 0x0
	v_mul_f32_e32 v76, v77, v76
	ds_store_b32 v7, v76
.LBB36_356:
	s_or_b32 exec_lo, exec_lo, s4
.LBB36_357:
	v_lshl_add_u64 v[104:105], v[8:9], 2, s[2:3]
	v_lshl_add_u64 v[82:83], v[10:11], 2, s[2:3]
	;; [unrolled: 1-line block ×35, first 2 shown]
	s_and_b32 vcc_lo, exec_lo, s1
	s_cbranch_vccz .LBB36_709
; %bb.358:
	ds_load_b32 v46, v7 offset:4
	v_cmp_eq_u32_e64 s0, 0, v106
	s_wait_dscnt 0x0
	ds_store_b32 v108, v46
	s_wait_dscnt 0x0
	s_barrier_signal -1
	s_barrier_wait -1
	s_and_saveexec_b32 s1, s0
	s_cbranch_execz .LBB36_364
; %bb.359:
	s_and_b32 vcc_lo, exec_lo, s6
	s_cbranch_vccz .LBB36_361
; %bb.360:
	ds_load_b32 v46, v109
	ds_load_b32 v47, v108
	s_wait_dscnt 0x0
	v_mul_f32_e32 v46, v46, v47
	s_cbranch_execz .LBB36_362
	s_branch .LBB36_363
.LBB36_361:
                                        ; implicit-def: $vgpr46
.LBB36_362:
	ds_load_b32 v46, v108
.LBB36_363:
	v_mov_b32_e32 v47, 0
	ds_load_b32 v47, v47 offset:4
	s_wait_dscnt 0x0
	v_mul_f32_e32 v46, v46, v47
	ds_store_b32 v7, v46 offset:4
.LBB36_364:
	s_or_b32 exec_lo, exec_lo, s1
	ds_load_b32 v47, v7 offset:8
	v_cndmask_b32_e64 v46, 0, 1, s6
	s_mov_b32 s1, exec_lo
	s_wait_dscnt 0x0
	ds_store_b32 v108, v47
	s_wait_dscnt 0x0
	s_barrier_signal -1
	s_barrier_wait -1
	v_cmpx_gt_u32_e32 2, v106
	s_cbranch_execz .LBB36_370
; %bb.365:
	s_and_not1_b32 vcc_lo, exec_lo, s6
	s_cbranch_vccnz .LBB36_367
; %bb.366:
	ds_load_b32 v47, v109
	ds_load_b32 v48, v108
	s_wait_dscnt 0x0
	v_mul_f32_e32 v47, v47, v48
	s_cbranch_execz .LBB36_368
	s_branch .LBB36_369
.LBB36_367:
                                        ; implicit-def: $vgpr47
.LBB36_368:
	ds_load_b32 v47, v108
.LBB36_369:
	v_mov_b32_e32 v48, 0
	ds_load_b32 v50, v7 offset:4
	ds_load_2addr_b32 v[48:49], v48 offset0:2 offset1:41
	s_wait_dscnt 0x0
	v_fma_f32 v49, v50, v49, v47
	s_delay_alu instid0(VALU_DEP_1) | instskip(NEXT) | instid1(VALU_DEP_1)
	v_cndmask_b32_e64 v47, v47, v49, s0
	v_mul_f32_e32 v47, v47, v48
	ds_store_b32 v7, v47 offset:8
.LBB36_370:
	s_or_b32 exec_lo, exec_lo, s1
	ds_load_b32 v47, v7 offset:12
	s_mov_b32 s1, exec_lo
	s_wait_dscnt 0x0
	ds_store_b32 v108, v47
	s_wait_dscnt 0x0
	s_barrier_signal -1
	s_barrier_wait -1
	v_cmpx_gt_u32_e32 3, v106
	s_cbranch_execz .LBB36_378
; %bb.371:
	v_cmp_ne_u32_e32 vcc_lo, 1, v46
	s_cbranch_vccnz .LBB36_373
; %bb.372:
	ds_load_b32 v47, v109
	ds_load_b32 v48, v108
	s_wait_dscnt 0x0
	v_mul_f32_e32 v47, v47, v48
	s_cbranch_execz .LBB36_374
	s_branch .LBB36_375
.LBB36_373:
                                        ; implicit-def: $vgpr47
.LBB36_374:
	ds_load_b32 v47, v108
.LBB36_375:
	s_mov_b32 s2, exec_lo
	v_cmpx_ne_u32_e32 2, v106
	s_cbranch_execz .LBB36_377
; %bb.376:
	ds_load_b32 v48, v109 offset:4
	ds_load_b32 v49, v108 offset:4
	s_wait_dscnt 0x0
	v_dual_mov_b32 v50, 0 :: v_dual_fmac_f32 v47, v48, v49
	ds_load_b32 v51, v7 offset:8
	ds_load_b32 v50, v50 offset:168
	s_wait_dscnt 0x0
	v_fma_f32 v48, v51, v50, v47
	s_delay_alu instid0(VALU_DEP_1)
	v_cndmask_b32_e64 v47, v47, v48, s0
.LBB36_377:
	s_or_b32 exec_lo, exec_lo, s2
	v_mov_b32_e32 v48, 0
	ds_load_b32 v48, v48 offset:12
	s_wait_dscnt 0x0
	v_mul_f32_e32 v47, v47, v48
	ds_store_b32 v7, v47 offset:12
.LBB36_378:
	s_or_b32 exec_lo, exec_lo, s1
	ds_load_b32 v47, v7 offset:16
	s_mov_b32 s0, exec_lo
	s_wait_dscnt 0x0
	ds_store_b32 v108, v47
	s_wait_dscnt 0x0
	s_barrier_signal -1
	s_barrier_wait -1
	v_cmpx_gt_u32_e32 4, v106
	s_cbranch_execz .LBB36_388
; %bb.379:
	v_cmp_ne_u32_e32 vcc_lo, 1, v46
	s_cbranch_vccnz .LBB36_381
; %bb.380:
	ds_load_b32 v47, v109
	ds_load_b32 v48, v108
	s_wait_dscnt 0x0
	v_mul_f32_e32 v47, v47, v48
	s_cbranch_execz .LBB36_382
	s_branch .LBB36_383
.LBB36_381:
                                        ; implicit-def: $vgpr47
.LBB36_382:
	ds_load_b32 v47, v108
.LBB36_383:
	s_mov_b32 s1, exec_lo
	v_cmpx_ne_u32_e32 3, v106
	s_cbranch_execz .LBB36_387
; %bb.384:
	v_add_nc_u32_e32 v48, 0xa4, v6
	v_add3_u32 v49, v107, v6, 0x144
	v_mov_b32_e32 v50, v106
	s_mov_b32 s2, 0
.LBB36_385:                             ; =>This Inner Loop Header: Depth=1
	ds_load_b32 v51, v49
	ds_load_b32 v52, v48
	v_dual_add_nc_u32 v50, 1, v50 :: v_dual_add_nc_u32 v48, 4, v48
	v_add_nc_u32_e32 v49, 4, v49
	s_delay_alu instid0(VALU_DEP_2)
	v_cmp_lt_u32_e32 vcc_lo, 2, v50
	s_or_b32 s2, vcc_lo, s2
	s_wait_dscnt 0x0
	v_fmac_f32_e32 v47, v51, v52
	s_and_not1_b32 exec_lo, exec_lo, s2
	s_cbranch_execnz .LBB36_385
; %bb.386:
	s_or_b32 exec_lo, exec_lo, s2
.LBB36_387:
	s_delay_alu instid0(SALU_CYCLE_1)
	s_or_b32 exec_lo, exec_lo, s1
	v_mov_b32_e32 v48, 0
	ds_load_b32 v48, v48 offset:16
	s_wait_dscnt 0x0
	v_mul_f32_e32 v47, v47, v48
	ds_store_b32 v7, v47 offset:16
.LBB36_388:
	s_or_b32 exec_lo, exec_lo, s0
	ds_load_b32 v47, v7 offset:20
	s_mov_b32 s0, exec_lo
	s_wait_dscnt 0x0
	ds_store_b32 v108, v47
	s_wait_dscnt 0x0
	s_barrier_signal -1
	s_barrier_wait -1
	v_cmpx_gt_u32_e32 5, v106
	s_cbranch_execz .LBB36_398
; %bb.389:
	v_cmp_ne_u32_e32 vcc_lo, 1, v46
	s_cbranch_vccnz .LBB36_391
; %bb.390:
	ds_load_b32 v47, v109
	ds_load_b32 v48, v108
	s_wait_dscnt 0x0
	v_mul_f32_e32 v47, v47, v48
	s_cbranch_execz .LBB36_392
	s_branch .LBB36_393
.LBB36_391:
                                        ; implicit-def: $vgpr47
.LBB36_392:
	ds_load_b32 v47, v108
.LBB36_393:
	s_mov_b32 s1, exec_lo
	v_cmpx_ne_u32_e32 4, v106
	s_cbranch_execz .LBB36_397
; %bb.394:
	v_add_nc_u32_e32 v48, 0xa4, v6
	v_add3_u32 v49, v107, v6, 0x144
	v_mov_b32_e32 v50, v106
	s_mov_b32 s2, 0
.LBB36_395:                             ; =>This Inner Loop Header: Depth=1
	ds_load_b32 v51, v49
	ds_load_b32 v52, v48
	v_dual_add_nc_u32 v50, 1, v50 :: v_dual_add_nc_u32 v48, 4, v48
	v_add_nc_u32_e32 v49, 4, v49
	s_delay_alu instid0(VALU_DEP_2)
	v_cmp_lt_u32_e32 vcc_lo, 3, v50
	s_or_b32 s2, vcc_lo, s2
	s_wait_dscnt 0x0
	v_fmac_f32_e32 v47, v51, v52
	s_and_not1_b32 exec_lo, exec_lo, s2
	s_cbranch_execnz .LBB36_395
; %bb.396:
	s_or_b32 exec_lo, exec_lo, s2
.LBB36_397:
	s_delay_alu instid0(SALU_CYCLE_1)
	s_or_b32 exec_lo, exec_lo, s1
	v_mov_b32_e32 v48, 0
	ds_load_b32 v48, v48 offset:20
	s_wait_dscnt 0x0
	v_mul_f32_e32 v47, v47, v48
	ds_store_b32 v7, v47 offset:20
.LBB36_398:
	;; [unrolled: 56-line block ×31, first 2 shown]
	s_or_b32 exec_lo, exec_lo, s0
	ds_load_b32 v47, v7 offset:140
	v_cmp_gt_u32_e64 s0, 35, v106
	s_wait_dscnt 0x0
	ds_store_b32 v108, v47
	s_wait_dscnt 0x0
	s_barrier_signal -1
	s_barrier_wait -1
	s_and_saveexec_b32 s1, s0
	s_cbranch_execz .LBB36_698
; %bb.689:
	v_cmp_ne_u32_e32 vcc_lo, 1, v46
	s_cbranch_vccnz .LBB36_691
; %bb.690:
	ds_load_b32 v47, v109
	ds_load_b32 v48, v108
	s_wait_dscnt 0x0
	v_mul_f32_e32 v47, v47, v48
	s_cbranch_execz .LBB36_692
	s_branch .LBB36_693
.LBB36_691:
                                        ; implicit-def: $vgpr47
.LBB36_692:
	ds_load_b32 v47, v108
.LBB36_693:
	s_mov_b32 s2, exec_lo
	v_cmpx_ne_u32_e32 34, v106
	s_cbranch_execz .LBB36_697
; %bb.694:
	v_add_nc_u32_e32 v48, 0xa4, v6
	v_add3_u32 v49, v107, v6, 0x144
	v_mov_b32_e32 v50, v106
	s_mov_b32 s3, 0
.LBB36_695:                             ; =>This Inner Loop Header: Depth=1
	ds_load_b32 v51, v49
	ds_load_b32 v52, v48
	v_dual_add_nc_u32 v50, 1, v50 :: v_dual_add_nc_u32 v48, 4, v48
	v_add_nc_u32_e32 v49, 4, v49
	s_delay_alu instid0(VALU_DEP_2)
	v_cmp_lt_u32_e32 vcc_lo, 33, v50
	s_or_b32 s3, vcc_lo, s3
	s_wait_dscnt 0x0
	v_fmac_f32_e32 v47, v51, v52
	s_and_not1_b32 exec_lo, exec_lo, s3
	s_cbranch_execnz .LBB36_695
; %bb.696:
	s_or_b32 exec_lo, exec_lo, s3
.LBB36_697:
	s_delay_alu instid0(SALU_CYCLE_1)
	s_or_b32 exec_lo, exec_lo, s2
	v_mov_b32_e32 v48, 0
	ds_load_b32 v48, v48 offset:140
	s_wait_dscnt 0x0
	v_mul_f32_e32 v47, v47, v48
	ds_store_b32 v7, v47 offset:140
.LBB36_698:
	s_or_b32 exec_lo, exec_lo, s1
	ds_load_b32 v47, v7 offset:144
	s_mov_b32 s1, exec_lo
	s_wait_dscnt 0x0
	ds_store_b32 v108, v47
	s_wait_dscnt 0x0
	s_barrier_signal -1
	s_barrier_wait -1
	v_cmpx_ne_u32_e32 36, v106
	s_cbranch_execz .LBB36_708
; %bb.699:
	v_cmp_ne_u32_e32 vcc_lo, 1, v46
	s_cbranch_vccnz .LBB36_701
; %bb.700:
	ds_load_b32 v46, v109
	ds_load_b32 v47, v108
	s_wait_dscnt 0x0
	v_mul_f32_e32 v46, v46, v47
	s_cbranch_execz .LBB36_702
	s_branch .LBB36_703
.LBB36_701:
                                        ; implicit-def: $vgpr46
.LBB36_702:
	ds_load_b32 v46, v108
.LBB36_703:
	s_and_saveexec_b32 s2, s0
	s_cbranch_execz .LBB36_707
; %bb.704:
	v_add_nc_u32_e32 v47, 0xa4, v6
	v_add3_u32 v6, v107, v6, 0x144
	s_mov_b32 s0, 0
.LBB36_705:                             ; =>This Inner Loop Header: Depth=1
	ds_load_b32 v48, v6
	ds_load_b32 v49, v47
	v_dual_add_nc_u32 v106, 1, v106 :: v_dual_add_nc_u32 v47, 4, v47
	v_add_nc_u32_e32 v6, 4, v6
	s_delay_alu instid0(VALU_DEP_2)
	v_cmp_lt_u32_e32 vcc_lo, 34, v106
	s_or_b32 s0, vcc_lo, s0
	s_wait_dscnt 0x0
	v_fmac_f32_e32 v46, v48, v49
	s_and_not1_b32 exec_lo, exec_lo, s0
	s_cbranch_execnz .LBB36_705
; %bb.706:
	s_or_b32 exec_lo, exec_lo, s0
.LBB36_707:
	s_delay_alu instid0(SALU_CYCLE_1)
	s_or_b32 exec_lo, exec_lo, s2
	v_mov_b32_e32 v6, 0
	ds_load_b32 v6, v6 offset:144
	s_wait_dscnt 0x0
	v_mul_f32_e32 v6, v46, v6
	ds_store_b32 v7, v6 offset:144
.LBB36_708:
	s_or_b32 exec_lo, exec_lo, s1
.LBB36_709:
	ds_load_b128 v[46:49], v7
	ds_load_b128 v[50:53], v7 offset:16
	ds_load_b128 v[54:57], v7 offset:32
	ds_load_b128 v[58:61], v7 offset:48
	ds_load_b128 v[62:65], v7 offset:64
	ds_load_b128 v[66:69], v7 offset:80
	ds_load_b128 v[70:73], v7 offset:96
	s_wait_dscnt 0x6
	s_clause 0x2
	global_store_b32 v[2:3], v46, off
	global_store_b32 v[4:5], v47, off
	;; [unrolled: 1-line block ×3, first 2 shown]
	s_wait_xcnt 0x1
	ds_load_b128 v[2:5], v7 offset:112
	global_store_b32 v[82:83], v49, off
	s_wait_dscnt 0x6
	s_clause 0x3
	global_store_b32 v[84:85], v50, off
	global_store_b32 v[86:87], v51, off
	;; [unrolled: 1-line block ×4, first 2 shown]
	s_wait_dscnt 0x5
	s_clause 0x3
	global_store_b32 v[92:93], v54, off
	global_store_b32 v[94:95], v55, off
	global_store_b32 v[96:97], v56, off
	global_store_b32 v[98:99], v57, off
	s_wait_dscnt 0x4
	s_clause 0x1
	global_store_b32 v[100:101], v58, off
	global_store_b32 v[102:103], v59, off
	s_wait_xcnt 0xa
	ds_load_b128 v[46:49], v7 offset:128
	s_clause 0x1
	global_store_b32 v[76:77], v60, off
	global_store_b32 v[78:79], v61, off
	s_wait_dscnt 0x4
	global_store_b32 v[80:81], v62, off
	ds_load_b32 v6, v7 offset:144
	s_clause 0x2
	global_store_b32 v[8:9], v63, off
	global_store_b32 v[10:11], v64, off
	global_store_b32 v[12:13], v65, off
	s_wait_dscnt 0x4
	s_clause 0x3
	global_store_b32 v[14:15], v66, off
	global_store_b32 v[16:17], v67, off
	global_store_b32 v[18:19], v68, off
	global_store_b32 v[20:21], v69, off
	s_wait_dscnt 0x3
	s_clause 0x3
	global_store_b32 v[22:23], v70, off
	global_store_b32 v[24:25], v71, off
	global_store_b32 v[26:27], v72, off
	global_store_b32 v[28:29], v73, off
	s_wait_dscnt 0x2
	s_clause 0x3
	global_store_b32 v[30:31], v2, off
	global_store_b32 v[32:33], v3, off
	global_store_b32 v[34:35], v4, off
	global_store_b32 v[36:37], v5, off
	s_wait_dscnt 0x1
	s_clause 0x3
	global_store_b32 v[0:1], v46, off
	global_store_b32 v[38:39], v47, off
	global_store_b32 v[40:41], v48, off
	;; [unrolled: 1-line block ×3, first 2 shown]
	s_wait_dscnt 0x0
	global_store_b32 v[44:45], v6, off
.LBB36_710:
	s_sendmsg sendmsg(MSG_DEALLOC_VGPRS)
	s_endpgm
	.section	.rodata,"a",@progbits
	.p2align	6, 0x0
	.amdhsa_kernel _ZN9rocsolver6v33100L18trti2_kernel_smallILi37EfPfEEv13rocblas_fill_17rocblas_diagonal_T1_iil
		.amdhsa_group_segment_fixed_size 9792
		.amdhsa_private_segment_fixed_size 0
		.amdhsa_kernarg_size 32
		.amdhsa_user_sgpr_count 4
		.amdhsa_user_sgpr_dispatch_ptr 1
		.amdhsa_user_sgpr_queue_ptr 0
		.amdhsa_user_sgpr_kernarg_segment_ptr 1
		.amdhsa_user_sgpr_dispatch_id 0
		.amdhsa_user_sgpr_kernarg_preload_length 0
		.amdhsa_user_sgpr_kernarg_preload_offset 0
		.amdhsa_user_sgpr_private_segment_size 0
		.amdhsa_wavefront_size32 1
		.amdhsa_uses_dynamic_stack 0
		.amdhsa_enable_private_segment 0
		.amdhsa_system_sgpr_workgroup_id_x 1
		.amdhsa_system_sgpr_workgroup_id_y 0
		.amdhsa_system_sgpr_workgroup_id_z 0
		.amdhsa_system_sgpr_workgroup_info 0
		.amdhsa_system_vgpr_workitem_id 2
		.amdhsa_next_free_vgpr 110
		.amdhsa_next_free_sgpr 14
		.amdhsa_named_barrier_count 0
		.amdhsa_reserve_vcc 1
		.amdhsa_float_round_mode_32 0
		.amdhsa_float_round_mode_16_64 0
		.amdhsa_float_denorm_mode_32 3
		.amdhsa_float_denorm_mode_16_64 3
		.amdhsa_fp16_overflow 0
		.amdhsa_memory_ordered 1
		.amdhsa_forward_progress 1
		.amdhsa_inst_pref_size 148
		.amdhsa_round_robin_scheduling 0
		.amdhsa_exception_fp_ieee_invalid_op 0
		.amdhsa_exception_fp_denorm_src 0
		.amdhsa_exception_fp_ieee_div_zero 0
		.amdhsa_exception_fp_ieee_overflow 0
		.amdhsa_exception_fp_ieee_underflow 0
		.amdhsa_exception_fp_ieee_inexact 0
		.amdhsa_exception_int_div_zero 0
	.end_amdhsa_kernel
	.section	.text._ZN9rocsolver6v33100L18trti2_kernel_smallILi37EfPfEEv13rocblas_fill_17rocblas_diagonal_T1_iil,"axG",@progbits,_ZN9rocsolver6v33100L18trti2_kernel_smallILi37EfPfEEv13rocblas_fill_17rocblas_diagonal_T1_iil,comdat
.Lfunc_end36:
	.size	_ZN9rocsolver6v33100L18trti2_kernel_smallILi37EfPfEEv13rocblas_fill_17rocblas_diagonal_T1_iil, .Lfunc_end36-_ZN9rocsolver6v33100L18trti2_kernel_smallILi37EfPfEEv13rocblas_fill_17rocblas_diagonal_T1_iil
                                        ; -- End function
	.set _ZN9rocsolver6v33100L18trti2_kernel_smallILi37EfPfEEv13rocblas_fill_17rocblas_diagonal_T1_iil.num_vgpr, 110
	.set _ZN9rocsolver6v33100L18trti2_kernel_smallILi37EfPfEEv13rocblas_fill_17rocblas_diagonal_T1_iil.num_agpr, 0
	.set _ZN9rocsolver6v33100L18trti2_kernel_smallILi37EfPfEEv13rocblas_fill_17rocblas_diagonal_T1_iil.numbered_sgpr, 14
	.set _ZN9rocsolver6v33100L18trti2_kernel_smallILi37EfPfEEv13rocblas_fill_17rocblas_diagonal_T1_iil.num_named_barrier, 0
	.set _ZN9rocsolver6v33100L18trti2_kernel_smallILi37EfPfEEv13rocblas_fill_17rocblas_diagonal_T1_iil.private_seg_size, 0
	.set _ZN9rocsolver6v33100L18trti2_kernel_smallILi37EfPfEEv13rocblas_fill_17rocblas_diagonal_T1_iil.uses_vcc, 1
	.set _ZN9rocsolver6v33100L18trti2_kernel_smallILi37EfPfEEv13rocblas_fill_17rocblas_diagonal_T1_iil.uses_flat_scratch, 0
	.set _ZN9rocsolver6v33100L18trti2_kernel_smallILi37EfPfEEv13rocblas_fill_17rocblas_diagonal_T1_iil.has_dyn_sized_stack, 0
	.set _ZN9rocsolver6v33100L18trti2_kernel_smallILi37EfPfEEv13rocblas_fill_17rocblas_diagonal_T1_iil.has_recursion, 0
	.set _ZN9rocsolver6v33100L18trti2_kernel_smallILi37EfPfEEv13rocblas_fill_17rocblas_diagonal_T1_iil.has_indirect_call, 0
	.section	.AMDGPU.csdata,"",@progbits
; Kernel info:
; codeLenInByte = 18912
; TotalNumSgprs: 16
; NumVgprs: 110
; ScratchSize: 0
; MemoryBound: 0
; FloatMode: 240
; IeeeMode: 1
; LDSByteSize: 9792 bytes/workgroup (compile time only)
; SGPRBlocks: 0
; VGPRBlocks: 6
; NumSGPRsForWavesPerEU: 16
; NumVGPRsForWavesPerEU: 110
; NamedBarCnt: 0
; Occupancy: 9
; WaveLimiterHint : 0
; COMPUTE_PGM_RSRC2:SCRATCH_EN: 0
; COMPUTE_PGM_RSRC2:USER_SGPR: 4
; COMPUTE_PGM_RSRC2:TRAP_HANDLER: 0
; COMPUTE_PGM_RSRC2:TGID_X_EN: 1
; COMPUTE_PGM_RSRC2:TGID_Y_EN: 0
; COMPUTE_PGM_RSRC2:TGID_Z_EN: 0
; COMPUTE_PGM_RSRC2:TIDIG_COMP_CNT: 2
	.section	.text._ZN9rocsolver6v33100L18trti2_kernel_smallILi38EfPfEEv13rocblas_fill_17rocblas_diagonal_T1_iil,"axG",@progbits,_ZN9rocsolver6v33100L18trti2_kernel_smallILi38EfPfEEv13rocblas_fill_17rocblas_diagonal_T1_iil,comdat
	.globl	_ZN9rocsolver6v33100L18trti2_kernel_smallILi38EfPfEEv13rocblas_fill_17rocblas_diagonal_T1_iil ; -- Begin function _ZN9rocsolver6v33100L18trti2_kernel_smallILi38EfPfEEv13rocblas_fill_17rocblas_diagonal_T1_iil
	.p2align	8
	.type	_ZN9rocsolver6v33100L18trti2_kernel_smallILi38EfPfEEv13rocblas_fill_17rocblas_diagonal_T1_iil,@function
_ZN9rocsolver6v33100L18trti2_kernel_smallILi38EfPfEEv13rocblas_fill_17rocblas_diagonal_T1_iil: ; @_ZN9rocsolver6v33100L18trti2_kernel_smallILi38EfPfEEv13rocblas_fill_17rocblas_diagonal_T1_iil
; %bb.0:
	v_and_b32_e32 v110, 0x3ff, v0
	s_mov_b32 s4, exec_lo
	s_delay_alu instid0(VALU_DEP_1)
	v_cmpx_gt_u32_e32 38, v110
	s_cbranch_execz .LBB37_730
; %bb.1:
	s_load_b256 s[4:11], s[2:3], 0x0
	s_getreg_b32 s12, hwreg(HW_REG_IB_STS2, 6, 4)
	s_wait_xcnt 0x0
	s_load_b64 s[2:3], s[0:1], 0x4
	s_wait_xcnt 0x0
	s_bfe_u32 s0, ttmp6, 0x4000c
	s_and_b32 s1, ttmp6, 15
	s_add_co_i32 s0, s0, 1
	v_bfe_u32 v1, v0, 10, 10
	s_mul_i32 s0, ttmp9, s0
	v_bfe_u32 v0, v0, 20, 10
	s_add_co_i32 s0, s1, s0
	v_lshlrev_b32_e32 v6, 2, v110
	s_wait_kmcnt 0x0
	v_add3_u32 v8, s9, s9, v110
	s_ashr_i32 s1, s8, 31
	s_lshr_b32 s2, s2, 16
	s_cmp_eq_u32 s12, 0
	s_mul_i32 s2, s2, s3
	v_add_nc_u32_e32 v10, s9, v8
	s_cselect_b32 s12, ttmp9, s0
	s_mov_b32 s0, s8
	s_ashr_i32 s13, s12, 31
	s_lshl_b64 s[0:1], s[0:1], 2
	v_add_nc_u32_e32 v12, s9, v10
	s_mul_u64 s[10:11], s[10:11], s[12:13]
	v_mul_u32_u24_e32 v1, s3, v1
	s_lshl_b64 s[10:11], s[10:11], 2
	v_ashrrev_i32_e32 v9, 31, v8
	v_add_nc_u32_e32 v14, s9, v12
	s_add_nc_u64 s[6:7], s[6:7], s[10:11]
	s_delay_alu instid0(SALU_CYCLE_1) | instskip(SKIP_1) | instid1(VALU_DEP_1)
	s_add_nc_u64 s[6:7], s[6:7], s[0:1]
	s_mov_b32 s0, s9
	v_add_nc_u32_e32 v16, s9, v14
	s_ashr_i32 s1, s9, 31
	v_ashrrev_i32_e32 v11, 31, v10
	s_cmp_lg_u32 s5, 0x84
	s_delay_alu instid0(VALU_DEP_2) | instskip(SKIP_3) | instid1(VALU_DEP_2)
	v_add_nc_u32_e32 v18, s9, v16
	v_ashrrev_i32_e32 v13, 31, v12
	s_cselect_b32 s3, -1, 0
	s_cmp_eq_u32 s5, 0x84
	v_dual_add_nc_u32 v20, s9, v18 :: v_dual_ashrrev_i32 v19, 31, v18
	s_delay_alu instid0(VALU_DEP_1) | instskip(NEXT) | instid1(VALU_DEP_1)
	v_dual_ashrrev_i32 v15, 31, v14 :: v_dual_add_nc_u32 v22, s9, v20
	v_add_nc_u32_e32 v24, s9, v22
	s_delay_alu instid0(VALU_DEP_1) | instskip(NEXT) | instid1(VALU_DEP_1)
	v_add_nc_u32_e32 v26, s9, v24
	v_dual_add_nc_u32 v28, s9, v26 :: v_dual_ashrrev_i32 v17, 31, v16
	s_delay_alu instid0(VALU_DEP_1) | instskip(NEXT) | instid1(VALU_DEP_1)
	v_dual_ashrrev_i32 v23, 31, v22 :: v_dual_add_nc_u32 v30, s9, v28
	v_dual_ashrrev_i32 v25, 31, v24 :: v_dual_ashrrev_i32 v31, 31, v30
	v_dual_add_nc_u32 v32, s9, v30 :: v_dual_ashrrev_i32 v21, 31, v20
	s_delay_alu instid0(VALU_DEP_1) | instskip(NEXT) | instid1(VALU_DEP_1)
	v_dual_ashrrev_i32 v27, 31, v26 :: v_dual_add_nc_u32 v34, s9, v32
	v_add_nc_u32_e32 v36, s9, v34
	s_delay_alu instid0(VALU_DEP_1) | instskip(NEXT) | instid1(VALU_DEP_1)
	v_add_nc_u32_e32 v38, s9, v36
	v_dual_add_nc_u32 v40, s9, v38 :: v_dual_ashrrev_i32 v29, 31, v28
	s_delay_alu instid0(VALU_DEP_1) | instskip(NEXT) | instid1(VALU_DEP_1)
	v_dual_ashrrev_i32 v35, 31, v34 :: v_dual_add_nc_u32 v42, s9, v40
	v_dual_ashrrev_i32 v37, 31, v36 :: v_dual_ashrrev_i32 v43, 31, v42
	;; [unrolled: 10-line block ×3, first 2 shown]
	v_dual_add_nc_u32 v56, s9, v54 :: v_dual_ashrrev_i32 v45, 31, v44
	s_delay_alu instid0(VALU_DEP_1) | instskip(SKIP_1) | instid1(VALU_DEP_2)
	v_dual_ashrrev_i32 v51, 31, v50 :: v_dual_add_nc_u32 v58, s9, v56
	v_dual_mov_b32 v7, 0 :: v_dual_ashrrev_i32 v53, 31, v52
	v_dual_ashrrev_i32 v59, 31, v58 :: v_dual_add_nc_u32 v60, s9, v58
	s_delay_alu instid0(VALU_DEP_2) | instskip(SKIP_1) | instid1(VALU_DEP_3)
	v_add_nc_u64_e32 v[2:3], s[6:7], v[6:7]
	v_mul_u32_u24_e32 v7, s2, v110
	v_add_nc_u32_e32 v62, s9, v60
	s_delay_alu instid0(VALU_DEP_2) | instskip(NEXT) | instid1(VALU_DEP_4)
	v_add3_u32 v0, v7, v1, v0
	v_lshl_add_u64 v[4:5], s[0:1], 2, v[2:3]
	s_clause 0x7
	global_load_b32 v80, v110, s[6:7] scale_offset
	global_load_b32 v81, v[4:5], off
	global_load_b32 v82, v8, s[6:7] scale_offset
	global_load_b32 v83, v10, s[6:7] scale_offset
	;; [unrolled: 1-line block ×6, first 2 shown]
	v_add_nc_u32_e32 v64, s9, v62
	s_clause 0xf
	global_load_b32 v88, v20, s[6:7] scale_offset
	global_load_b32 v89, v22, s[6:7] scale_offset
	;; [unrolled: 1-line block ×16, first 2 shown]
	v_mul_lo_u32 v111, 0x98, v0
	v_dual_mov_b32 v1, -1.0 :: v_dual_add_nc_u32 v66, s9, v64
	s_delay_alu instid0(VALU_DEP_1) | instskip(SKIP_1) | instid1(VALU_DEP_4)
	v_dual_add_nc_u32 v68, s9, v66 :: v_dual_ashrrev_i32 v57, 31, v56
	v_ashrrev_i32_e32 v63, 31, v62
	v_add_nc_u32_e32 v7, 0x140, v111
	s_delay_alu instid0(VALU_DEP_3) | instskip(NEXT) | instid1(VALU_DEP_1)
	v_add_nc_u32_e32 v70, s9, v68
	v_dual_ashrrev_i32 v65, 31, v64 :: v_dual_ashrrev_i32 v71, 31, v70
	v_add_nc_u32_e32 v72, s9, v70
	s_clause 0x7
	global_load_b32 v104, v52, s[6:7] scale_offset
	global_load_b32 v105, v54, s[6:7] scale_offset
	;; [unrolled: 1-line block ×8, first 2 shown]
	v_dual_ashrrev_i32 v61, 31, v60 :: v_dual_ashrrev_i32 v67, 31, v66
	v_add_nc_u32_e32 v74, s9, v72
	s_delay_alu instid0(VALU_DEP_1) | instskip(SKIP_1) | instid1(VALU_DEP_1)
	v_dual_ashrrev_i32 v69, 31, v68 :: v_dual_ashrrev_i32 v75, 31, v74
	v_add_nc_u32_e32 v76, s9, v74
	v_add_nc_u32_e32 v78, s9, v76
	s_clause 0x5
	global_load_b32 v116, v68, s[6:7] scale_offset
	global_load_b32 v117, v70, s[6:7] scale_offset
	;; [unrolled: 1-line block ×6, first 2 shown]
	v_ashrrev_i32_e32 v73, 31, v72
	v_ashrrev_i32_e32 v77, 31, v76
	s_wait_loadcnt 0x22
	ds_store_b128 v111, v[80:83] offset:320
	s_wait_loadcnt 0x1e
	ds_store_b128 v111, v[84:87] offset:336
	v_ashrrev_i32_e32 v79, 31, v78
	s_wait_loadcnt 0x1a
	ds_store_b128 v111, v[88:91] offset:352
	s_wait_loadcnt 0x16
	ds_store_b128 v111, v[92:95] offset:368
	;; [unrolled: 2-line block ×7, first 2 shown]
	s_wait_loadcnt 0x0
	ds_store_b64 v111, v[108:109] offset:464
	s_cbranch_scc1 .LBB37_3
; %bb.2:
	v_lshl_add_u32 v80, v110, 2, v7
	ds_load_b32 v1, v80
	s_wait_dscnt 0x0
	v_div_scale_f32 v81, null, v1, v1, 1.0
	s_delay_alu instid0(VALU_DEP_1) | instskip(SKIP_1) | instid1(TRANS32_DEP_1)
	v_rcp_f32_e32 v82, v81
	v_nop
	v_fma_f32 v83, -v81, v82, 1.0
	s_delay_alu instid0(VALU_DEP_1) | instskip(SKIP_1) | instid1(VALU_DEP_1)
	v_fmac_f32_e32 v82, v83, v82
	v_div_scale_f32 v83, vcc_lo, 1.0, v1, 1.0
	v_mul_f32_e32 v84, v83, v82
	s_delay_alu instid0(VALU_DEP_1) | instskip(NEXT) | instid1(VALU_DEP_1)
	v_fma_f32 v85, -v81, v84, v83
	v_fmac_f32_e32 v84, v85, v82
	s_delay_alu instid0(VALU_DEP_1) | instskip(NEXT) | instid1(VALU_DEP_1)
	v_fma_f32 v81, -v81, v84, v83
	v_div_fmas_f32 v81, v81, v82, v84
	s_delay_alu instid0(VALU_DEP_1) | instskip(NEXT) | instid1(VALU_DEP_1)
	v_div_fixup_f32 v81, v81, v1, 1.0
	v_xor_b32_e32 v1, 0x80000000, v81
	ds_store_b32 v80, v81
.LBB37_3:
	v_add_nc_u32_e32 v112, 0xa0, v6
	v_add_nc_u32_e32 v113, v7, v6
	s_cmp_eq_u32 s4, 0x79
	s_mov_b32 s1, -1
	ds_store_b32 v6, v1
	s_cbranch_scc1 .LBB37_367
; %bb.4:
	ds_load_b32 v1, v7 offset:144
	v_cmp_eq_u32_e64 s0, 37, v110
	s_wait_dscnt 0x0
	ds_store_b32 v112, v1
	s_wait_dscnt 0x0
	s_barrier_signal -1
	s_barrier_wait -1
	s_and_saveexec_b32 s1, s0
	s_cbranch_execz .LBB37_10
; %bb.5:
	s_and_b32 vcc_lo, exec_lo, s3
	s_cbranch_vccz .LBB37_7
; %bb.6:
	ds_load_b32 v1, v113
	ds_load_b32 v80, v112
	s_wait_dscnt 0x0
	v_mul_f32_e32 v1, v1, v80
	s_cbranch_execz .LBB37_8
	s_branch .LBB37_9
.LBB37_7:
                                        ; implicit-def: $vgpr1
.LBB37_8:
	ds_load_b32 v1, v112
.LBB37_9:
	v_mov_b32_e32 v80, 0
	ds_load_b32 v80, v80 offset:144
	s_wait_dscnt 0x0
	v_mul_f32_e32 v1, v1, v80
	ds_store_b32 v7, v1 offset:144
.LBB37_10:
	s_or_b32 exec_lo, exec_lo, s1
	ds_load_b32 v1, v7 offset:140
	v_cmp_lt_u32_e64 s1, 35, v110
	s_wait_dscnt 0x0
	ds_store_b32 v112, v1
	s_wait_dscnt 0x0
	s_barrier_signal -1
	s_barrier_wait -1
	s_and_saveexec_b32 s2, s1
	s_cbranch_execz .LBB37_16
; %bb.11:
	s_and_not1_b32 vcc_lo, exec_lo, s3
	s_cbranch_vccnz .LBB37_13
; %bb.12:
	ds_load_b32 v1, v113
	ds_load_b32 v80, v112
	s_wait_dscnt 0x0
	v_mul_f32_e32 v1, v1, v80
	s_cbranch_execz .LBB37_14
	s_branch .LBB37_15
.LBB37_13:
                                        ; implicit-def: $vgpr1
.LBB37_14:
	ds_load_b32 v1, v112
.LBB37_15:
	v_mov_b32_e32 v80, 0
	ds_load_b32 v82, v7 offset:144
	ds_load_2addr_b32 v[80:81], v80 offset0:35 offset1:76
	s_wait_dscnt 0x0
	v_fma_f32 v81, v82, v81, v1
	s_delay_alu instid0(VALU_DEP_1) | instskip(NEXT) | instid1(VALU_DEP_1)
	v_cndmask_b32_e64 v1, v1, v81, s0
	v_mul_f32_e32 v1, v1, v80
	ds_store_b32 v7, v1 offset:140
.LBB37_16:
	s_or_b32 exec_lo, exec_lo, s2
	ds_load_b32 v1, v7 offset:136
	v_cmp_lt_u32_e64 s0, 34, v110
	s_wait_dscnt 0x0
	ds_store_b32 v112, v1
	s_wait_dscnt 0x0
	s_barrier_signal -1
	s_barrier_wait -1
	s_and_saveexec_b32 s2, s0
	s_cbranch_execz .LBB37_26
; %bb.17:
	s_and_not1_b32 vcc_lo, exec_lo, s3
	s_cbranch_vccnz .LBB37_19
; %bb.18:
	ds_load_b32 v1, v113
	ds_load_b32 v80, v112
	s_wait_dscnt 0x0
	v_mul_f32_e32 v1, v1, v80
	s_cbranch_execz .LBB37_20
	s_branch .LBB37_21
.LBB37_19:
                                        ; implicit-def: $vgpr1
.LBB37_20:
	ds_load_b32 v1, v112
.LBB37_21:
	s_and_saveexec_b32 s4, s1
	s_cbranch_execz .LBB37_25
; %bb.22:
	s_movk_i32 s1, 0x98
	v_subrev_nc_u32_e32 v81, 35, v110
	v_mad_u32 v80, v0, s1, 0x1cc
	s_movk_i32 s5, 0x12c
	s_mov_b32 s1, 0
.LBB37_23:                              ; =>This Inner Loop Header: Depth=1
	s_delay_alu instid0(VALU_DEP_2)
	v_dual_mov_b32 v82, s5 :: v_dual_add_nc_u32 v81, -1, v81
	s_add_co_i32 s5, s5, 4
	ds_load_b32 v83, v80
	ds_load_b32 v82, v82
	v_add_nc_u32_e32 v80, 4, v80
	v_cmp_eq_u32_e32 vcc_lo, 0, v81
	s_or_b32 s1, vcc_lo, s1
	s_wait_dscnt 0x0
	v_fmac_f32_e32 v1, v83, v82
	s_and_not1_b32 exec_lo, exec_lo, s1
	s_cbranch_execnz .LBB37_23
; %bb.24:
	s_or_b32 exec_lo, exec_lo, s1
.LBB37_25:
	s_delay_alu instid0(SALU_CYCLE_1)
	s_or_b32 exec_lo, exec_lo, s4
	v_mov_b32_e32 v80, 0
	ds_load_b32 v80, v80 offset:136
	s_wait_dscnt 0x0
	v_mul_f32_e32 v1, v1, v80
	ds_store_b32 v7, v1 offset:136
.LBB37_26:
	s_or_b32 exec_lo, exec_lo, s2
	ds_load_b32 v1, v7 offset:132
	v_cmp_lt_u32_e64 s1, 33, v110
	s_wait_dscnt 0x0
	ds_store_b32 v112, v1
	s_wait_dscnt 0x0
	s_barrier_signal -1
	s_barrier_wait -1
	s_and_saveexec_b32 s2, s1
	s_cbranch_execz .LBB37_36
; %bb.27:
	s_and_not1_b32 vcc_lo, exec_lo, s3
	s_cbranch_vccnz .LBB37_29
; %bb.28:
	ds_load_b32 v1, v113
	ds_load_b32 v80, v112
	s_wait_dscnt 0x0
	v_mul_f32_e32 v1, v1, v80
	s_cbranch_execz .LBB37_30
	s_branch .LBB37_31
.LBB37_29:
                                        ; implicit-def: $vgpr1
.LBB37_30:
	ds_load_b32 v1, v112
.LBB37_31:
	s_and_saveexec_b32 s4, s0
	s_cbranch_execz .LBB37_35
; %bb.32:
	s_movk_i32 s0, 0x98
	v_subrev_nc_u32_e32 v81, 34, v110
	v_mad_u32 v80, v0, s0, 0x1c8
	s_movk_i32 s5, 0x128
	s_mov_b32 s0, 0
.LBB37_33:                              ; =>This Inner Loop Header: Depth=1
	s_delay_alu instid0(VALU_DEP_2)
	v_dual_mov_b32 v82, s5 :: v_dual_add_nc_u32 v81, -1, v81
	s_add_co_i32 s5, s5, 4
	ds_load_b32 v83, v80
	ds_load_b32 v82, v82
	v_add_nc_u32_e32 v80, 4, v80
	v_cmp_eq_u32_e32 vcc_lo, 0, v81
	s_or_b32 s0, vcc_lo, s0
	s_wait_dscnt 0x0
	v_fmac_f32_e32 v1, v83, v82
	s_and_not1_b32 exec_lo, exec_lo, s0
	s_cbranch_execnz .LBB37_33
; %bb.34:
	s_or_b32 exec_lo, exec_lo, s0
.LBB37_35:
	s_delay_alu instid0(SALU_CYCLE_1)
	s_or_b32 exec_lo, exec_lo, s4
	v_mov_b32_e32 v80, 0
	ds_load_b32 v80, v80 offset:132
	s_wait_dscnt 0x0
	v_mul_f32_e32 v1, v1, v80
	ds_store_b32 v7, v1 offset:132
.LBB37_36:
	;; [unrolled: 57-line block ×8, first 2 shown]
	s_or_b32 exec_lo, exec_lo, s2
	ds_load_b32 v1, v7 offset:104
	v_cmp_lt_u32_e64 s0, 26, v110
	s_wait_dscnt 0x0
	ds_store_b32 v112, v1
	s_wait_dscnt 0x0
	s_barrier_signal -1
	s_barrier_wait -1
	s_and_saveexec_b32 s2, s0
	s_cbranch_execz .LBB37_106
; %bb.97:
	s_and_not1_b32 vcc_lo, exec_lo, s3
	s_cbranch_vccnz .LBB37_99
; %bb.98:
	ds_load_b32 v1, v113
	ds_load_b32 v80, v112
	s_wait_dscnt 0x0
	v_mul_f32_e32 v1, v1, v80
	s_cbranch_execz .LBB37_100
	s_branch .LBB37_101
.LBB37_99:
                                        ; implicit-def: $vgpr1
.LBB37_100:
	ds_load_b32 v1, v112
.LBB37_101:
	s_and_saveexec_b32 s4, s1
	s_cbranch_execz .LBB37_105
; %bb.102:
	s_movk_i32 s1, 0x98
	v_subrev_nc_u32_e32 v81, 27, v110
	v_mad_u32 v80, v0, s1, 0x1ac
	s_movk_i32 s5, 0x10c
	s_mov_b32 s1, 0
.LBB37_103:                             ; =>This Inner Loop Header: Depth=1
	s_delay_alu instid0(VALU_DEP_2)
	v_dual_mov_b32 v82, s5 :: v_dual_add_nc_u32 v81, -1, v81
	s_add_co_i32 s5, s5, 4
	ds_load_b32 v83, v80
	ds_load_b32 v82, v82
	v_add_nc_u32_e32 v80, 4, v80
	v_cmp_eq_u32_e32 vcc_lo, 0, v81
	s_or_b32 s1, vcc_lo, s1
	s_wait_dscnt 0x0
	v_fmac_f32_e32 v1, v83, v82
	s_and_not1_b32 exec_lo, exec_lo, s1
	s_cbranch_execnz .LBB37_103
; %bb.104:
	s_or_b32 exec_lo, exec_lo, s1
.LBB37_105:
	s_delay_alu instid0(SALU_CYCLE_1)
	s_or_b32 exec_lo, exec_lo, s4
	v_mov_b32_e32 v80, 0
	ds_load_b32 v80, v80 offset:104
	s_wait_dscnt 0x0
	v_mul_f32_e32 v1, v1, v80
	ds_store_b32 v7, v1 offset:104
.LBB37_106:
	s_or_b32 exec_lo, exec_lo, s2
	ds_load_b32 v1, v7 offset:100
	v_cmp_lt_u32_e64 s1, 25, v110
	s_wait_dscnt 0x0
	ds_store_b32 v112, v1
	s_wait_dscnt 0x0
	s_barrier_signal -1
	s_barrier_wait -1
	s_and_saveexec_b32 s2, s1
	s_cbranch_execz .LBB37_116
; %bb.107:
	s_and_not1_b32 vcc_lo, exec_lo, s3
	s_cbranch_vccnz .LBB37_109
; %bb.108:
	ds_load_b32 v1, v113
	ds_load_b32 v80, v112
	s_wait_dscnt 0x0
	v_mul_f32_e32 v1, v1, v80
	s_cbranch_execz .LBB37_110
	s_branch .LBB37_111
.LBB37_109:
                                        ; implicit-def: $vgpr1
.LBB37_110:
	ds_load_b32 v1, v112
.LBB37_111:
	s_and_saveexec_b32 s4, s0
	s_cbranch_execz .LBB37_115
; %bb.112:
	s_movk_i32 s0, 0x98
	v_subrev_nc_u32_e32 v81, 26, v110
	v_mad_u32 v80, v0, s0, 0x1a8
	s_movk_i32 s5, 0x108
	s_mov_b32 s0, 0
.LBB37_113:                             ; =>This Inner Loop Header: Depth=1
	s_delay_alu instid0(VALU_DEP_2)
	v_dual_mov_b32 v82, s5 :: v_dual_add_nc_u32 v81, -1, v81
	s_add_co_i32 s5, s5, 4
	ds_load_b32 v83, v80
	ds_load_b32 v82, v82
	v_add_nc_u32_e32 v80, 4, v80
	v_cmp_eq_u32_e32 vcc_lo, 0, v81
	s_or_b32 s0, vcc_lo, s0
	s_wait_dscnt 0x0
	v_fmac_f32_e32 v1, v83, v82
	s_and_not1_b32 exec_lo, exec_lo, s0
	s_cbranch_execnz .LBB37_113
; %bb.114:
	s_or_b32 exec_lo, exec_lo, s0
.LBB37_115:
	s_delay_alu instid0(SALU_CYCLE_1)
	s_or_b32 exec_lo, exec_lo, s4
	v_mov_b32_e32 v80, 0
	ds_load_b32 v80, v80 offset:100
	s_wait_dscnt 0x0
	v_mul_f32_e32 v1, v1, v80
	ds_store_b32 v7, v1 offset:100
.LBB37_116:
	;; [unrolled: 57-line block ×11, first 2 shown]
	s_or_b32 exec_lo, exec_lo, s2
	ds_load_b32 v1, v7 offset:60
	v_cmp_lt_u32_e64 s1, 15, v110
	s_wait_dscnt 0x0
	ds_store_b32 v112, v1
	s_wait_dscnt 0x0
	s_barrier_signal -1
	s_barrier_wait -1
	s_and_saveexec_b32 s2, s1
	s_cbranch_execz .LBB37_216
; %bb.207:
	s_and_not1_b32 vcc_lo, exec_lo, s3
	s_cbranch_vccnz .LBB37_209
; %bb.208:
	ds_load_b32 v1, v113
	ds_load_b32 v80, v112
	s_wait_dscnt 0x0
	v_mul_f32_e32 v1, v1, v80
	s_cbranch_execz .LBB37_210
	s_branch .LBB37_211
.LBB37_209:
                                        ; implicit-def: $vgpr1
.LBB37_210:
	ds_load_b32 v1, v112
.LBB37_211:
	s_and_saveexec_b32 s4, s0
	s_cbranch_execz .LBB37_215
; %bb.212:
	s_movk_i32 s0, 0x98
	v_add_nc_u32_e32 v81, -16, v110
	v_mad_u32 v80, v0, s0, 0x180
	s_movk_i32 s5, 0xe0
	s_mov_b32 s0, 0
.LBB37_213:                             ; =>This Inner Loop Header: Depth=1
	s_delay_alu instid0(VALU_DEP_2)
	v_dual_mov_b32 v82, s5 :: v_dual_add_nc_u32 v81, -1, v81
	s_add_co_i32 s5, s5, 4
	ds_load_b32 v83, v80
	ds_load_b32 v82, v82
	v_add_nc_u32_e32 v80, 4, v80
	v_cmp_eq_u32_e32 vcc_lo, 0, v81
	s_or_b32 s0, vcc_lo, s0
	s_wait_dscnt 0x0
	v_fmac_f32_e32 v1, v83, v82
	s_and_not1_b32 exec_lo, exec_lo, s0
	s_cbranch_execnz .LBB37_213
; %bb.214:
	s_or_b32 exec_lo, exec_lo, s0
.LBB37_215:
	s_delay_alu instid0(SALU_CYCLE_1)
	s_or_b32 exec_lo, exec_lo, s4
	v_mov_b32_e32 v80, 0
	ds_load_b32 v80, v80 offset:60
	s_wait_dscnt 0x0
	v_mul_f32_e32 v1, v1, v80
	ds_store_b32 v7, v1 offset:60
.LBB37_216:
	s_or_b32 exec_lo, exec_lo, s2
	ds_load_b32 v1, v7 offset:56
	v_cmp_lt_u32_e64 s0, 14, v110
	s_wait_dscnt 0x0
	ds_store_b32 v112, v1
	s_wait_dscnt 0x0
	s_barrier_signal -1
	s_barrier_wait -1
	s_and_saveexec_b32 s2, s0
	s_cbranch_execz .LBB37_226
; %bb.217:
	s_and_not1_b32 vcc_lo, exec_lo, s3
	s_cbranch_vccnz .LBB37_219
; %bb.218:
	ds_load_b32 v1, v113
	ds_load_b32 v80, v112
	s_wait_dscnt 0x0
	v_mul_f32_e32 v1, v1, v80
	s_cbranch_execz .LBB37_220
	s_branch .LBB37_221
.LBB37_219:
                                        ; implicit-def: $vgpr1
.LBB37_220:
	ds_load_b32 v1, v112
.LBB37_221:
	s_and_saveexec_b32 s4, s1
	s_cbranch_execz .LBB37_225
; %bb.222:
	s_movk_i32 s1, 0x98
	v_add_nc_u32_e32 v81, -15, v110
	v_mad_u32 v80, v0, s1, 0x17c
	s_movk_i32 s5, 0xdc
	s_mov_b32 s1, 0
.LBB37_223:                             ; =>This Inner Loop Header: Depth=1
	s_delay_alu instid0(VALU_DEP_2)
	v_dual_mov_b32 v82, s5 :: v_dual_add_nc_u32 v81, -1, v81
	s_add_co_i32 s5, s5, 4
	ds_load_b32 v83, v80
	ds_load_b32 v82, v82
	v_add_nc_u32_e32 v80, 4, v80
	v_cmp_eq_u32_e32 vcc_lo, 0, v81
	s_or_b32 s1, vcc_lo, s1
	s_wait_dscnt 0x0
	v_fmac_f32_e32 v1, v83, v82
	s_and_not1_b32 exec_lo, exec_lo, s1
	s_cbranch_execnz .LBB37_223
; %bb.224:
	s_or_b32 exec_lo, exec_lo, s1
.LBB37_225:
	s_delay_alu instid0(SALU_CYCLE_1)
	s_or_b32 exec_lo, exec_lo, s4
	v_mov_b32_e32 v80, 0
	ds_load_b32 v80, v80 offset:56
	s_wait_dscnt 0x0
	v_mul_f32_e32 v1, v1, v80
	ds_store_b32 v7, v1 offset:56
.LBB37_226:
	;; [unrolled: 57-line block ×15, first 2 shown]
	s_or_b32 exec_lo, exec_lo, s1
	ds_load_b32 v1, v7
	s_mov_b32 s1, 0
	s_mov_b32 s2, exec_lo
	s_wait_dscnt 0x0
	ds_store_b32 v112, v1
	s_wait_dscnt 0x0
	s_barrier_signal -1
	s_barrier_wait -1
	v_cmpx_ne_u32_e32 0, v110
	s_cbranch_execz .LBB37_366
; %bb.357:
	s_and_not1_b32 vcc_lo, exec_lo, s3
	s_cbranch_vccnz .LBB37_359
; %bb.358:
	ds_load_b32 v1, v113
	ds_load_b32 v80, v112
	s_wait_dscnt 0x0
	v_mul_f32_e32 v1, v1, v80
	s_cbranch_execz .LBB37_360
	s_branch .LBB37_361
.LBB37_359:
                                        ; implicit-def: $vgpr1
.LBB37_360:
	ds_load_b32 v1, v112
.LBB37_361:
	s_and_saveexec_b32 s4, s0
	s_cbranch_execz .LBB37_365
; %bb.362:
	s_movk_i32 s0, 0x98
	v_add_nc_u32_e32 v80, -1, v110
	v_mad_u32 v0, v0, s0, 0x144
	s_movk_i32 s5, 0xa4
	s_mov_b32 s0, 0
.LBB37_363:                             ; =>This Inner Loop Header: Depth=1
	s_delay_alu instid0(VALU_DEP_2)
	v_dual_mov_b32 v81, s5 :: v_dual_add_nc_u32 v80, -1, v80
	s_add_co_i32 s5, s5, 4
	ds_load_b32 v82, v0
	ds_load_b32 v81, v81
	v_add_nc_u32_e32 v0, 4, v0
	v_cmp_eq_u32_e32 vcc_lo, 0, v80
	s_or_b32 s0, vcc_lo, s0
	s_wait_dscnt 0x0
	v_fmac_f32_e32 v1, v82, v81
	s_and_not1_b32 exec_lo, exec_lo, s0
	s_cbranch_execnz .LBB37_363
; %bb.364:
	s_or_b32 exec_lo, exec_lo, s0
.LBB37_365:
	s_delay_alu instid0(SALU_CYCLE_1)
	s_or_b32 exec_lo, exec_lo, s4
	v_mov_b32_e32 v0, 0
	ds_load_b32 v0, v0
	s_wait_dscnt 0x0
	v_mul_f32_e32 v0, v1, v0
	ds_store_b32 v7, v0
.LBB37_366:
	s_or_b32 exec_lo, exec_lo, s2
.LBB37_367:
	v_lshl_add_u64 v[86:87], v[8:9], 2, s[6:7]
	v_lshl_add_u64 v[88:89], v[10:11], 2, s[6:7]
	;; [unrolled: 1-line block ×36, first 2 shown]
	s_and_b32 vcc_lo, exec_lo, s1
	s_cbranch_vccz .LBB37_729
; %bb.368:
	ds_load_b32 v48, v7 offset:4
	v_cmp_eq_u32_e64 s0, 0, v110
	s_wait_dscnt 0x0
	ds_store_b32 v112, v48
	s_wait_dscnt 0x0
	s_barrier_signal -1
	s_barrier_wait -1
	s_and_saveexec_b32 s1, s0
	s_cbranch_execz .LBB37_374
; %bb.369:
	s_and_b32 vcc_lo, exec_lo, s3
	s_cbranch_vccz .LBB37_371
; %bb.370:
	ds_load_b32 v48, v113
	ds_load_b32 v49, v112
	s_wait_dscnt 0x0
	v_mul_f32_e32 v48, v48, v49
	s_cbranch_execz .LBB37_372
	s_branch .LBB37_373
.LBB37_371:
                                        ; implicit-def: $vgpr48
.LBB37_372:
	ds_load_b32 v48, v112
.LBB37_373:
	v_mov_b32_e32 v49, 0
	ds_load_b32 v49, v49 offset:4
	s_wait_dscnt 0x0
	v_mul_f32_e32 v48, v48, v49
	ds_store_b32 v7, v48 offset:4
.LBB37_374:
	s_or_b32 exec_lo, exec_lo, s1
	ds_load_b32 v49, v7 offset:8
	v_cndmask_b32_e64 v48, 0, 1, s3
	s_mov_b32 s1, exec_lo
	s_wait_dscnt 0x0
	ds_store_b32 v112, v49
	s_wait_dscnt 0x0
	s_barrier_signal -1
	s_barrier_wait -1
	v_cmpx_gt_u32_e32 2, v110
	s_cbranch_execz .LBB37_380
; %bb.375:
	s_and_not1_b32 vcc_lo, exec_lo, s3
	s_cbranch_vccnz .LBB37_377
; %bb.376:
	ds_load_b32 v49, v113
	ds_load_b32 v50, v112
	s_wait_dscnt 0x0
	v_mul_f32_e32 v49, v49, v50
	s_cbranch_execz .LBB37_378
	s_branch .LBB37_379
.LBB37_377:
                                        ; implicit-def: $vgpr49
.LBB37_378:
	ds_load_b32 v49, v112
.LBB37_379:
	v_mov_b32_e32 v50, 0
	ds_load_b32 v52, v7 offset:4
	ds_load_2addr_b32 v[50:51], v50 offset0:2 offset1:41
	s_wait_dscnt 0x0
	v_fma_f32 v51, v52, v51, v49
	s_delay_alu instid0(VALU_DEP_1) | instskip(NEXT) | instid1(VALU_DEP_1)
	v_cndmask_b32_e64 v49, v49, v51, s0
	v_mul_f32_e32 v49, v49, v50
	ds_store_b32 v7, v49 offset:8
.LBB37_380:
	s_or_b32 exec_lo, exec_lo, s1
	ds_load_b32 v49, v7 offset:12
	s_mov_b32 s1, exec_lo
	s_wait_dscnt 0x0
	ds_store_b32 v112, v49
	s_wait_dscnt 0x0
	s_barrier_signal -1
	s_barrier_wait -1
	v_cmpx_gt_u32_e32 3, v110
	s_cbranch_execz .LBB37_388
; %bb.381:
	v_cmp_ne_u32_e32 vcc_lo, 1, v48
	s_cbranch_vccnz .LBB37_383
; %bb.382:
	ds_load_b32 v49, v113
	ds_load_b32 v50, v112
	s_wait_dscnt 0x0
	v_mul_f32_e32 v49, v49, v50
	s_cbranch_execz .LBB37_384
	s_branch .LBB37_385
.LBB37_383:
                                        ; implicit-def: $vgpr49
.LBB37_384:
	ds_load_b32 v49, v112
.LBB37_385:
	s_mov_b32 s2, exec_lo
	v_cmpx_ne_u32_e32 2, v110
	s_cbranch_execz .LBB37_387
; %bb.386:
	ds_load_b32 v50, v113 offset:4
	ds_load_b32 v51, v112 offset:4
	s_wait_dscnt 0x0
	v_dual_mov_b32 v52, 0 :: v_dual_fmac_f32 v49, v50, v51
	ds_load_b32 v53, v7 offset:8
	ds_load_b32 v52, v52 offset:168
	s_wait_dscnt 0x0
	v_fma_f32 v50, v53, v52, v49
	s_delay_alu instid0(VALU_DEP_1)
	v_cndmask_b32_e64 v49, v49, v50, s0
.LBB37_387:
	s_or_b32 exec_lo, exec_lo, s2
	v_mov_b32_e32 v50, 0
	ds_load_b32 v50, v50 offset:12
	s_wait_dscnt 0x0
	v_mul_f32_e32 v49, v49, v50
	ds_store_b32 v7, v49 offset:12
.LBB37_388:
	s_or_b32 exec_lo, exec_lo, s1
	ds_load_b32 v49, v7 offset:16
	s_mov_b32 s0, exec_lo
	s_wait_dscnt 0x0
	ds_store_b32 v112, v49
	s_wait_dscnt 0x0
	s_barrier_signal -1
	s_barrier_wait -1
	v_cmpx_gt_u32_e32 4, v110
	s_cbranch_execz .LBB37_398
; %bb.389:
	v_cmp_ne_u32_e32 vcc_lo, 1, v48
	s_cbranch_vccnz .LBB37_391
; %bb.390:
	ds_load_b32 v49, v113
	ds_load_b32 v50, v112
	s_wait_dscnt 0x0
	v_mul_f32_e32 v49, v49, v50
	s_cbranch_execz .LBB37_392
	s_branch .LBB37_393
.LBB37_391:
                                        ; implicit-def: $vgpr49
.LBB37_392:
	ds_load_b32 v49, v112
.LBB37_393:
	s_mov_b32 s1, exec_lo
	v_cmpx_ne_u32_e32 3, v110
	s_cbranch_execz .LBB37_397
; %bb.394:
	v_add_nc_u32_e32 v50, 0xa4, v6
	v_add3_u32 v51, v111, v6, 0x144
	v_mov_b32_e32 v52, v110
	s_mov_b32 s2, 0
.LBB37_395:                             ; =>This Inner Loop Header: Depth=1
	ds_load_b32 v53, v51
	ds_load_b32 v54, v50
	v_dual_add_nc_u32 v52, 1, v52 :: v_dual_add_nc_u32 v50, 4, v50
	v_add_nc_u32_e32 v51, 4, v51
	s_delay_alu instid0(VALU_DEP_2)
	v_cmp_lt_u32_e32 vcc_lo, 2, v52
	s_or_b32 s2, vcc_lo, s2
	s_wait_dscnt 0x0
	v_fmac_f32_e32 v49, v53, v54
	s_and_not1_b32 exec_lo, exec_lo, s2
	s_cbranch_execnz .LBB37_395
; %bb.396:
	s_or_b32 exec_lo, exec_lo, s2
.LBB37_397:
	s_delay_alu instid0(SALU_CYCLE_1)
	s_or_b32 exec_lo, exec_lo, s1
	v_mov_b32_e32 v50, 0
	ds_load_b32 v50, v50 offset:16
	s_wait_dscnt 0x0
	v_mul_f32_e32 v49, v49, v50
	ds_store_b32 v7, v49 offset:16
.LBB37_398:
	s_or_b32 exec_lo, exec_lo, s0
	ds_load_b32 v49, v7 offset:20
	s_mov_b32 s0, exec_lo
	s_wait_dscnt 0x0
	ds_store_b32 v112, v49
	s_wait_dscnt 0x0
	s_barrier_signal -1
	s_barrier_wait -1
	v_cmpx_gt_u32_e32 5, v110
	s_cbranch_execz .LBB37_408
; %bb.399:
	v_cmp_ne_u32_e32 vcc_lo, 1, v48
	s_cbranch_vccnz .LBB37_401
; %bb.400:
	ds_load_b32 v49, v113
	ds_load_b32 v50, v112
	s_wait_dscnt 0x0
	v_mul_f32_e32 v49, v49, v50
	s_cbranch_execz .LBB37_402
	s_branch .LBB37_403
.LBB37_401:
                                        ; implicit-def: $vgpr49
.LBB37_402:
	ds_load_b32 v49, v112
.LBB37_403:
	s_mov_b32 s1, exec_lo
	v_cmpx_ne_u32_e32 4, v110
	s_cbranch_execz .LBB37_407
; %bb.404:
	v_add_nc_u32_e32 v50, 0xa4, v6
	v_add3_u32 v51, v111, v6, 0x144
	v_mov_b32_e32 v52, v110
	s_mov_b32 s2, 0
.LBB37_405:                             ; =>This Inner Loop Header: Depth=1
	ds_load_b32 v53, v51
	ds_load_b32 v54, v50
	v_dual_add_nc_u32 v52, 1, v52 :: v_dual_add_nc_u32 v50, 4, v50
	v_add_nc_u32_e32 v51, 4, v51
	s_delay_alu instid0(VALU_DEP_2)
	v_cmp_lt_u32_e32 vcc_lo, 3, v52
	s_or_b32 s2, vcc_lo, s2
	s_wait_dscnt 0x0
	v_fmac_f32_e32 v49, v53, v54
	s_and_not1_b32 exec_lo, exec_lo, s2
	s_cbranch_execnz .LBB37_405
; %bb.406:
	s_or_b32 exec_lo, exec_lo, s2
.LBB37_407:
	s_delay_alu instid0(SALU_CYCLE_1)
	s_or_b32 exec_lo, exec_lo, s1
	v_mov_b32_e32 v50, 0
	ds_load_b32 v50, v50 offset:20
	s_wait_dscnt 0x0
	v_mul_f32_e32 v49, v49, v50
	ds_store_b32 v7, v49 offset:20
.LBB37_408:
	;; [unrolled: 56-line block ×32, first 2 shown]
	s_or_b32 exec_lo, exec_lo, s0
	ds_load_b32 v49, v7 offset:144
	v_cmp_gt_u32_e64 s0, 36, v110
	s_wait_dscnt 0x0
	ds_store_b32 v112, v49
	s_wait_dscnt 0x0
	s_barrier_signal -1
	s_barrier_wait -1
	s_and_saveexec_b32 s1, s0
	s_cbranch_execz .LBB37_718
; %bb.709:
	v_cmp_ne_u32_e32 vcc_lo, 1, v48
	s_cbranch_vccnz .LBB37_711
; %bb.710:
	ds_load_b32 v49, v113
	ds_load_b32 v50, v112
	s_wait_dscnt 0x0
	v_mul_f32_e32 v49, v49, v50
	s_cbranch_execz .LBB37_712
	s_branch .LBB37_713
.LBB37_711:
                                        ; implicit-def: $vgpr49
.LBB37_712:
	ds_load_b32 v49, v112
.LBB37_713:
	s_mov_b32 s2, exec_lo
	v_cmpx_ne_u32_e32 35, v110
	s_cbranch_execz .LBB37_717
; %bb.714:
	v_add_nc_u32_e32 v50, 0xa4, v6
	v_add3_u32 v51, v111, v6, 0x144
	v_mov_b32_e32 v52, v110
	s_mov_b32 s3, 0
.LBB37_715:                             ; =>This Inner Loop Header: Depth=1
	ds_load_b32 v53, v51
	ds_load_b32 v54, v50
	v_dual_add_nc_u32 v52, 1, v52 :: v_dual_add_nc_u32 v50, 4, v50
	v_add_nc_u32_e32 v51, 4, v51
	s_delay_alu instid0(VALU_DEP_2)
	v_cmp_lt_u32_e32 vcc_lo, 34, v52
	s_or_b32 s3, vcc_lo, s3
	s_wait_dscnt 0x0
	v_fmac_f32_e32 v49, v53, v54
	s_and_not1_b32 exec_lo, exec_lo, s3
	s_cbranch_execnz .LBB37_715
; %bb.716:
	s_or_b32 exec_lo, exec_lo, s3
.LBB37_717:
	s_delay_alu instid0(SALU_CYCLE_1)
	s_or_b32 exec_lo, exec_lo, s2
	v_mov_b32_e32 v50, 0
	ds_load_b32 v50, v50 offset:144
	s_wait_dscnt 0x0
	v_mul_f32_e32 v49, v49, v50
	ds_store_b32 v7, v49 offset:144
.LBB37_718:
	s_or_b32 exec_lo, exec_lo, s1
	ds_load_b32 v49, v7 offset:148
	s_mov_b32 s1, exec_lo
	s_wait_dscnt 0x0
	ds_store_b32 v112, v49
	s_wait_dscnt 0x0
	s_barrier_signal -1
	s_barrier_wait -1
	v_cmpx_ne_u32_e32 37, v110
	s_cbranch_execz .LBB37_728
; %bb.719:
	v_cmp_ne_u32_e32 vcc_lo, 1, v48
	s_cbranch_vccnz .LBB37_721
; %bb.720:
	ds_load_b32 v48, v113
	ds_load_b32 v49, v112
	s_wait_dscnt 0x0
	v_mul_f32_e32 v48, v48, v49
	s_cbranch_execz .LBB37_722
	s_branch .LBB37_723
.LBB37_721:
                                        ; implicit-def: $vgpr48
.LBB37_722:
	ds_load_b32 v48, v112
.LBB37_723:
	s_and_saveexec_b32 s2, s0
	s_cbranch_execz .LBB37_727
; %bb.724:
	v_add_nc_u32_e32 v49, 0xa4, v6
	v_add3_u32 v6, v111, v6, 0x144
	s_mov_b32 s0, 0
.LBB37_725:                             ; =>This Inner Loop Header: Depth=1
	ds_load_b32 v50, v6
	ds_load_b32 v51, v49
	v_dual_add_nc_u32 v110, 1, v110 :: v_dual_add_nc_u32 v49, 4, v49
	v_add_nc_u32_e32 v6, 4, v6
	s_delay_alu instid0(VALU_DEP_2)
	v_cmp_lt_u32_e32 vcc_lo, 35, v110
	s_or_b32 s0, vcc_lo, s0
	s_wait_dscnt 0x0
	v_fmac_f32_e32 v48, v50, v51
	s_and_not1_b32 exec_lo, exec_lo, s0
	s_cbranch_execnz .LBB37_725
; %bb.726:
	s_or_b32 exec_lo, exec_lo, s0
.LBB37_727:
	s_delay_alu instid0(SALU_CYCLE_1)
	s_or_b32 exec_lo, exec_lo, s2
	v_mov_b32_e32 v6, 0
	ds_load_b32 v6, v6 offset:148
	s_wait_dscnt 0x0
	v_mul_f32_e32 v6, v48, v6
	ds_store_b32 v7, v6 offset:148
.LBB37_728:
	s_or_b32 exec_lo, exec_lo, s1
.LBB37_729:
	ds_load_b128 v[48:51], v7
	ds_load_b128 v[52:55], v7 offset:16
	ds_load_b128 v[56:59], v7 offset:32
	;; [unrolled: 1-line block ×7, first 2 shown]
	s_wait_dscnt 0x7
	s_clause 0x3
	global_store_b32 v[2:3], v48, off
	global_store_b32 v[4:5], v49, off
	global_store_b32 v[86:87], v50, off
	global_store_b32 v[88:89], v51, off
	s_wait_dscnt 0x6
	s_clause 0x3
	global_store_b32 v[90:91], v52, off
	global_store_b32 v[92:93], v53, off
	global_store_b32 v[94:95], v54, off
	global_store_b32 v[96:97], v55, off
	s_wait_dscnt 0x5
	s_clause 0x3
	global_store_b32 v[98:99], v56, off
	global_store_b32 v[100:101], v57, off
	global_store_b32 v[102:103], v58, off
	global_store_b32 v[104:105], v59, off
	s_wait_dscnt 0x4
	s_clause 0x1
	global_store_b32 v[106:107], v60, off
	global_store_b32 v[108:109], v61, off
	s_wait_xcnt 0xc
	ds_load_b128 v[2:5], v7 offset:128
	s_clause 0x1
	global_store_b32 v[80:81], v62, off
	global_store_b32 v[82:83], v63, off
	s_wait_dscnt 0x4
	global_store_b32 v[84:85], v64, off
	ds_load_b64 v[6:7], v7 offset:144
	s_clause 0x2
	global_store_b32 v[0:1], v65, off
	global_store_b32 v[8:9], v66, off
	global_store_b32 v[10:11], v67, off
	s_wait_dscnt 0x4
	s_clause 0x3
	global_store_b32 v[12:13], v68, off
	global_store_b32 v[14:15], v69, off
	global_store_b32 v[16:17], v70, off
	global_store_b32 v[18:19], v71, off
	s_wait_dscnt 0x3
	s_clause 0x3
	global_store_b32 v[20:21], v72, off
	;; [unrolled: 6-line block ×5, first 2 shown]
	global_store_b32 v[46:47], v7, off
.LBB37_730:
	s_sendmsg sendmsg(MSG_DEALLOC_VGPRS)
	s_endpgm
	.section	.rodata,"a",@progbits
	.p2align	6, 0x0
	.amdhsa_kernel _ZN9rocsolver6v33100L18trti2_kernel_smallILi38EfPfEEv13rocblas_fill_17rocblas_diagonal_T1_iil
		.amdhsa_group_segment_fixed_size 10048
		.amdhsa_private_segment_fixed_size 0
		.amdhsa_kernarg_size 32
		.amdhsa_user_sgpr_count 4
		.amdhsa_user_sgpr_dispatch_ptr 1
		.amdhsa_user_sgpr_queue_ptr 0
		.amdhsa_user_sgpr_kernarg_segment_ptr 1
		.amdhsa_user_sgpr_dispatch_id 0
		.amdhsa_user_sgpr_kernarg_preload_length 0
		.amdhsa_user_sgpr_kernarg_preload_offset 0
		.amdhsa_user_sgpr_private_segment_size 0
		.amdhsa_wavefront_size32 1
		.amdhsa_uses_dynamic_stack 0
		.amdhsa_enable_private_segment 0
		.amdhsa_system_sgpr_workgroup_id_x 1
		.amdhsa_system_sgpr_workgroup_id_y 0
		.amdhsa_system_sgpr_workgroup_id_z 0
		.amdhsa_system_sgpr_workgroup_info 0
		.amdhsa_system_vgpr_workitem_id 2
		.amdhsa_next_free_vgpr 120
		.amdhsa_next_free_sgpr 14
		.amdhsa_named_barrier_count 0
		.amdhsa_reserve_vcc 1
		.amdhsa_float_round_mode_32 0
		.amdhsa_float_round_mode_16_64 0
		.amdhsa_float_denorm_mode_32 3
		.amdhsa_float_denorm_mode_16_64 3
		.amdhsa_fp16_overflow 0
		.amdhsa_memory_ordered 1
		.amdhsa_forward_progress 1
		.amdhsa_inst_pref_size 152
		.amdhsa_round_robin_scheduling 0
		.amdhsa_exception_fp_ieee_invalid_op 0
		.amdhsa_exception_fp_denorm_src 0
		.amdhsa_exception_fp_ieee_div_zero 0
		.amdhsa_exception_fp_ieee_overflow 0
		.amdhsa_exception_fp_ieee_underflow 0
		.amdhsa_exception_fp_ieee_inexact 0
		.amdhsa_exception_int_div_zero 0
	.end_amdhsa_kernel
	.section	.text._ZN9rocsolver6v33100L18trti2_kernel_smallILi38EfPfEEv13rocblas_fill_17rocblas_diagonal_T1_iil,"axG",@progbits,_ZN9rocsolver6v33100L18trti2_kernel_smallILi38EfPfEEv13rocblas_fill_17rocblas_diagonal_T1_iil,comdat
.Lfunc_end37:
	.size	_ZN9rocsolver6v33100L18trti2_kernel_smallILi38EfPfEEv13rocblas_fill_17rocblas_diagonal_T1_iil, .Lfunc_end37-_ZN9rocsolver6v33100L18trti2_kernel_smallILi38EfPfEEv13rocblas_fill_17rocblas_diagonal_T1_iil
                                        ; -- End function
	.set _ZN9rocsolver6v33100L18trti2_kernel_smallILi38EfPfEEv13rocblas_fill_17rocblas_diagonal_T1_iil.num_vgpr, 120
	.set _ZN9rocsolver6v33100L18trti2_kernel_smallILi38EfPfEEv13rocblas_fill_17rocblas_diagonal_T1_iil.num_agpr, 0
	.set _ZN9rocsolver6v33100L18trti2_kernel_smallILi38EfPfEEv13rocblas_fill_17rocblas_diagonal_T1_iil.numbered_sgpr, 14
	.set _ZN9rocsolver6v33100L18trti2_kernel_smallILi38EfPfEEv13rocblas_fill_17rocblas_diagonal_T1_iil.num_named_barrier, 0
	.set _ZN9rocsolver6v33100L18trti2_kernel_smallILi38EfPfEEv13rocblas_fill_17rocblas_diagonal_T1_iil.private_seg_size, 0
	.set _ZN9rocsolver6v33100L18trti2_kernel_smallILi38EfPfEEv13rocblas_fill_17rocblas_diagonal_T1_iil.uses_vcc, 1
	.set _ZN9rocsolver6v33100L18trti2_kernel_smallILi38EfPfEEv13rocblas_fill_17rocblas_diagonal_T1_iil.uses_flat_scratch, 0
	.set _ZN9rocsolver6v33100L18trti2_kernel_smallILi38EfPfEEv13rocblas_fill_17rocblas_diagonal_T1_iil.has_dyn_sized_stack, 0
	.set _ZN9rocsolver6v33100L18trti2_kernel_smallILi38EfPfEEv13rocblas_fill_17rocblas_diagonal_T1_iil.has_recursion, 0
	.set _ZN9rocsolver6v33100L18trti2_kernel_smallILi38EfPfEEv13rocblas_fill_17rocblas_diagonal_T1_iil.has_indirect_call, 0
	.section	.AMDGPU.csdata,"",@progbits
; Kernel info:
; codeLenInByte = 19436
; TotalNumSgprs: 16
; NumVgprs: 120
; ScratchSize: 0
; MemoryBound: 0
; FloatMode: 240
; IeeeMode: 1
; LDSByteSize: 10048 bytes/workgroup (compile time only)
; SGPRBlocks: 0
; VGPRBlocks: 7
; NumSGPRsForWavesPerEU: 16
; NumVGPRsForWavesPerEU: 120
; NamedBarCnt: 0
; Occupancy: 8
; WaveLimiterHint : 0
; COMPUTE_PGM_RSRC2:SCRATCH_EN: 0
; COMPUTE_PGM_RSRC2:USER_SGPR: 4
; COMPUTE_PGM_RSRC2:TRAP_HANDLER: 0
; COMPUTE_PGM_RSRC2:TGID_X_EN: 1
; COMPUTE_PGM_RSRC2:TGID_Y_EN: 0
; COMPUTE_PGM_RSRC2:TGID_Z_EN: 0
; COMPUTE_PGM_RSRC2:TIDIG_COMP_CNT: 2
	.section	.text._ZN9rocsolver6v33100L18trti2_kernel_smallILi39EfPfEEv13rocblas_fill_17rocblas_diagonal_T1_iil,"axG",@progbits,_ZN9rocsolver6v33100L18trti2_kernel_smallILi39EfPfEEv13rocblas_fill_17rocblas_diagonal_T1_iil,comdat
	.globl	_ZN9rocsolver6v33100L18trti2_kernel_smallILi39EfPfEEv13rocblas_fill_17rocblas_diagonal_T1_iil ; -- Begin function _ZN9rocsolver6v33100L18trti2_kernel_smallILi39EfPfEEv13rocblas_fill_17rocblas_diagonal_T1_iil
	.p2align	8
	.type	_ZN9rocsolver6v33100L18trti2_kernel_smallILi39EfPfEEv13rocblas_fill_17rocblas_diagonal_T1_iil,@function
_ZN9rocsolver6v33100L18trti2_kernel_smallILi39EfPfEEv13rocblas_fill_17rocblas_diagonal_T1_iil: ; @_ZN9rocsolver6v33100L18trti2_kernel_smallILi39EfPfEEv13rocblas_fill_17rocblas_diagonal_T1_iil
; %bb.0:
	s_mov_b32 s2, exec_lo
	v_cmpx_gt_u32_e32 39, v0
	s_cbranch_execz .LBB38_750
; %bb.1:
	s_load_b256 s[4:11], s[0:1], 0x0
	s_wait_xcnt 0x0
	s_bfe_u32 s0, ttmp6, 0x4000c
	s_and_b32 s1, ttmp6, 15
	s_add_co_i32 s0, s0, 1
	s_getreg_b32 s2, hwreg(HW_REG_IB_STS2, 6, 4)
	s_mul_i32 s0, ttmp9, s0
	v_mov_b32_e32 v7, 0
	s_add_co_i32 s0, s1, s0
	s_wait_kmcnt 0x0
	v_add3_u32 v8, s9, s9, v0
	s_ashr_i32 s1, s8, 31
	s_cmp_eq_u32 s2, 0
	s_cselect_b32 s2, ttmp9, s0
	s_delay_alu instid0(VALU_DEP_1)
	v_add_nc_u32_e32 v10, s9, v8
	s_ashr_i32 s3, s2, 31
	s_mov_b32 s0, s8
	s_mul_u64 s[2:3], s[10:11], s[2:3]
	s_lshl_b64 s[0:1], s[0:1], 2
	v_add_nc_u32_e32 v12, s9, v10
	s_lshl_b64 s[2:3], s[2:3], 2
	v_ashrrev_i32_e32 v9, 31, v8
	s_add_nc_u64 s[2:3], s[6:7], s[2:3]
	s_delay_alu instid0(VALU_DEP_2)
	v_add_nc_u32_e32 v14, s9, v12
	s_add_nc_u64 s[6:7], s[2:3], s[0:1]
	s_mov_b32 s0, s9
	s_ashr_i32 s1, s9, 31
	s_cmp_lg_u32 s5, 0x84
	v_add_nc_u32_e32 v16, s9, v14
	s_cselect_b32 s3, -1, 0
	s_cmp_eq_u32 s5, 0x84
	s_delay_alu instid0(VALU_DEP_1) | instskip(NEXT) | instid1(VALU_DEP_1)
	v_dual_ashrrev_i32 v11, 31, v10 :: v_dual_add_nc_u32 v18, s9, v16
	v_dual_ashrrev_i32 v17, 31, v16 :: v_dual_ashrrev_i32 v19, 31, v18
	v_dual_add_nc_u32 v20, s9, v18 :: v_dual_ashrrev_i32 v13, 31, v12
	s_delay_alu instid0(VALU_DEP_1) | instskip(NEXT) | instid1(VALU_DEP_1)
	v_dual_ashrrev_i32 v15, 31, v14 :: v_dual_add_nc_u32 v22, s9, v20
	v_add_nc_u32_e32 v24, s9, v22
	s_delay_alu instid0(VALU_DEP_1) | instskip(NEXT) | instid1(VALU_DEP_1)
	v_add_nc_u32_e32 v26, s9, v24
	v_dual_add_nc_u32 v28, s9, v26 :: v_dual_ashrrev_i32 v21, 31, v20
	s_delay_alu instid0(VALU_DEP_1) | instskip(NEXT) | instid1(VALU_DEP_1)
	v_dual_ashrrev_i32 v23, 31, v22 :: v_dual_add_nc_u32 v30, s9, v28
	v_dual_ashrrev_i32 v29, 31, v28 :: v_dual_ashrrev_i32 v31, 31, v30
	v_dual_add_nc_u32 v32, s9, v30 :: v_dual_ashrrev_i32 v25, 31, v24
	s_delay_alu instid0(VALU_DEP_1) | instskip(SKIP_1) | instid1(VALU_DEP_2)
	v_dual_ashrrev_i32 v27, 31, v26 :: v_dual_add_nc_u32 v34, s9, v32
	v_lshlrev_b32_e32 v6, 2, v0
	v_dual_ashrrev_i32 v33, 31, v32 :: v_dual_ashrrev_i32 v35, 31, v34
	v_add_nc_u32_e32 v36, s9, v34
	s_delay_alu instid0(VALU_DEP_3) | instskip(NEXT) | instid1(VALU_DEP_2)
	v_add_nc_u64_e32 v[2:3], s[6:7], v[6:7]
	v_add_nc_u32_e32 v38, s9, v36
	s_delay_alu instid0(VALU_DEP_2)
	v_lshl_add_u64 v[4:5], s[0:1], 2, v[2:3]
	s_clause 0x7
	global_load_b32 v64, v0, s[6:7] scale_offset
	global_load_b32 v66, v8, s[6:7] scale_offset
	;; [unrolled: 1-line block ×7, first 2 shown]
	global_load_b32 v65, v[4:5], off
	v_add_nc_u32_e32 v40, s9, v38
	s_clause 0x7
	global_load_b32 v72, v20, s[6:7] scale_offset
	global_load_b32 v73, v22, s[6:7] scale_offset
	;; [unrolled: 1-line block ×8, first 2 shown]
	v_add_nc_u32_e32 v42, s9, v40
	s_delay_alu instid0(VALU_DEP_1) | instskip(NEXT) | instid1(VALU_DEP_1)
	v_dual_add_nc_u32 v44, s9, v42 :: v_dual_ashrrev_i32 v37, 31, v36
	v_dual_ashrrev_i32 v39, 31, v38 :: v_dual_add_nc_u32 v46, s9, v44
	s_delay_alu instid0(VALU_DEP_1)
	v_dual_ashrrev_i32 v45, 31, v44 :: v_dual_ashrrev_i32 v47, 31, v46
	v_add_nc_u32_e32 v48, s9, v46
	s_clause 0x3
	global_load_b32 v80, v36, s[6:7] scale_offset
	global_load_b32 v81, v38, s[6:7] scale_offset
	;; [unrolled: 1-line block ×4, first 2 shown]
	v_dual_ashrrev_i32 v41, 31, v40 :: v_dual_ashrrev_i32 v43, 31, v42
	v_add_nc_u32_e32 v50, s9, v48
	s_delay_alu instid0(VALU_DEP_1) | instskip(NEXT) | instid1(VALU_DEP_1)
	v_add_nc_u32_e32 v52, s9, v50
	v_add_nc_u32_e32 v54, s9, v52
	s_delay_alu instid0(VALU_DEP_1) | instskip(NEXT) | instid1(VALU_DEP_1)
	v_dual_add_nc_u32 v56, s9, v54 :: v_dual_ashrrev_i32 v49, 31, v48
	v_dual_ashrrev_i32 v51, 31, v50 :: v_dual_add_nc_u32 v58, s9, v56
	s_delay_alu instid0(VALU_DEP_1)
	v_dual_ashrrev_i32 v57, 31, v56 :: v_dual_ashrrev_i32 v59, 31, v58
	v_add_nc_u32_e32 v60, s9, v58
	s_clause 0x7
	global_load_b32 v84, v44, s[6:7] scale_offset
	global_load_b32 v85, v46, s[6:7] scale_offset
	global_load_b32 v86, v48, s[6:7] scale_offset
	global_load_b32 v87, v50, s[6:7] scale_offset
	global_load_b32 v88, v52, s[6:7] scale_offset
	global_load_b32 v89, v54, s[6:7] scale_offset
	global_load_b32 v90, v56, s[6:7] scale_offset
	global_load_b32 v91, v58, s[6:7] scale_offset
	v_dual_ashrrev_i32 v53, 31, v52 :: v_dual_ashrrev_i32 v55, 31, v54
	v_add_nc_u32_e32 v62, s9, v60
	s_wait_loadcnt 0x15
	scratch_store_b128 off, v[68:71], off offset:16
	s_wait_loadcnt 0x14
	scratch_store_b128 off, v[64:67], off
	s_wait_xcnt 0x0
	v_add_nc_u32_e32 v64, s9, v62
	s_wait_loadcnt 0x10
	scratch_store_b128 off, v[72:75], off offset:32
	v_add_nc_u32_e32 v66, s9, v64
	s_delay_alu instid0(VALU_DEP_1) | instskip(NEXT) | instid1(VALU_DEP_1)
	v_dual_add_nc_u32 v68, s9, v66 :: v_dual_ashrrev_i32 v61, 31, v60
	v_dual_ashrrev_i32 v63, 31, v62 :: v_dual_add_nc_u32 v70, s9, v68
	s_delay_alu instid0(VALU_DEP_1)
	v_dual_ashrrev_i32 v69, 31, v68 :: v_dual_ashrrev_i32 v71, 31, v70
	s_wait_xcnt 0x0
	v_add_nc_u32_e32 v72, s9, v70
	s_clause 0x3
	global_load_b32 v92, v60, s[6:7] scale_offset
	global_load_b32 v93, v62, s[6:7] scale_offset
	global_load_b32 v94, v64, s[6:7] scale_offset
	global_load_b32 v95, v66, s[6:7] scale_offset
	s_wait_loadcnt 0x10
	scratch_store_b128 off, v[76:79], off offset:48
	s_wait_loadcnt 0xc
	scratch_store_b128 off, v[80:83], off offset:64
	v_dual_ashrrev_i32 v65, 31, v64 :: v_dual_ashrrev_i32 v67, 31, v66
	s_wait_xcnt 0x0
	v_dual_add_nc_u32 v74, s9, v72 :: v_dual_mov_b32 v82, -1.0
	s_delay_alu instid0(VALU_DEP_1) | instskip(NEXT) | instid1(VALU_DEP_1)
	v_add_nc_u32_e32 v76, s9, v74
	v_dual_add_nc_u32 v78, s9, v76 :: v_dual_ashrrev_i32 v77, 31, v76
	s_delay_alu instid0(VALU_DEP_1) | instskip(SKIP_1) | instid1(VALU_DEP_2)
	v_dual_ashrrev_i32 v79, 31, v78 :: v_dual_add_nc_u32 v80, s9, v78
	v_dual_ashrrev_i32 v73, 31, v72 :: v_dual_ashrrev_i32 v75, 31, v74
	v_ashrrev_i32_e32 v81, 31, v80
	s_wait_loadcnt 0x8
	scratch_store_b128 off, v[84:87], off offset:80
	s_wait_loadcnt 0x4
	scratch_store_b128 off, v[88:91], off offset:96
	s_clause 0x6
	global_load_b32 v84, v68, s[6:7] scale_offset
	global_load_b32 v85, v70, s[6:7] scale_offset
	;; [unrolled: 1-line block ×7, first 2 shown]
	s_wait_loadcnt 0x7
	scratch_store_b128 off, v[92:95], off offset:112
	s_wait_loadcnt 0x3
	scratch_store_b128 off, v[84:87], off offset:128
	s_wait_loadcnt 0x0
	scratch_store_b96 off, v[88:90], off offset:144
	s_cbranch_scc1 .LBB38_3
; %bb.2:
	scratch_load_b32 v1, v0, off scale_offset
	s_wait_loadcnt 0x0
	v_div_scale_f32 v7, null, v1, v1, 1.0
	s_delay_alu instid0(VALU_DEP_1) | instskip(SKIP_1) | instid1(TRANS32_DEP_1)
	v_rcp_f32_e32 v82, v7
	v_nop
	v_fma_f32 v83, -v7, v82, 1.0
	s_delay_alu instid0(VALU_DEP_1) | instskip(SKIP_2) | instid1(VALU_DEP_1)
	v_fmac_f32_e32 v82, v83, v82
	v_div_scale_f32 v83, vcc_lo, 1.0, v1, 1.0
	s_wait_xcnt 0x2
	v_mul_f32_e32 v84, v83, v82
	s_delay_alu instid0(VALU_DEP_1) | instskip(NEXT) | instid1(VALU_DEP_1)
	v_fma_f32 v85, -v7, v84, v83
	v_fmac_f32_e32 v84, v85, v82
	s_delay_alu instid0(VALU_DEP_1) | instskip(NEXT) | instid1(VALU_DEP_1)
	v_fma_f32 v7, -v7, v84, v83
	v_div_fmas_f32 v7, v7, v82, v84
	s_delay_alu instid0(VALU_DEP_1) | instskip(NEXT) | instid1(VALU_DEP_1)
	v_div_fixup_f32 v1, v7, v1, 1.0
	v_xor_b32_e32 v82, 0x80000000, v1
	scratch_store_b32 v0, v1, off scale_offset
.LBB38_3:
	s_wait_xcnt 0x0
	v_add_nc_u32_e32 v1, 0xa0, v6
	v_mov_b32_e32 v7, v6
	s_cmp_eq_u32 s4, 0x79
	s_mov_b32 s1, -1
	ds_store_b32 v6, v82
	s_cbranch_scc1 .LBB38_377
; %bb.4:
	scratch_load_b32 v82, off, off offset:148
	v_cmp_eq_u32_e64 s0, 38, v0
	s_movk_i32 s1, 0x50
	s_movk_i32 s2, 0x60
	;; [unrolled: 1-line block ×5, first 2 shown]
	s_wait_loadcnt 0x0
	ds_store_b32 v1, v82
	s_wait_storecnt_dscnt 0x0
	s_barrier_signal -1
	s_barrier_wait -1
	s_wait_xcnt 0x0
	s_and_saveexec_b32 s4, s0
	s_cbranch_execz .LBB38_10
; %bb.5:
	s_and_b32 vcc_lo, exec_lo, s3
	s_cbranch_vccz .LBB38_7
; %bb.6:
	scratch_load_b32 v82, v7, off
	ds_load_b32 v83, v1
	s_wait_loadcnt_dscnt 0x0
	v_mul_f32_e32 v82, v82, v83
	s_cbranch_execz .LBB38_8
	s_branch .LBB38_9
.LBB38_7:
                                        ; implicit-def: $vgpr82
.LBB38_8:
	ds_load_b32 v82, v1
.LBB38_9:
	v_mov_b32_e32 v83, 0
	ds_load_b32 v83, v83 offset:148
	s_wait_dscnt 0x0
	v_mul_f32_e32 v82, v82, v83
	scratch_store_b32 off, v82, off offset:148
.LBB38_10:
	s_wait_xcnt 0x0
	s_or_b32 exec_lo, exec_lo, s4
	scratch_load_b32 v82, off, off offset:144
	s_mov_b32 s11, s2
	v_cmp_lt_u32_e64 s2, 36, v0
	s_mov_b32 s4, 16
	s_mov_b32 s5, 32
	;; [unrolled: 1-line block ×5, first 2 shown]
	s_wait_loadcnt 0x0
	ds_store_b32 v1, v82
	s_wait_storecnt_dscnt 0x0
	s_barrier_signal -1
	s_barrier_wait -1
	s_wait_xcnt 0x0
	s_and_saveexec_b32 s1, s2
	s_cbranch_execz .LBB38_16
; %bb.11:
	s_and_not1_b32 vcc_lo, exec_lo, s3
	s_cbranch_vccnz .LBB38_13
; %bb.12:
	scratch_load_b32 v82, v7, off
	ds_load_b32 v83, v1
	s_wait_loadcnt_dscnt 0x0
	v_mul_f32_e32 v82, v82, v83
	s_cbranch_execz .LBB38_14
	s_branch .LBB38_15
.LBB38_13:
                                        ; implicit-def: $vgpr82
.LBB38_14:
	ds_load_b32 v82, v1
.LBB38_15:
	scratch_load_b32 v83, off, off offset:148
	v_mov_b32_e32 v84, 0
	ds_load_2addr_b32 v[84:85], v84 offset0:36 offset1:77
	s_wait_loadcnt_dscnt 0x0
	v_fma_f32 v83, v83, v85, v82
	s_delay_alu instid0(VALU_DEP_1) | instskip(NEXT) | instid1(VALU_DEP_1)
	v_cndmask_b32_e64 v82, v82, v83, s0
	v_mul_f32_e32 v82, v82, v84
	scratch_store_b32 off, v82, off offset:144
.LBB38_16:
	s_wait_xcnt 0x0
	s_or_b32 exec_lo, exec_lo, s1
	scratch_load_b32 v82, off, off offset:140
	v_cmp_lt_u32_e64 s1, 35, v0
	s_wait_loadcnt 0x0
	ds_store_b32 v1, v82
	s_wait_storecnt_dscnt 0x0
	s_barrier_signal -1
	s_barrier_wait -1
	s_wait_xcnt 0x0
	s_and_saveexec_b32 s0, s1
	s_cbranch_execz .LBB38_26
; %bb.17:
	s_and_not1_b32 vcc_lo, exec_lo, s3
	s_cbranch_vccnz .LBB38_19
; %bb.18:
	scratch_load_b32 v82, v7, off
	ds_load_b32 v83, v1
	s_wait_loadcnt_dscnt 0x0
	v_mul_f32_e32 v82, v82, v83
	s_cbranch_execz .LBB38_20
	s_branch .LBB38_21
.LBB38_19:
                                        ; implicit-def: $vgpr82
.LBB38_20:
	ds_load_b32 v82, v1
.LBB38_21:
	s_and_saveexec_b32 s15, s2
	s_cbranch_execz .LBB38_25
; %bb.22:
	v_subrev_nc_u32_e32 v83, 36, v0
	s_movk_i32 s16, 0x130
	s_mov_b32 s2, 0
.LBB38_23:                              ; =>This Inner Loop Header: Depth=1
	scratch_load_b32 v84, off, s14
	v_dual_mov_b32 v85, s16 :: v_dual_add_nc_u32 v83, -1, v83
	s_add_co_i32 s16, s16, 4
	s_wait_xcnt 0x0
	s_add_co_i32 s14, s14, 4
	ds_load_b32 v85, v85
	v_cmp_eq_u32_e32 vcc_lo, 0, v83
	s_or_b32 s2, vcc_lo, s2
	s_wait_loadcnt_dscnt 0x0
	v_fmac_f32_e32 v82, v84, v85
	s_and_not1_b32 exec_lo, exec_lo, s2
	s_cbranch_execnz .LBB38_23
; %bb.24:
	s_or_b32 exec_lo, exec_lo, s2
.LBB38_25:
	s_delay_alu instid0(SALU_CYCLE_1)
	s_or_b32 exec_lo, exec_lo, s15
	v_mov_b32_e32 v83, 0
	ds_load_b32 v83, v83 offset:140
	s_wait_dscnt 0x0
	v_mul_f32_e32 v82, v82, v83
	scratch_store_b32 off, v82, off offset:140
.LBB38_26:
	s_wait_xcnt 0x0
	s_or_b32 exec_lo, exec_lo, s0
	scratch_load_b32 v82, off, off offset:136
	v_cmp_lt_u32_e64 s0, 34, v0
	s_wait_loadcnt 0x0
	ds_store_b32 v1, v82
	s_wait_storecnt_dscnt 0x0
	s_barrier_signal -1
	s_barrier_wait -1
	s_wait_xcnt 0x0
	s_and_saveexec_b32 s2, s0
	s_cbranch_execz .LBB38_36
; %bb.27:
	s_and_not1_b32 vcc_lo, exec_lo, s3
	s_cbranch_vccnz .LBB38_29
; %bb.28:
	scratch_load_b32 v82, v7, off
	ds_load_b32 v83, v1
	s_wait_loadcnt_dscnt 0x0
	v_mul_f32_e32 v82, v82, v83
	s_cbranch_execz .LBB38_30
	s_branch .LBB38_31
.LBB38_29:
                                        ; implicit-def: $vgpr82
.LBB38_30:
	ds_load_b32 v82, v1
.LBB38_31:
	s_and_saveexec_b32 s14, s1
	s_cbranch_execz .LBB38_35
; %bb.32:
	v_subrev_nc_u32_e32 v83, 35, v0
	s_movk_i32 s1, 0x8c
	s_movk_i32 s16, 0x12c
	s_mov_b32 s15, 0
.LBB38_33:                              ; =>This Inner Loop Header: Depth=1
	scratch_load_b32 v84, off, s1
	v_dual_mov_b32 v85, s16 :: v_dual_add_nc_u32 v83, -1, v83
	s_add_co_i32 s16, s16, 4
	s_wait_xcnt 0x0
	s_add_co_i32 s1, s1, 4
	ds_load_b32 v85, v85
	v_cmp_eq_u32_e32 vcc_lo, 0, v83
	s_or_b32 s15, vcc_lo, s15
	s_wait_loadcnt_dscnt 0x0
	v_fmac_f32_e32 v82, v84, v85
	s_and_not1_b32 exec_lo, exec_lo, s15
	s_cbranch_execnz .LBB38_33
; %bb.34:
	s_or_b32 exec_lo, exec_lo, s15
.LBB38_35:
	s_delay_alu instid0(SALU_CYCLE_1)
	s_or_b32 exec_lo, exec_lo, s14
	v_mov_b32_e32 v83, 0
	ds_load_b32 v83, v83 offset:136
	s_wait_dscnt 0x0
	v_mul_f32_e32 v82, v82, v83
	scratch_store_b32 off, v82, off offset:136
.LBB38_36:
	s_wait_xcnt 0x0
	s_or_b32 exec_lo, exec_lo, s2
	scratch_load_b32 v82, off, off offset:132
	v_cmp_lt_u32_e64 s1, 33, v0
	s_wait_loadcnt 0x0
	ds_store_b32 v1, v82
	s_wait_storecnt_dscnt 0x0
	s_barrier_signal -1
	s_barrier_wait -1
	s_wait_xcnt 0x0
	s_and_saveexec_b32 s2, s1
	s_cbranch_execz .LBB38_46
; %bb.37:
	s_and_not1_b32 vcc_lo, exec_lo, s3
	s_cbranch_vccnz .LBB38_39
; %bb.38:
	scratch_load_b32 v82, v7, off
	ds_load_b32 v83, v1
	s_wait_loadcnt_dscnt 0x0
	v_mul_f32_e32 v82, v82, v83
	s_cbranch_execz .LBB38_40
	s_branch .LBB38_41
.LBB38_39:
                                        ; implicit-def: $vgpr82
.LBB38_40:
	ds_load_b32 v82, v1
.LBB38_41:
	s_and_saveexec_b32 s14, s0
	s_cbranch_execz .LBB38_45
; %bb.42:
	v_subrev_nc_u32_e32 v83, 34, v0
	s_movk_i32 s0, 0x88
	s_movk_i32 s16, 0x128
	s_mov_b32 s15, 0
.LBB38_43:                              ; =>This Inner Loop Header: Depth=1
	scratch_load_b32 v84, off, s0
	v_dual_mov_b32 v85, s16 :: v_dual_add_nc_u32 v83, -1, v83
	s_add_co_i32 s16, s16, 4
	s_wait_xcnt 0x0
	s_add_co_i32 s0, s0, 4
	ds_load_b32 v85, v85
	v_cmp_eq_u32_e32 vcc_lo, 0, v83
	s_or_b32 s15, vcc_lo, s15
	s_wait_loadcnt_dscnt 0x0
	v_fmac_f32_e32 v82, v84, v85
	s_and_not1_b32 exec_lo, exec_lo, s15
	s_cbranch_execnz .LBB38_43
; %bb.44:
	s_or_b32 exec_lo, exec_lo, s15
.LBB38_45:
	s_delay_alu instid0(SALU_CYCLE_1)
	s_or_b32 exec_lo, exec_lo, s14
	v_mov_b32_e32 v83, 0
	ds_load_b32 v83, v83 offset:132
	s_wait_dscnt 0x0
	v_mul_f32_e32 v82, v82, v83
	scratch_store_b32 off, v82, off offset:132
.LBB38_46:
	;; [unrolled: 58-line block ×3, first 2 shown]
	s_wait_xcnt 0x0
	s_or_b32 exec_lo, exec_lo, s2
	scratch_load_b32 v82, off, off offset:124
	v_cmp_lt_u32_e64 s1, 31, v0
	s_wait_loadcnt 0x0
	ds_store_b32 v1, v82
	s_wait_storecnt_dscnt 0x0
	s_barrier_signal -1
	s_barrier_wait -1
	s_wait_xcnt 0x0
	s_and_saveexec_b32 s2, s1
	s_cbranch_execz .LBB38_66
; %bb.57:
	s_and_not1_b32 vcc_lo, exec_lo, s3
	s_cbranch_vccnz .LBB38_59
; %bb.58:
	scratch_load_b32 v82, v7, off
	ds_load_b32 v83, v1
	s_wait_loadcnt_dscnt 0x0
	v_mul_f32_e32 v82, v82, v83
	s_cbranch_execz .LBB38_60
	s_branch .LBB38_61
.LBB38_59:
                                        ; implicit-def: $vgpr82
.LBB38_60:
	ds_load_b32 v82, v1
.LBB38_61:
	s_and_saveexec_b32 s14, s0
	s_cbranch_execz .LBB38_65
; %bb.62:
	v_subrev_nc_u32_e32 v83, 32, v0
	s_movk_i32 s15, 0x120
	s_mov_b32 s0, 0
.LBB38_63:                              ; =>This Inner Loop Header: Depth=1
	scratch_load_b32 v84, off, s13
	v_dual_mov_b32 v85, s15 :: v_dual_add_nc_u32 v83, -1, v83
	s_add_co_i32 s15, s15, 4
	s_wait_xcnt 0x0
	s_add_co_i32 s13, s13, 4
	ds_load_b32 v85, v85
	v_cmp_eq_u32_e32 vcc_lo, 0, v83
	s_or_b32 s0, vcc_lo, s0
	s_wait_loadcnt_dscnt 0x0
	v_fmac_f32_e32 v82, v84, v85
	s_and_not1_b32 exec_lo, exec_lo, s0
	s_cbranch_execnz .LBB38_63
; %bb.64:
	s_or_b32 exec_lo, exec_lo, s0
.LBB38_65:
	s_delay_alu instid0(SALU_CYCLE_1)
	s_or_b32 exec_lo, exec_lo, s14
	v_mov_b32_e32 v83, 0
	ds_load_b32 v83, v83 offset:124
	s_wait_dscnt 0x0
	v_mul_f32_e32 v82, v82, v83
	scratch_store_b32 off, v82, off offset:124
.LBB38_66:
	s_wait_xcnt 0x0
	s_or_b32 exec_lo, exec_lo, s2
	scratch_load_b32 v82, off, off offset:120
	v_cmp_lt_u32_e64 s0, 30, v0
	s_wait_loadcnt 0x0
	ds_store_b32 v1, v82
	s_wait_storecnt_dscnt 0x0
	s_barrier_signal -1
	s_barrier_wait -1
	s_wait_xcnt 0x0
	s_and_saveexec_b32 s2, s0
	s_cbranch_execz .LBB38_76
; %bb.67:
	s_and_not1_b32 vcc_lo, exec_lo, s3
	s_cbranch_vccnz .LBB38_69
; %bb.68:
	scratch_load_b32 v82, v7, off
	ds_load_b32 v83, v1
	s_wait_loadcnt_dscnt 0x0
	v_mul_f32_e32 v82, v82, v83
	s_cbranch_execz .LBB38_70
	s_branch .LBB38_71
.LBB38_69:
                                        ; implicit-def: $vgpr82
.LBB38_70:
	ds_load_b32 v82, v1
.LBB38_71:
	s_and_saveexec_b32 s13, s1
	s_cbranch_execz .LBB38_75
; %bb.72:
	v_subrev_nc_u32_e32 v83, 31, v0
	s_movk_i32 s1, 0x7c
	s_movk_i32 s15, 0x11c
	s_mov_b32 s14, 0
.LBB38_73:                              ; =>This Inner Loop Header: Depth=1
	scratch_load_b32 v84, off, s1
	v_dual_mov_b32 v85, s15 :: v_dual_add_nc_u32 v83, -1, v83
	s_add_co_i32 s15, s15, 4
	s_wait_xcnt 0x0
	s_add_co_i32 s1, s1, 4
	ds_load_b32 v85, v85
	v_cmp_eq_u32_e32 vcc_lo, 0, v83
	s_or_b32 s14, vcc_lo, s14
	s_wait_loadcnt_dscnt 0x0
	v_fmac_f32_e32 v82, v84, v85
	s_and_not1_b32 exec_lo, exec_lo, s14
	s_cbranch_execnz .LBB38_73
; %bb.74:
	s_or_b32 exec_lo, exec_lo, s14
.LBB38_75:
	s_delay_alu instid0(SALU_CYCLE_1)
	s_or_b32 exec_lo, exec_lo, s13
	v_mov_b32_e32 v83, 0
	ds_load_b32 v83, v83 offset:120
	s_wait_dscnt 0x0
	v_mul_f32_e32 v82, v82, v83
	scratch_store_b32 off, v82, off offset:120
.LBB38_76:
	s_wait_xcnt 0x0
	s_or_b32 exec_lo, exec_lo, s2
	scratch_load_b32 v82, off, off offset:116
	v_cmp_lt_u32_e64 s1, 29, v0
	s_wait_loadcnt 0x0
	ds_store_b32 v1, v82
	s_wait_storecnt_dscnt 0x0
	s_barrier_signal -1
	s_barrier_wait -1
	s_wait_xcnt 0x0
	s_and_saveexec_b32 s2, s1
	s_cbranch_execz .LBB38_86
; %bb.77:
	s_and_not1_b32 vcc_lo, exec_lo, s3
	s_cbranch_vccnz .LBB38_79
; %bb.78:
	scratch_load_b32 v82, v7, off
	ds_load_b32 v83, v1
	s_wait_loadcnt_dscnt 0x0
	v_mul_f32_e32 v82, v82, v83
	s_cbranch_execz .LBB38_80
	s_branch .LBB38_81
.LBB38_79:
                                        ; implicit-def: $vgpr82
.LBB38_80:
	ds_load_b32 v82, v1
.LBB38_81:
	s_and_saveexec_b32 s13, s0
	s_cbranch_execz .LBB38_85
; %bb.82:
	v_subrev_nc_u32_e32 v83, 30, v0
	s_movk_i32 s0, 0x78
	s_movk_i32 s15, 0x118
	s_mov_b32 s14, 0
.LBB38_83:                              ; =>This Inner Loop Header: Depth=1
	scratch_load_b32 v84, off, s0
	v_dual_mov_b32 v85, s15 :: v_dual_add_nc_u32 v83, -1, v83
	s_add_co_i32 s15, s15, 4
	s_wait_xcnt 0x0
	s_add_co_i32 s0, s0, 4
	ds_load_b32 v85, v85
	v_cmp_eq_u32_e32 vcc_lo, 0, v83
	s_or_b32 s14, vcc_lo, s14
	s_wait_loadcnt_dscnt 0x0
	v_fmac_f32_e32 v82, v84, v85
	s_and_not1_b32 exec_lo, exec_lo, s14
	s_cbranch_execnz .LBB38_83
; %bb.84:
	s_or_b32 exec_lo, exec_lo, s14
.LBB38_85:
	s_delay_alu instid0(SALU_CYCLE_1)
	s_or_b32 exec_lo, exec_lo, s13
	v_mov_b32_e32 v83, 0
	ds_load_b32 v83, v83 offset:116
	s_wait_dscnt 0x0
	v_mul_f32_e32 v82, v82, v83
	scratch_store_b32 off, v82, off offset:116
.LBB38_86:
	;; [unrolled: 58-line block ×3, first 2 shown]
	s_wait_xcnt 0x0
	s_or_b32 exec_lo, exec_lo, s2
	scratch_load_b32 v82, off, off offset:108
	v_cmp_lt_u32_e64 s1, 27, v0
	s_wait_loadcnt 0x0
	ds_store_b32 v1, v82
	s_wait_storecnt_dscnt 0x0
	s_barrier_signal -1
	s_barrier_wait -1
	s_wait_xcnt 0x0
	s_and_saveexec_b32 s2, s1
	s_cbranch_execz .LBB38_106
; %bb.97:
	s_and_not1_b32 vcc_lo, exec_lo, s3
	s_cbranch_vccnz .LBB38_99
; %bb.98:
	scratch_load_b32 v82, v7, off
	ds_load_b32 v83, v1
	s_wait_loadcnt_dscnt 0x0
	v_mul_f32_e32 v82, v82, v83
	s_cbranch_execz .LBB38_100
	s_branch .LBB38_101
.LBB38_99:
                                        ; implicit-def: $vgpr82
.LBB38_100:
	ds_load_b32 v82, v1
.LBB38_101:
	s_and_saveexec_b32 s13, s0
	s_cbranch_execz .LBB38_105
; %bb.102:
	v_subrev_nc_u32_e32 v83, 28, v0
	s_movk_i32 s14, 0x110
	s_mov_b32 s0, 0
.LBB38_103:                             ; =>This Inner Loop Header: Depth=1
	scratch_load_b32 v84, off, s12
	v_dual_mov_b32 v85, s14 :: v_dual_add_nc_u32 v83, -1, v83
	s_add_co_i32 s14, s14, 4
	s_wait_xcnt 0x0
	s_add_co_i32 s12, s12, 4
	ds_load_b32 v85, v85
	v_cmp_eq_u32_e32 vcc_lo, 0, v83
	s_or_b32 s0, vcc_lo, s0
	s_wait_loadcnt_dscnt 0x0
	v_fmac_f32_e32 v82, v84, v85
	s_and_not1_b32 exec_lo, exec_lo, s0
	s_cbranch_execnz .LBB38_103
; %bb.104:
	s_or_b32 exec_lo, exec_lo, s0
.LBB38_105:
	s_delay_alu instid0(SALU_CYCLE_1)
	s_or_b32 exec_lo, exec_lo, s13
	v_mov_b32_e32 v83, 0
	ds_load_b32 v83, v83 offset:108
	s_wait_dscnt 0x0
	v_mul_f32_e32 v82, v82, v83
	scratch_store_b32 off, v82, off offset:108
.LBB38_106:
	s_wait_xcnt 0x0
	s_or_b32 exec_lo, exec_lo, s2
	scratch_load_b32 v82, off, off offset:104
	v_cmp_lt_u32_e64 s0, 26, v0
	s_wait_loadcnt 0x0
	ds_store_b32 v1, v82
	s_wait_storecnt_dscnt 0x0
	s_barrier_signal -1
	s_barrier_wait -1
	s_wait_xcnt 0x0
	s_and_saveexec_b32 s2, s0
	s_cbranch_execz .LBB38_116
; %bb.107:
	s_and_not1_b32 vcc_lo, exec_lo, s3
	s_cbranch_vccnz .LBB38_109
; %bb.108:
	scratch_load_b32 v82, v7, off
	ds_load_b32 v83, v1
	s_wait_loadcnt_dscnt 0x0
	v_mul_f32_e32 v82, v82, v83
	s_cbranch_execz .LBB38_110
	s_branch .LBB38_111
.LBB38_109:
                                        ; implicit-def: $vgpr82
.LBB38_110:
	ds_load_b32 v82, v1
.LBB38_111:
	s_and_saveexec_b32 s12, s1
	s_cbranch_execz .LBB38_115
; %bb.112:
	v_subrev_nc_u32_e32 v83, 27, v0
	s_movk_i32 s1, 0x6c
	s_movk_i32 s14, 0x10c
	s_mov_b32 s13, 0
.LBB38_113:                             ; =>This Inner Loop Header: Depth=1
	scratch_load_b32 v84, off, s1
	v_dual_mov_b32 v85, s14 :: v_dual_add_nc_u32 v83, -1, v83
	s_add_co_i32 s14, s14, 4
	s_wait_xcnt 0x0
	s_add_co_i32 s1, s1, 4
	ds_load_b32 v85, v85
	v_cmp_eq_u32_e32 vcc_lo, 0, v83
	s_or_b32 s13, vcc_lo, s13
	s_wait_loadcnt_dscnt 0x0
	v_fmac_f32_e32 v82, v84, v85
	s_and_not1_b32 exec_lo, exec_lo, s13
	s_cbranch_execnz .LBB38_113
; %bb.114:
	s_or_b32 exec_lo, exec_lo, s13
.LBB38_115:
	s_delay_alu instid0(SALU_CYCLE_1)
	s_or_b32 exec_lo, exec_lo, s12
	v_mov_b32_e32 v83, 0
	ds_load_b32 v83, v83 offset:104
	s_wait_dscnt 0x0
	v_mul_f32_e32 v82, v82, v83
	scratch_store_b32 off, v82, off offset:104
.LBB38_116:
	s_wait_xcnt 0x0
	s_or_b32 exec_lo, exec_lo, s2
	scratch_load_b32 v82, off, off offset:100
	v_cmp_lt_u32_e64 s1, 25, v0
	s_wait_loadcnt 0x0
	ds_store_b32 v1, v82
	s_wait_storecnt_dscnt 0x0
	s_barrier_signal -1
	s_barrier_wait -1
	s_wait_xcnt 0x0
	s_and_saveexec_b32 s2, s1
	s_cbranch_execz .LBB38_126
; %bb.117:
	s_and_not1_b32 vcc_lo, exec_lo, s3
	s_cbranch_vccnz .LBB38_119
; %bb.118:
	scratch_load_b32 v82, v7, off
	ds_load_b32 v83, v1
	s_wait_loadcnt_dscnt 0x0
	v_mul_f32_e32 v82, v82, v83
	s_cbranch_execz .LBB38_120
	s_branch .LBB38_121
.LBB38_119:
                                        ; implicit-def: $vgpr82
.LBB38_120:
	ds_load_b32 v82, v1
.LBB38_121:
	s_and_saveexec_b32 s12, s0
	s_cbranch_execz .LBB38_125
; %bb.122:
	v_subrev_nc_u32_e32 v83, 26, v0
	s_movk_i32 s0, 0x68
	s_movk_i32 s14, 0x108
	s_mov_b32 s13, 0
.LBB38_123:                             ; =>This Inner Loop Header: Depth=1
	scratch_load_b32 v84, off, s0
	v_dual_mov_b32 v85, s14 :: v_dual_add_nc_u32 v83, -1, v83
	s_add_co_i32 s14, s14, 4
	s_wait_xcnt 0x0
	s_add_co_i32 s0, s0, 4
	ds_load_b32 v85, v85
	v_cmp_eq_u32_e32 vcc_lo, 0, v83
	s_or_b32 s13, vcc_lo, s13
	s_wait_loadcnt_dscnt 0x0
	v_fmac_f32_e32 v82, v84, v85
	s_and_not1_b32 exec_lo, exec_lo, s13
	s_cbranch_execnz .LBB38_123
; %bb.124:
	s_or_b32 exec_lo, exec_lo, s13
.LBB38_125:
	s_delay_alu instid0(SALU_CYCLE_1)
	s_or_b32 exec_lo, exec_lo, s12
	v_mov_b32_e32 v83, 0
	ds_load_b32 v83, v83 offset:100
	s_wait_dscnt 0x0
	v_mul_f32_e32 v82, v82, v83
	scratch_store_b32 off, v82, off offset:100
.LBB38_126:
	;; [unrolled: 58-line block ×3, first 2 shown]
	s_wait_xcnt 0x0
	s_or_b32 exec_lo, exec_lo, s2
	scratch_load_b32 v82, off, off offset:92
	v_cmp_lt_u32_e64 s1, 23, v0
	s_wait_loadcnt 0x0
	ds_store_b32 v1, v82
	s_wait_storecnt_dscnt 0x0
	s_barrier_signal -1
	s_barrier_wait -1
	s_wait_xcnt 0x0
	s_and_saveexec_b32 s2, s1
	s_cbranch_execz .LBB38_146
; %bb.137:
	s_and_not1_b32 vcc_lo, exec_lo, s3
	s_cbranch_vccnz .LBB38_139
; %bb.138:
	scratch_load_b32 v82, v7, off
	ds_load_b32 v83, v1
	s_wait_loadcnt_dscnt 0x0
	v_mul_f32_e32 v82, v82, v83
	s_cbranch_execz .LBB38_140
	s_branch .LBB38_141
.LBB38_139:
                                        ; implicit-def: $vgpr82
.LBB38_140:
	ds_load_b32 v82, v1
.LBB38_141:
	s_and_saveexec_b32 s12, s0
	s_cbranch_execz .LBB38_145
; %bb.142:
	v_subrev_nc_u32_e32 v83, 24, v0
	s_movk_i32 s13, 0x100
	s_mov_b32 s0, 0
.LBB38_143:                             ; =>This Inner Loop Header: Depth=1
	scratch_load_b32 v84, off, s11
	v_dual_mov_b32 v85, s13 :: v_dual_add_nc_u32 v83, -1, v83
	s_add_co_i32 s13, s13, 4
	s_wait_xcnt 0x0
	s_add_co_i32 s11, s11, 4
	ds_load_b32 v85, v85
	v_cmp_eq_u32_e32 vcc_lo, 0, v83
	s_or_b32 s0, vcc_lo, s0
	s_wait_loadcnt_dscnt 0x0
	v_fmac_f32_e32 v82, v84, v85
	s_and_not1_b32 exec_lo, exec_lo, s0
	s_cbranch_execnz .LBB38_143
; %bb.144:
	s_or_b32 exec_lo, exec_lo, s0
.LBB38_145:
	s_delay_alu instid0(SALU_CYCLE_1)
	s_or_b32 exec_lo, exec_lo, s12
	v_mov_b32_e32 v83, 0
	ds_load_b32 v83, v83 offset:92
	s_wait_dscnt 0x0
	v_mul_f32_e32 v82, v82, v83
	scratch_store_b32 off, v82, off offset:92
.LBB38_146:
	s_wait_xcnt 0x0
	s_or_b32 exec_lo, exec_lo, s2
	scratch_load_b32 v82, off, off offset:88
	v_cmp_lt_u32_e64 s0, 22, v0
	s_wait_loadcnt 0x0
	ds_store_b32 v1, v82
	s_wait_storecnt_dscnt 0x0
	s_barrier_signal -1
	s_barrier_wait -1
	s_wait_xcnt 0x0
	s_and_saveexec_b32 s2, s0
	s_cbranch_execz .LBB38_156
; %bb.147:
	s_and_not1_b32 vcc_lo, exec_lo, s3
	s_cbranch_vccnz .LBB38_149
; %bb.148:
	scratch_load_b32 v82, v7, off
	ds_load_b32 v83, v1
	s_wait_loadcnt_dscnt 0x0
	v_mul_f32_e32 v82, v82, v83
	s_cbranch_execz .LBB38_150
	s_branch .LBB38_151
.LBB38_149:
                                        ; implicit-def: $vgpr82
.LBB38_150:
	ds_load_b32 v82, v1
.LBB38_151:
	s_and_saveexec_b32 s11, s1
	s_cbranch_execz .LBB38_155
; %bb.152:
	v_subrev_nc_u32_e32 v83, 23, v0
	s_movk_i32 s1, 0x5c
	s_movk_i32 s13, 0xfc
	s_mov_b32 s12, 0
.LBB38_153:                             ; =>This Inner Loop Header: Depth=1
	scratch_load_b32 v84, off, s1
	v_dual_mov_b32 v85, s13 :: v_dual_add_nc_u32 v83, -1, v83
	s_add_co_i32 s13, s13, 4
	s_wait_xcnt 0x0
	s_add_co_i32 s1, s1, 4
	ds_load_b32 v85, v85
	v_cmp_eq_u32_e32 vcc_lo, 0, v83
	s_or_b32 s12, vcc_lo, s12
	s_wait_loadcnt_dscnt 0x0
	v_fmac_f32_e32 v82, v84, v85
	s_and_not1_b32 exec_lo, exec_lo, s12
	s_cbranch_execnz .LBB38_153
; %bb.154:
	s_or_b32 exec_lo, exec_lo, s12
.LBB38_155:
	s_delay_alu instid0(SALU_CYCLE_1)
	s_or_b32 exec_lo, exec_lo, s11
	v_mov_b32_e32 v83, 0
	ds_load_b32 v83, v83 offset:88
	s_wait_dscnt 0x0
	v_mul_f32_e32 v82, v82, v83
	scratch_store_b32 off, v82, off offset:88
.LBB38_156:
	s_wait_xcnt 0x0
	s_or_b32 exec_lo, exec_lo, s2
	scratch_load_b32 v82, off, off offset:84
	v_cmp_lt_u32_e64 s1, 21, v0
	s_wait_loadcnt 0x0
	ds_store_b32 v1, v82
	s_wait_storecnt_dscnt 0x0
	s_barrier_signal -1
	s_barrier_wait -1
	s_wait_xcnt 0x0
	s_and_saveexec_b32 s2, s1
	s_cbranch_execz .LBB38_166
; %bb.157:
	s_and_not1_b32 vcc_lo, exec_lo, s3
	s_cbranch_vccnz .LBB38_159
; %bb.158:
	scratch_load_b32 v82, v7, off
	ds_load_b32 v83, v1
	s_wait_loadcnt_dscnt 0x0
	v_mul_f32_e32 v82, v82, v83
	s_cbranch_execz .LBB38_160
	s_branch .LBB38_161
.LBB38_159:
                                        ; implicit-def: $vgpr82
.LBB38_160:
	ds_load_b32 v82, v1
.LBB38_161:
	s_and_saveexec_b32 s11, s0
	s_cbranch_execz .LBB38_165
; %bb.162:
	v_subrev_nc_u32_e32 v83, 22, v0
	s_movk_i32 s0, 0x58
	s_movk_i32 s13, 0xf8
	s_mov_b32 s12, 0
.LBB38_163:                             ; =>This Inner Loop Header: Depth=1
	scratch_load_b32 v84, off, s0
	v_dual_mov_b32 v85, s13 :: v_dual_add_nc_u32 v83, -1, v83
	s_add_co_i32 s13, s13, 4
	s_wait_xcnt 0x0
	s_add_co_i32 s0, s0, 4
	ds_load_b32 v85, v85
	v_cmp_eq_u32_e32 vcc_lo, 0, v83
	s_or_b32 s12, vcc_lo, s12
	s_wait_loadcnt_dscnt 0x0
	v_fmac_f32_e32 v82, v84, v85
	s_and_not1_b32 exec_lo, exec_lo, s12
	s_cbranch_execnz .LBB38_163
; %bb.164:
	s_or_b32 exec_lo, exec_lo, s12
.LBB38_165:
	s_delay_alu instid0(SALU_CYCLE_1)
	s_or_b32 exec_lo, exec_lo, s11
	v_mov_b32_e32 v83, 0
	ds_load_b32 v83, v83 offset:84
	s_wait_dscnt 0x0
	v_mul_f32_e32 v82, v82, v83
	scratch_store_b32 off, v82, off offset:84
.LBB38_166:
	;; [unrolled: 58-line block ×3, first 2 shown]
	s_wait_xcnt 0x0
	s_or_b32 exec_lo, exec_lo, s2
	scratch_load_b32 v82, off, off offset:76
	v_cmp_lt_u32_e64 s1, 19, v0
	s_wait_loadcnt 0x0
	ds_store_b32 v1, v82
	s_wait_storecnt_dscnt 0x0
	s_barrier_signal -1
	s_barrier_wait -1
	s_wait_xcnt 0x0
	s_and_saveexec_b32 s2, s1
	s_cbranch_execz .LBB38_186
; %bb.177:
	s_and_not1_b32 vcc_lo, exec_lo, s3
	s_cbranch_vccnz .LBB38_179
; %bb.178:
	scratch_load_b32 v82, v7, off
	ds_load_b32 v83, v1
	s_wait_loadcnt_dscnt 0x0
	v_mul_f32_e32 v82, v82, v83
	s_cbranch_execz .LBB38_180
	s_branch .LBB38_181
.LBB38_179:
                                        ; implicit-def: $vgpr82
.LBB38_180:
	ds_load_b32 v82, v1
.LBB38_181:
	s_and_saveexec_b32 s11, s0
	s_cbranch_execz .LBB38_185
; %bb.182:
	v_subrev_nc_u32_e32 v83, 20, v0
	s_movk_i32 s12, 0xf0
	s_mov_b32 s0, 0
.LBB38_183:                             ; =>This Inner Loop Header: Depth=1
	scratch_load_b32 v84, off, s10
	v_dual_mov_b32 v85, s12 :: v_dual_add_nc_u32 v83, -1, v83
	s_add_co_i32 s12, s12, 4
	s_wait_xcnt 0x0
	s_add_co_i32 s10, s10, 4
	ds_load_b32 v85, v85
	v_cmp_eq_u32_e32 vcc_lo, 0, v83
	s_or_b32 s0, vcc_lo, s0
	s_wait_loadcnt_dscnt 0x0
	v_fmac_f32_e32 v82, v84, v85
	s_and_not1_b32 exec_lo, exec_lo, s0
	s_cbranch_execnz .LBB38_183
; %bb.184:
	s_or_b32 exec_lo, exec_lo, s0
.LBB38_185:
	s_delay_alu instid0(SALU_CYCLE_1)
	s_or_b32 exec_lo, exec_lo, s11
	v_mov_b32_e32 v83, 0
	ds_load_b32 v83, v83 offset:76
	s_wait_dscnt 0x0
	v_mul_f32_e32 v82, v82, v83
	scratch_store_b32 off, v82, off offset:76
.LBB38_186:
	s_wait_xcnt 0x0
	s_or_b32 exec_lo, exec_lo, s2
	scratch_load_b32 v82, off, off offset:72
	v_cmp_lt_u32_e64 s0, 18, v0
	s_wait_loadcnt 0x0
	ds_store_b32 v1, v82
	s_wait_storecnt_dscnt 0x0
	s_barrier_signal -1
	s_barrier_wait -1
	s_wait_xcnt 0x0
	s_and_saveexec_b32 s2, s0
	s_cbranch_execz .LBB38_196
; %bb.187:
	s_and_not1_b32 vcc_lo, exec_lo, s3
	s_cbranch_vccnz .LBB38_189
; %bb.188:
	scratch_load_b32 v82, v7, off
	ds_load_b32 v83, v1
	s_wait_loadcnt_dscnt 0x0
	v_mul_f32_e32 v82, v82, v83
	s_cbranch_execz .LBB38_190
	s_branch .LBB38_191
.LBB38_189:
                                        ; implicit-def: $vgpr82
.LBB38_190:
	ds_load_b32 v82, v1
.LBB38_191:
	s_and_saveexec_b32 s10, s1
	s_cbranch_execz .LBB38_195
; %bb.192:
	v_subrev_nc_u32_e32 v83, 19, v0
	s_movk_i32 s1, 0x4c
	s_movk_i32 s12, 0xec
	s_mov_b32 s11, 0
.LBB38_193:                             ; =>This Inner Loop Header: Depth=1
	scratch_load_b32 v84, off, s1
	v_dual_mov_b32 v85, s12 :: v_dual_add_nc_u32 v83, -1, v83
	s_add_co_i32 s12, s12, 4
	s_wait_xcnt 0x0
	s_add_co_i32 s1, s1, 4
	ds_load_b32 v85, v85
	v_cmp_eq_u32_e32 vcc_lo, 0, v83
	s_or_b32 s11, vcc_lo, s11
	s_wait_loadcnt_dscnt 0x0
	v_fmac_f32_e32 v82, v84, v85
	s_and_not1_b32 exec_lo, exec_lo, s11
	s_cbranch_execnz .LBB38_193
; %bb.194:
	s_or_b32 exec_lo, exec_lo, s11
.LBB38_195:
	s_delay_alu instid0(SALU_CYCLE_1)
	s_or_b32 exec_lo, exec_lo, s10
	v_mov_b32_e32 v83, 0
	ds_load_b32 v83, v83 offset:72
	s_wait_dscnt 0x0
	v_mul_f32_e32 v82, v82, v83
	scratch_store_b32 off, v82, off offset:72
.LBB38_196:
	s_wait_xcnt 0x0
	s_or_b32 exec_lo, exec_lo, s2
	scratch_load_b32 v82, off, off offset:68
	v_cmp_lt_u32_e64 s1, 17, v0
	s_wait_loadcnt 0x0
	ds_store_b32 v1, v82
	s_wait_storecnt_dscnt 0x0
	s_barrier_signal -1
	s_barrier_wait -1
	s_wait_xcnt 0x0
	s_and_saveexec_b32 s2, s1
	s_cbranch_execz .LBB38_206
; %bb.197:
	s_and_not1_b32 vcc_lo, exec_lo, s3
	s_cbranch_vccnz .LBB38_199
; %bb.198:
	scratch_load_b32 v82, v7, off
	ds_load_b32 v83, v1
	s_wait_loadcnt_dscnt 0x0
	v_mul_f32_e32 v82, v82, v83
	s_cbranch_execz .LBB38_200
	s_branch .LBB38_201
.LBB38_199:
                                        ; implicit-def: $vgpr82
.LBB38_200:
	ds_load_b32 v82, v1
.LBB38_201:
	s_and_saveexec_b32 s10, s0
	s_cbranch_execz .LBB38_205
; %bb.202:
	v_subrev_nc_u32_e32 v83, 18, v0
	s_movk_i32 s0, 0x48
	s_movk_i32 s12, 0xe8
	s_mov_b32 s11, 0
.LBB38_203:                             ; =>This Inner Loop Header: Depth=1
	scratch_load_b32 v84, off, s0
	v_dual_mov_b32 v85, s12 :: v_dual_add_nc_u32 v83, -1, v83
	s_add_co_i32 s12, s12, 4
	s_wait_xcnt 0x0
	s_add_co_i32 s0, s0, 4
	ds_load_b32 v85, v85
	v_cmp_eq_u32_e32 vcc_lo, 0, v83
	s_or_b32 s11, vcc_lo, s11
	s_wait_loadcnt_dscnt 0x0
	v_fmac_f32_e32 v82, v84, v85
	s_and_not1_b32 exec_lo, exec_lo, s11
	s_cbranch_execnz .LBB38_203
; %bb.204:
	s_or_b32 exec_lo, exec_lo, s11
.LBB38_205:
	s_delay_alu instid0(SALU_CYCLE_1)
	s_or_b32 exec_lo, exec_lo, s10
	v_mov_b32_e32 v83, 0
	ds_load_b32 v83, v83 offset:68
	s_wait_dscnt 0x0
	v_mul_f32_e32 v82, v82, v83
	scratch_store_b32 off, v82, off offset:68
.LBB38_206:
	;; [unrolled: 58-line block ×3, first 2 shown]
	s_wait_xcnt 0x0
	s_or_b32 exec_lo, exec_lo, s2
	scratch_load_b32 v82, off, off offset:60
	v_cmp_lt_u32_e64 s1, 15, v0
	s_wait_loadcnt 0x0
	ds_store_b32 v1, v82
	s_wait_storecnt_dscnt 0x0
	s_barrier_signal -1
	s_barrier_wait -1
	s_wait_xcnt 0x0
	s_and_saveexec_b32 s2, s1
	s_cbranch_execz .LBB38_226
; %bb.217:
	s_and_not1_b32 vcc_lo, exec_lo, s3
	s_cbranch_vccnz .LBB38_219
; %bb.218:
	scratch_load_b32 v82, v7, off
	ds_load_b32 v83, v1
	s_wait_loadcnt_dscnt 0x0
	v_mul_f32_e32 v82, v82, v83
	s_cbranch_execz .LBB38_220
	s_branch .LBB38_221
.LBB38_219:
                                        ; implicit-def: $vgpr82
.LBB38_220:
	ds_load_b32 v82, v1
.LBB38_221:
	s_and_saveexec_b32 s10, s0
	s_cbranch_execz .LBB38_225
; %bb.222:
	v_add_nc_u32_e32 v83, -16, v0
	s_movk_i32 s11, 0xe0
	s_mov_b32 s0, 0
.LBB38_223:                             ; =>This Inner Loop Header: Depth=1
	scratch_load_b32 v84, off, s9
	v_dual_mov_b32 v85, s11 :: v_dual_add_nc_u32 v83, -1, v83
	s_add_co_i32 s11, s11, 4
	s_wait_xcnt 0x0
	s_add_co_i32 s9, s9, 4
	ds_load_b32 v85, v85
	v_cmp_eq_u32_e32 vcc_lo, 0, v83
	s_or_b32 s0, vcc_lo, s0
	s_wait_loadcnt_dscnt 0x0
	v_fmac_f32_e32 v82, v84, v85
	s_and_not1_b32 exec_lo, exec_lo, s0
	s_cbranch_execnz .LBB38_223
; %bb.224:
	s_or_b32 exec_lo, exec_lo, s0
.LBB38_225:
	s_delay_alu instid0(SALU_CYCLE_1)
	s_or_b32 exec_lo, exec_lo, s10
	v_mov_b32_e32 v83, 0
	ds_load_b32 v83, v83 offset:60
	s_wait_dscnt 0x0
	v_mul_f32_e32 v82, v82, v83
	scratch_store_b32 off, v82, off offset:60
.LBB38_226:
	s_wait_xcnt 0x0
	s_or_b32 exec_lo, exec_lo, s2
	scratch_load_b32 v82, off, off offset:56
	v_cmp_lt_u32_e64 s0, 14, v0
	s_wait_loadcnt 0x0
	ds_store_b32 v1, v82
	s_wait_storecnt_dscnt 0x0
	s_barrier_signal -1
	s_barrier_wait -1
	s_wait_xcnt 0x0
	s_and_saveexec_b32 s2, s0
	s_cbranch_execz .LBB38_236
; %bb.227:
	s_and_not1_b32 vcc_lo, exec_lo, s3
	s_cbranch_vccnz .LBB38_229
; %bb.228:
	scratch_load_b32 v82, v7, off
	ds_load_b32 v83, v1
	s_wait_loadcnt_dscnt 0x0
	v_mul_f32_e32 v82, v82, v83
	s_cbranch_execz .LBB38_230
	s_branch .LBB38_231
.LBB38_229:
                                        ; implicit-def: $vgpr82
.LBB38_230:
	ds_load_b32 v82, v1
.LBB38_231:
	s_and_saveexec_b32 s9, s1
	s_cbranch_execz .LBB38_235
; %bb.232:
	v_add_nc_u32_e32 v83, -15, v0
	s_mov_b32 s1, 60
	s_movk_i32 s11, 0xdc
	s_mov_b32 s10, 0
.LBB38_233:                             ; =>This Inner Loop Header: Depth=1
	scratch_load_b32 v84, off, s1
	v_dual_mov_b32 v85, s11 :: v_dual_add_nc_u32 v83, -1, v83
	s_add_co_i32 s11, s11, 4
	s_wait_xcnt 0x0
	s_add_co_i32 s1, s1, 4
	ds_load_b32 v85, v85
	v_cmp_eq_u32_e32 vcc_lo, 0, v83
	s_or_b32 s10, vcc_lo, s10
	s_wait_loadcnt_dscnt 0x0
	v_fmac_f32_e32 v82, v84, v85
	s_and_not1_b32 exec_lo, exec_lo, s10
	s_cbranch_execnz .LBB38_233
; %bb.234:
	s_or_b32 exec_lo, exec_lo, s10
.LBB38_235:
	s_delay_alu instid0(SALU_CYCLE_1)
	s_or_b32 exec_lo, exec_lo, s9
	v_mov_b32_e32 v83, 0
	ds_load_b32 v83, v83 offset:56
	s_wait_dscnt 0x0
	v_mul_f32_e32 v82, v82, v83
	scratch_store_b32 off, v82, off offset:56
.LBB38_236:
	s_wait_xcnt 0x0
	s_or_b32 exec_lo, exec_lo, s2
	scratch_load_b32 v82, off, off offset:52
	v_cmp_lt_u32_e64 s1, 13, v0
	s_wait_loadcnt 0x0
	ds_store_b32 v1, v82
	s_wait_storecnt_dscnt 0x0
	s_barrier_signal -1
	s_barrier_wait -1
	s_wait_xcnt 0x0
	s_and_saveexec_b32 s2, s1
	s_cbranch_execz .LBB38_246
; %bb.237:
	s_and_not1_b32 vcc_lo, exec_lo, s3
	s_cbranch_vccnz .LBB38_239
; %bb.238:
	scratch_load_b32 v82, v7, off
	ds_load_b32 v83, v1
	s_wait_loadcnt_dscnt 0x0
	v_mul_f32_e32 v82, v82, v83
	s_cbranch_execz .LBB38_240
	s_branch .LBB38_241
.LBB38_239:
                                        ; implicit-def: $vgpr82
.LBB38_240:
	ds_load_b32 v82, v1
.LBB38_241:
	s_and_saveexec_b32 s9, s0
	s_cbranch_execz .LBB38_245
; %bb.242:
	v_add_nc_u32_e32 v83, -14, v0
	s_mov_b32 s0, 56
	s_movk_i32 s11, 0xd8
	s_mov_b32 s10, 0
.LBB38_243:                             ; =>This Inner Loop Header: Depth=1
	scratch_load_b32 v84, off, s0
	v_dual_mov_b32 v85, s11 :: v_dual_add_nc_u32 v83, -1, v83
	s_add_co_i32 s11, s11, 4
	s_wait_xcnt 0x0
	s_add_co_i32 s0, s0, 4
	ds_load_b32 v85, v85
	v_cmp_eq_u32_e32 vcc_lo, 0, v83
	s_or_b32 s10, vcc_lo, s10
	s_wait_loadcnt_dscnt 0x0
	v_fmac_f32_e32 v82, v84, v85
	s_and_not1_b32 exec_lo, exec_lo, s10
	s_cbranch_execnz .LBB38_243
; %bb.244:
	s_or_b32 exec_lo, exec_lo, s10
.LBB38_245:
	s_delay_alu instid0(SALU_CYCLE_1)
	s_or_b32 exec_lo, exec_lo, s9
	v_mov_b32_e32 v83, 0
	ds_load_b32 v83, v83 offset:52
	s_wait_dscnt 0x0
	v_mul_f32_e32 v82, v82, v83
	scratch_store_b32 off, v82, off offset:52
.LBB38_246:
	;; [unrolled: 58-line block ×3, first 2 shown]
	s_wait_xcnt 0x0
	s_or_b32 exec_lo, exec_lo, s2
	scratch_load_b32 v82, off, off offset:44
	v_cmp_lt_u32_e64 s1, 11, v0
	s_wait_loadcnt 0x0
	ds_store_b32 v1, v82
	s_wait_storecnt_dscnt 0x0
	s_barrier_signal -1
	s_barrier_wait -1
	s_wait_xcnt 0x0
	s_and_saveexec_b32 s2, s1
	s_cbranch_execz .LBB38_266
; %bb.257:
	s_and_not1_b32 vcc_lo, exec_lo, s3
	s_cbranch_vccnz .LBB38_259
; %bb.258:
	scratch_load_b32 v82, v7, off
	ds_load_b32 v83, v1
	s_wait_loadcnt_dscnt 0x0
	v_mul_f32_e32 v82, v82, v83
	s_cbranch_execz .LBB38_260
	s_branch .LBB38_261
.LBB38_259:
                                        ; implicit-def: $vgpr82
.LBB38_260:
	ds_load_b32 v82, v1
.LBB38_261:
	s_and_saveexec_b32 s9, s0
	s_cbranch_execz .LBB38_265
; %bb.262:
	v_add_nc_u32_e32 v83, -12, v0
	s_movk_i32 s10, 0xd0
	s_mov_b32 s0, 0
.LBB38_263:                             ; =>This Inner Loop Header: Depth=1
	scratch_load_b32 v84, off, s8
	v_dual_mov_b32 v85, s10 :: v_dual_add_nc_u32 v83, -1, v83
	s_add_co_i32 s10, s10, 4
	s_wait_xcnt 0x0
	s_add_co_i32 s8, s8, 4
	ds_load_b32 v85, v85
	v_cmp_eq_u32_e32 vcc_lo, 0, v83
	s_or_b32 s0, vcc_lo, s0
	s_wait_loadcnt_dscnt 0x0
	v_fmac_f32_e32 v82, v84, v85
	s_and_not1_b32 exec_lo, exec_lo, s0
	s_cbranch_execnz .LBB38_263
; %bb.264:
	s_or_b32 exec_lo, exec_lo, s0
.LBB38_265:
	s_delay_alu instid0(SALU_CYCLE_1)
	s_or_b32 exec_lo, exec_lo, s9
	v_mov_b32_e32 v83, 0
	ds_load_b32 v83, v83 offset:44
	s_wait_dscnt 0x0
	v_mul_f32_e32 v82, v82, v83
	scratch_store_b32 off, v82, off offset:44
.LBB38_266:
	s_wait_xcnt 0x0
	s_or_b32 exec_lo, exec_lo, s2
	scratch_load_b32 v82, off, off offset:40
	v_cmp_lt_u32_e64 s0, 10, v0
	s_wait_loadcnt 0x0
	ds_store_b32 v1, v82
	s_wait_storecnt_dscnt 0x0
	s_barrier_signal -1
	s_barrier_wait -1
	s_wait_xcnt 0x0
	s_and_saveexec_b32 s2, s0
	s_cbranch_execz .LBB38_276
; %bb.267:
	s_and_not1_b32 vcc_lo, exec_lo, s3
	s_cbranch_vccnz .LBB38_269
; %bb.268:
	scratch_load_b32 v82, v7, off
	ds_load_b32 v83, v1
	s_wait_loadcnt_dscnt 0x0
	v_mul_f32_e32 v82, v82, v83
	s_cbranch_execz .LBB38_270
	s_branch .LBB38_271
.LBB38_269:
                                        ; implicit-def: $vgpr82
.LBB38_270:
	ds_load_b32 v82, v1
.LBB38_271:
	s_and_saveexec_b32 s8, s1
	s_cbranch_execz .LBB38_275
; %bb.272:
	v_add_nc_u32_e32 v83, -11, v0
	s_mov_b32 s1, 44
	s_movk_i32 s10, 0xcc
	s_mov_b32 s9, 0
.LBB38_273:                             ; =>This Inner Loop Header: Depth=1
	scratch_load_b32 v84, off, s1
	v_dual_mov_b32 v85, s10 :: v_dual_add_nc_u32 v83, -1, v83
	s_add_co_i32 s10, s10, 4
	s_wait_xcnt 0x0
	s_add_co_i32 s1, s1, 4
	ds_load_b32 v85, v85
	v_cmp_eq_u32_e32 vcc_lo, 0, v83
	s_or_b32 s9, vcc_lo, s9
	s_wait_loadcnt_dscnt 0x0
	v_fmac_f32_e32 v82, v84, v85
	s_and_not1_b32 exec_lo, exec_lo, s9
	s_cbranch_execnz .LBB38_273
; %bb.274:
	s_or_b32 exec_lo, exec_lo, s9
.LBB38_275:
	s_delay_alu instid0(SALU_CYCLE_1)
	s_or_b32 exec_lo, exec_lo, s8
	v_mov_b32_e32 v83, 0
	ds_load_b32 v83, v83 offset:40
	s_wait_dscnt 0x0
	v_mul_f32_e32 v82, v82, v83
	scratch_store_b32 off, v82, off offset:40
.LBB38_276:
	s_wait_xcnt 0x0
	s_or_b32 exec_lo, exec_lo, s2
	scratch_load_b32 v82, off, off offset:36
	v_cmp_lt_u32_e64 s1, 9, v0
	s_wait_loadcnt 0x0
	ds_store_b32 v1, v82
	s_wait_storecnt_dscnt 0x0
	s_barrier_signal -1
	s_barrier_wait -1
	s_wait_xcnt 0x0
	s_and_saveexec_b32 s2, s1
	s_cbranch_execz .LBB38_286
; %bb.277:
	s_and_not1_b32 vcc_lo, exec_lo, s3
	s_cbranch_vccnz .LBB38_279
; %bb.278:
	scratch_load_b32 v82, v7, off
	ds_load_b32 v83, v1
	s_wait_loadcnt_dscnt 0x0
	v_mul_f32_e32 v82, v82, v83
	s_cbranch_execz .LBB38_280
	s_branch .LBB38_281
.LBB38_279:
                                        ; implicit-def: $vgpr82
.LBB38_280:
	ds_load_b32 v82, v1
.LBB38_281:
	s_and_saveexec_b32 s8, s0
	s_cbranch_execz .LBB38_285
; %bb.282:
	v_add_nc_u32_e32 v83, -10, v0
	s_mov_b32 s0, 40
	s_movk_i32 s10, 0xc8
	s_mov_b32 s9, 0
.LBB38_283:                             ; =>This Inner Loop Header: Depth=1
	scratch_load_b32 v84, off, s0
	v_dual_mov_b32 v85, s10 :: v_dual_add_nc_u32 v83, -1, v83
	s_add_co_i32 s10, s10, 4
	s_wait_xcnt 0x0
	s_add_co_i32 s0, s0, 4
	ds_load_b32 v85, v85
	v_cmp_eq_u32_e32 vcc_lo, 0, v83
	s_or_b32 s9, vcc_lo, s9
	s_wait_loadcnt_dscnt 0x0
	v_fmac_f32_e32 v82, v84, v85
	s_and_not1_b32 exec_lo, exec_lo, s9
	s_cbranch_execnz .LBB38_283
; %bb.284:
	s_or_b32 exec_lo, exec_lo, s9
.LBB38_285:
	s_delay_alu instid0(SALU_CYCLE_1)
	s_or_b32 exec_lo, exec_lo, s8
	v_mov_b32_e32 v83, 0
	ds_load_b32 v83, v83 offset:36
	s_wait_dscnt 0x0
	v_mul_f32_e32 v82, v82, v83
	scratch_store_b32 off, v82, off offset:36
.LBB38_286:
	;; [unrolled: 58-line block ×3, first 2 shown]
	s_wait_xcnt 0x0
	s_or_b32 exec_lo, exec_lo, s2
	scratch_load_b32 v82, off, off offset:28
	v_cmp_lt_u32_e64 s1, 7, v0
	s_wait_loadcnt 0x0
	ds_store_b32 v1, v82
	s_wait_storecnt_dscnt 0x0
	s_barrier_signal -1
	s_barrier_wait -1
	s_wait_xcnt 0x0
	s_and_saveexec_b32 s2, s1
	s_cbranch_execz .LBB38_306
; %bb.297:
	s_and_not1_b32 vcc_lo, exec_lo, s3
	s_cbranch_vccnz .LBB38_299
; %bb.298:
	scratch_load_b32 v82, v7, off
	ds_load_b32 v83, v1
	s_wait_loadcnt_dscnt 0x0
	v_mul_f32_e32 v82, v82, v83
	s_cbranch_execz .LBB38_300
	s_branch .LBB38_301
.LBB38_299:
                                        ; implicit-def: $vgpr82
.LBB38_300:
	ds_load_b32 v82, v1
.LBB38_301:
	s_and_saveexec_b32 s8, s0
	s_cbranch_execz .LBB38_305
; %bb.302:
	v_add_nc_u32_e32 v83, -8, v0
	s_movk_i32 s9, 0xc0
	s_mov_b32 s0, 0
.LBB38_303:                             ; =>This Inner Loop Header: Depth=1
	scratch_load_b32 v84, off, s5
	v_dual_mov_b32 v85, s9 :: v_dual_add_nc_u32 v83, -1, v83
	s_add_co_i32 s9, s9, 4
	s_wait_xcnt 0x0
	s_add_co_i32 s5, s5, 4
	ds_load_b32 v85, v85
	v_cmp_eq_u32_e32 vcc_lo, 0, v83
	s_or_b32 s0, vcc_lo, s0
	s_wait_loadcnt_dscnt 0x0
	v_fmac_f32_e32 v82, v84, v85
	s_and_not1_b32 exec_lo, exec_lo, s0
	s_cbranch_execnz .LBB38_303
; %bb.304:
	s_or_b32 exec_lo, exec_lo, s0
.LBB38_305:
	s_delay_alu instid0(SALU_CYCLE_1)
	s_or_b32 exec_lo, exec_lo, s8
	v_mov_b32_e32 v83, 0
	ds_load_b32 v83, v83 offset:28
	s_wait_dscnt 0x0
	v_mul_f32_e32 v82, v82, v83
	scratch_store_b32 off, v82, off offset:28
.LBB38_306:
	s_wait_xcnt 0x0
	s_or_b32 exec_lo, exec_lo, s2
	scratch_load_b32 v82, off, off offset:24
	v_cmp_lt_u32_e64 s0, 6, v0
	s_wait_loadcnt 0x0
	ds_store_b32 v1, v82
	s_wait_storecnt_dscnt 0x0
	s_barrier_signal -1
	s_barrier_wait -1
	s_wait_xcnt 0x0
	s_and_saveexec_b32 s2, s0
	s_cbranch_execz .LBB38_316
; %bb.307:
	s_and_not1_b32 vcc_lo, exec_lo, s3
	s_cbranch_vccnz .LBB38_309
; %bb.308:
	scratch_load_b32 v82, v7, off
	ds_load_b32 v83, v1
	s_wait_loadcnt_dscnt 0x0
	v_mul_f32_e32 v82, v82, v83
	s_cbranch_execz .LBB38_310
	s_branch .LBB38_311
.LBB38_309:
                                        ; implicit-def: $vgpr82
.LBB38_310:
	ds_load_b32 v82, v1
.LBB38_311:
	s_and_saveexec_b32 s5, s1
	s_cbranch_execz .LBB38_315
; %bb.312:
	v_add_nc_u32_e32 v83, -7, v0
	s_mov_b32 s1, 28
	s_movk_i32 s9, 0xbc
	s_mov_b32 s8, 0
.LBB38_313:                             ; =>This Inner Loop Header: Depth=1
	scratch_load_b32 v84, off, s1
	v_dual_mov_b32 v85, s9 :: v_dual_add_nc_u32 v83, -1, v83
	s_add_co_i32 s9, s9, 4
	s_wait_xcnt 0x0
	s_add_co_i32 s1, s1, 4
	ds_load_b32 v85, v85
	v_cmp_eq_u32_e32 vcc_lo, 0, v83
	s_or_b32 s8, vcc_lo, s8
	s_wait_loadcnt_dscnt 0x0
	v_fmac_f32_e32 v82, v84, v85
	s_and_not1_b32 exec_lo, exec_lo, s8
	s_cbranch_execnz .LBB38_313
; %bb.314:
	s_or_b32 exec_lo, exec_lo, s8
.LBB38_315:
	s_delay_alu instid0(SALU_CYCLE_1)
	s_or_b32 exec_lo, exec_lo, s5
	v_mov_b32_e32 v83, 0
	ds_load_b32 v83, v83 offset:24
	s_wait_dscnt 0x0
	v_mul_f32_e32 v82, v82, v83
	scratch_store_b32 off, v82, off offset:24
.LBB38_316:
	s_wait_xcnt 0x0
	s_or_b32 exec_lo, exec_lo, s2
	scratch_load_b32 v82, off, off offset:20
	v_cmp_lt_u32_e64 s1, 5, v0
	s_wait_loadcnt 0x0
	ds_store_b32 v1, v82
	s_wait_storecnt_dscnt 0x0
	s_barrier_signal -1
	s_barrier_wait -1
	s_wait_xcnt 0x0
	s_and_saveexec_b32 s2, s1
	s_cbranch_execz .LBB38_326
; %bb.317:
	s_and_not1_b32 vcc_lo, exec_lo, s3
	s_cbranch_vccnz .LBB38_319
; %bb.318:
	scratch_load_b32 v82, v7, off
	ds_load_b32 v83, v1
	s_wait_loadcnt_dscnt 0x0
	v_mul_f32_e32 v82, v82, v83
	s_cbranch_execz .LBB38_320
	s_branch .LBB38_321
.LBB38_319:
                                        ; implicit-def: $vgpr82
.LBB38_320:
	ds_load_b32 v82, v1
.LBB38_321:
	s_and_saveexec_b32 s5, s0
	s_cbranch_execz .LBB38_325
; %bb.322:
	v_add_nc_u32_e32 v83, -6, v0
	s_mov_b32 s0, 24
	s_movk_i32 s9, 0xb8
	s_mov_b32 s8, 0
.LBB38_323:                             ; =>This Inner Loop Header: Depth=1
	scratch_load_b32 v84, off, s0
	v_dual_mov_b32 v85, s9 :: v_dual_add_nc_u32 v83, -1, v83
	s_add_co_i32 s9, s9, 4
	s_wait_xcnt 0x0
	s_add_co_i32 s0, s0, 4
	ds_load_b32 v85, v85
	v_cmp_eq_u32_e32 vcc_lo, 0, v83
	s_or_b32 s8, vcc_lo, s8
	s_wait_loadcnt_dscnt 0x0
	v_fmac_f32_e32 v82, v84, v85
	s_and_not1_b32 exec_lo, exec_lo, s8
	s_cbranch_execnz .LBB38_323
; %bb.324:
	s_or_b32 exec_lo, exec_lo, s8
.LBB38_325:
	s_delay_alu instid0(SALU_CYCLE_1)
	s_or_b32 exec_lo, exec_lo, s5
	v_mov_b32_e32 v83, 0
	ds_load_b32 v83, v83 offset:20
	s_wait_dscnt 0x0
	v_mul_f32_e32 v82, v82, v83
	scratch_store_b32 off, v82, off offset:20
.LBB38_326:
	;; [unrolled: 58-line block ×3, first 2 shown]
	s_wait_xcnt 0x0
	s_or_b32 exec_lo, exec_lo, s2
	scratch_load_b32 v82, off, off offset:12
	v_cmp_lt_u32_e64 s2, 3, v0
	s_wait_loadcnt 0x0
	ds_store_b32 v1, v82
	s_wait_storecnt_dscnt 0x0
	s_barrier_signal -1
	s_barrier_wait -1
	s_wait_xcnt 0x0
	s_and_saveexec_b32 s1, s2
	s_cbranch_execz .LBB38_346
; %bb.337:
	s_and_not1_b32 vcc_lo, exec_lo, s3
	s_cbranch_vccnz .LBB38_339
; %bb.338:
	scratch_load_b32 v82, v7, off
	ds_load_b32 v83, v1
	s_wait_loadcnt_dscnt 0x0
	v_mul_f32_e32 v82, v82, v83
	s_cbranch_execz .LBB38_340
	s_branch .LBB38_341
.LBB38_339:
                                        ; implicit-def: $vgpr82
.LBB38_340:
	ds_load_b32 v82, v1
.LBB38_341:
	s_and_saveexec_b32 s5, s0
	s_cbranch_execz .LBB38_345
; %bb.342:
	v_add_nc_u32_e32 v83, -4, v0
	s_movk_i32 s8, 0xb0
	s_mov_b32 s0, 0
.LBB38_343:                             ; =>This Inner Loop Header: Depth=1
	scratch_load_b32 v84, off, s4
	v_dual_mov_b32 v85, s8 :: v_dual_add_nc_u32 v83, -1, v83
	s_add_co_i32 s8, s8, 4
	s_wait_xcnt 0x0
	s_add_co_i32 s4, s4, 4
	ds_load_b32 v85, v85
	v_cmp_eq_u32_e32 vcc_lo, 0, v83
	s_or_b32 s0, vcc_lo, s0
	s_wait_loadcnt_dscnt 0x0
	v_fmac_f32_e32 v82, v84, v85
	s_and_not1_b32 exec_lo, exec_lo, s0
	s_cbranch_execnz .LBB38_343
; %bb.344:
	s_or_b32 exec_lo, exec_lo, s0
.LBB38_345:
	s_delay_alu instid0(SALU_CYCLE_1)
	s_or_b32 exec_lo, exec_lo, s5
	v_mov_b32_e32 v83, 0
	ds_load_b32 v83, v83 offset:12
	s_wait_dscnt 0x0
	v_mul_f32_e32 v82, v82, v83
	scratch_store_b32 off, v82, off offset:12
.LBB38_346:
	s_wait_xcnt 0x0
	s_or_b32 exec_lo, exec_lo, s1
	scratch_load_b32 v82, off, off offset:8
	v_cmp_lt_u32_e64 s1, 2, v0
	s_wait_loadcnt 0x0
	ds_store_b32 v1, v82
	s_wait_storecnt_dscnt 0x0
	s_barrier_signal -1
	s_barrier_wait -1
	s_wait_xcnt 0x0
	s_and_saveexec_b32 s0, s1
	s_cbranch_execz .LBB38_356
; %bb.347:
	s_and_not1_b32 vcc_lo, exec_lo, s3
	s_cbranch_vccnz .LBB38_349
; %bb.348:
	scratch_load_b32 v82, v7, off
	ds_load_b32 v83, v1
	s_wait_loadcnt_dscnt 0x0
	v_mul_f32_e32 v82, v82, v83
	s_cbranch_execz .LBB38_350
	s_branch .LBB38_351
.LBB38_349:
                                        ; implicit-def: $vgpr82
.LBB38_350:
	ds_load_b32 v82, v1
.LBB38_351:
	s_and_saveexec_b32 s4, s2
	s_cbranch_execz .LBB38_355
; %bb.352:
	v_add_nc_u32_e32 v83, -3, v0
	s_or_b32 s2, 0, 12
	s_movk_i32 s8, 0xac
	s_mov_b32 s5, 0
.LBB38_353:                             ; =>This Inner Loop Header: Depth=1
	scratch_load_b32 v84, off, s2
	v_dual_mov_b32 v85, s8 :: v_dual_add_nc_u32 v83, -1, v83
	s_add_co_i32 s8, s8, 4
	s_wait_xcnt 0x0
	s_add_co_i32 s2, s2, 4
	ds_load_b32 v85, v85
	v_cmp_eq_u32_e32 vcc_lo, 0, v83
	s_or_b32 s5, vcc_lo, s5
	s_wait_loadcnt_dscnt 0x0
	v_fmac_f32_e32 v82, v84, v85
	s_and_not1_b32 exec_lo, exec_lo, s5
	s_cbranch_execnz .LBB38_353
; %bb.354:
	s_or_b32 exec_lo, exec_lo, s5
.LBB38_355:
	s_delay_alu instid0(SALU_CYCLE_1)
	s_or_b32 exec_lo, exec_lo, s4
	v_mov_b32_e32 v83, 0
	ds_load_b32 v83, v83 offset:8
	s_wait_dscnt 0x0
	v_mul_f32_e32 v82, v82, v83
	scratch_store_b32 off, v82, off offset:8
.LBB38_356:
	s_wait_xcnt 0x0
	s_or_b32 exec_lo, exec_lo, s0
	scratch_load_b32 v82, off, off offset:4
	v_cmp_lt_u32_e64 s0, 1, v0
	s_wait_loadcnt 0x0
	ds_store_b32 v1, v82
	s_wait_storecnt_dscnt 0x0
	s_barrier_signal -1
	s_barrier_wait -1
	s_wait_xcnt 0x0
	s_and_saveexec_b32 s2, s0
	s_cbranch_execz .LBB38_366
; %bb.357:
	s_and_not1_b32 vcc_lo, exec_lo, s3
	s_cbranch_vccnz .LBB38_359
; %bb.358:
	scratch_load_b32 v82, v7, off
	ds_load_b32 v83, v1
	s_wait_loadcnt_dscnt 0x0
	v_mul_f32_e32 v82, v82, v83
	s_cbranch_execz .LBB38_360
	s_branch .LBB38_361
.LBB38_359:
                                        ; implicit-def: $vgpr82
.LBB38_360:
	ds_load_b32 v82, v1
.LBB38_361:
	s_and_saveexec_b32 s4, s1
	s_cbranch_execz .LBB38_365
; %bb.362:
	v_add_nc_u32_e32 v83, -2, v0
	s_or_b32 s1, 0, 8
	s_movk_i32 s8, 0xa8
	s_mov_b32 s5, 0
.LBB38_363:                             ; =>This Inner Loop Header: Depth=1
	scratch_load_b32 v84, off, s1
	v_dual_mov_b32 v85, s8 :: v_dual_add_nc_u32 v83, -1, v83
	s_add_co_i32 s8, s8, 4
	s_wait_xcnt 0x0
	s_add_co_i32 s1, s1, 4
	ds_load_b32 v85, v85
	v_cmp_eq_u32_e32 vcc_lo, 0, v83
	s_or_b32 s5, vcc_lo, s5
	s_wait_loadcnt_dscnt 0x0
	v_fmac_f32_e32 v82, v84, v85
	s_and_not1_b32 exec_lo, exec_lo, s5
	s_cbranch_execnz .LBB38_363
; %bb.364:
	s_or_b32 exec_lo, exec_lo, s5
.LBB38_365:
	s_delay_alu instid0(SALU_CYCLE_1)
	s_or_b32 exec_lo, exec_lo, s4
	v_mov_b32_e32 v83, 0
	ds_load_b32 v83, v83 offset:4
	s_wait_dscnt 0x0
	v_mul_f32_e32 v82, v82, v83
	scratch_store_b32 off, v82, off offset:4
.LBB38_366:
	s_wait_xcnt 0x0
	s_or_b32 exec_lo, exec_lo, s2
	scratch_load_b32 v82, off, off
	s_mov_b32 s1, 0
	s_mov_b32 s2, exec_lo
	s_wait_loadcnt 0x0
	ds_store_b32 v1, v82
	s_wait_storecnt_dscnt 0x0
	s_barrier_signal -1
	s_barrier_wait -1
	s_wait_xcnt 0x0
	v_cmpx_ne_u32_e32 0, v0
	s_cbranch_execz .LBB38_376
; %bb.367:
	s_and_not1_b32 vcc_lo, exec_lo, s3
	s_cbranch_vccnz .LBB38_369
; %bb.368:
	scratch_load_b32 v82, v7, off
	ds_load_b32 v83, v1
	s_wait_loadcnt_dscnt 0x0
	v_mul_f32_e32 v82, v82, v83
	s_cbranch_execz .LBB38_370
	s_branch .LBB38_371
.LBB38_369:
                                        ; implicit-def: $vgpr82
.LBB38_370:
	ds_load_b32 v82, v1
.LBB38_371:
	s_and_saveexec_b32 s4, s0
	s_cbranch_execz .LBB38_375
; %bb.372:
	v_add_nc_u32_e32 v83, -1, v0
	s_or_b32 s0, 0, 4
	s_movk_i32 s8, 0xa4
	s_mov_b32 s5, 0
.LBB38_373:                             ; =>This Inner Loop Header: Depth=1
	scratch_load_b32 v84, off, s0
	v_dual_mov_b32 v85, s8 :: v_dual_add_nc_u32 v83, -1, v83
	s_add_co_i32 s8, s8, 4
	s_wait_xcnt 0x0
	s_add_co_i32 s0, s0, 4
	ds_load_b32 v85, v85
	v_cmp_eq_u32_e32 vcc_lo, 0, v83
	s_or_b32 s5, vcc_lo, s5
	s_wait_loadcnt_dscnt 0x0
	v_fmac_f32_e32 v82, v84, v85
	s_and_not1_b32 exec_lo, exec_lo, s5
	s_cbranch_execnz .LBB38_373
; %bb.374:
	s_or_b32 exec_lo, exec_lo, s5
.LBB38_375:
	s_delay_alu instid0(SALU_CYCLE_1)
	s_or_b32 exec_lo, exec_lo, s4
	v_mov_b32_e32 v83, 0
	ds_load_b32 v83, v83
	s_wait_dscnt 0x0
	v_mul_f32_e32 v82, v82, v83
	scratch_store_b32 off, v82, off
.LBB38_376:
	s_wait_xcnt 0x0
	s_or_b32 exec_lo, exec_lo, s2
.LBB38_377:
	v_lshl_add_u64 v[94:95], v[8:9], 2, s[6:7]
	v_lshl_add_u64 v[92:93], v[10:11], 2, s[6:7]
	;; [unrolled: 1-line block ×37, first 2 shown]
	s_and_b32 vcc_lo, exec_lo, s1
	s_cbranch_vccz .LBB38_749
; %bb.378:
	scratch_load_b32 v68, off, off offset:4
	v_cmp_eq_u32_e64 s0, 0, v0
	s_wait_loadcnt 0x0
	ds_store_b32 v1, v68
	s_wait_storecnt_dscnt 0x0
	s_barrier_signal -1
	s_barrier_wait -1
	s_wait_xcnt 0x0
	s_and_saveexec_b32 s1, s0
	s_cbranch_execz .LBB38_384
; %bb.379:
	s_and_b32 vcc_lo, exec_lo, s3
	s_cbranch_vccz .LBB38_381
; %bb.380:
	scratch_load_b32 v68, v7, off
	ds_load_b32 v69, v1
	s_wait_loadcnt_dscnt 0x0
	v_mul_f32_e32 v68, v68, v69
	s_cbranch_execz .LBB38_382
	s_branch .LBB38_383
.LBB38_381:
                                        ; implicit-def: $vgpr68
.LBB38_382:
	ds_load_b32 v68, v1
.LBB38_383:
	v_mov_b32_e32 v69, 0
	ds_load_b32 v69, v69 offset:4
	s_wait_dscnt 0x0
	v_mul_f32_e32 v68, v68, v69
	scratch_store_b32 off, v68, off offset:4
.LBB38_384:
	s_wait_xcnt 0x0
	s_or_b32 exec_lo, exec_lo, s1
	scratch_load_b32 v69, off, off offset:8
	v_cndmask_b32_e64 v68, 0, 1, s3
	s_mov_b32 s1, exec_lo
	s_wait_loadcnt 0x0
	ds_store_b32 v1, v69
	s_wait_storecnt_dscnt 0x0
	s_barrier_signal -1
	s_barrier_wait -1
	s_wait_xcnt 0x0
	v_cmpx_gt_u32_e32 2, v0
	s_cbranch_execz .LBB38_390
; %bb.385:
	s_and_not1_b32 vcc_lo, exec_lo, s3
	s_cbranch_vccnz .LBB38_387
; %bb.386:
	scratch_load_b32 v69, v7, off
	ds_load_b32 v70, v1
	s_wait_loadcnt_dscnt 0x0
	v_mul_f32_e32 v69, v69, v70
	s_cbranch_execz .LBB38_388
	s_branch .LBB38_389
.LBB38_387:
                                        ; implicit-def: $vgpr69
.LBB38_388:
	ds_load_b32 v69, v1
.LBB38_389:
	scratch_load_b32 v72, off, off offset:4
	v_mov_b32_e32 v70, 0
	ds_load_2addr_b32 v[70:71], v70 offset0:2 offset1:41
	s_wait_loadcnt_dscnt 0x0
	v_fma_f32 v71, v72, v71, v69
	s_delay_alu instid0(VALU_DEP_1) | instskip(NEXT) | instid1(VALU_DEP_1)
	v_cndmask_b32_e64 v69, v69, v71, s0
	v_mul_f32_e32 v69, v69, v70
	scratch_store_b32 off, v69, off offset:8
.LBB38_390:
	s_wait_xcnt 0x0
	s_or_b32 exec_lo, exec_lo, s1
	scratch_load_b32 v69, off, off offset:12
	s_mov_b32 s1, exec_lo
	s_wait_loadcnt 0x0
	ds_store_b32 v1, v69
	s_wait_storecnt_dscnt 0x0
	s_barrier_signal -1
	s_barrier_wait -1
	s_wait_xcnt 0x0
	v_cmpx_gt_u32_e32 3, v0
	s_cbranch_execz .LBB38_398
; %bb.391:
	v_cmp_ne_u32_e32 vcc_lo, 1, v68
	s_cbranch_vccnz .LBB38_393
; %bb.392:
	scratch_load_b32 v69, v7, off
	ds_load_b32 v70, v1
	s_wait_loadcnt_dscnt 0x0
	v_mul_f32_e32 v69, v69, v70
	s_cbranch_execz .LBB38_394
	s_branch .LBB38_395
.LBB38_393:
                                        ; implicit-def: $vgpr69
.LBB38_394:
	ds_load_b32 v69, v1
.LBB38_395:
	s_mov_b32 s2, exec_lo
	v_cmpx_ne_u32_e32 2, v0
	s_cbranch_execz .LBB38_397
; %bb.396:
	scratch_load_b32 v70, v7, off offset:4
	scratch_load_b32 v71, off, off offset:8
	ds_load_b32 v72, v1 offset:4
	v_mov_b32_e32 v73, 0
	ds_load_b32 v73, v73 offset:168
	s_wait_loadcnt_dscnt 0x101
	v_fmac_f32_e32 v69, v70, v72
	s_wait_loadcnt_dscnt 0x0
	s_delay_alu instid0(VALU_DEP_1) | instskip(NEXT) | instid1(VALU_DEP_1)
	v_fma_f32 v70, v71, v73, v69
	v_cndmask_b32_e64 v69, v69, v70, s0
.LBB38_397:
	s_or_b32 exec_lo, exec_lo, s2
	v_mov_b32_e32 v70, 0
	ds_load_b32 v70, v70 offset:12
	s_wait_dscnt 0x0
	v_mul_f32_e32 v69, v69, v70
	scratch_store_b32 off, v69, off offset:12
.LBB38_398:
	s_wait_xcnt 0x0
	s_or_b32 exec_lo, exec_lo, s1
	scratch_load_b32 v69, off, off offset:16
	s_mov_b32 s0, exec_lo
	s_wait_loadcnt 0x0
	ds_store_b32 v1, v69
	s_wait_storecnt_dscnt 0x0
	s_barrier_signal -1
	s_barrier_wait -1
	s_wait_xcnt 0x0
	v_cmpx_gt_u32_e32 4, v0
	s_cbranch_execz .LBB38_408
; %bb.399:
	v_cmp_ne_u32_e32 vcc_lo, 1, v68
	s_cbranch_vccnz .LBB38_401
; %bb.400:
	scratch_load_b32 v69, v7, off
	ds_load_b32 v70, v1
	s_wait_loadcnt_dscnt 0x0
	v_mul_f32_e32 v69, v69, v70
	s_cbranch_execz .LBB38_402
	s_branch .LBB38_403
.LBB38_401:
                                        ; implicit-def: $vgpr69
.LBB38_402:
	ds_load_b32 v69, v1
.LBB38_403:
	s_mov_b32 s1, exec_lo
	v_cmpx_ne_u32_e32 3, v0
	s_cbranch_execz .LBB38_407
; %bb.404:
	v_add_nc_u32_e32 v70, 0xa4, v6
	v_add3_u32 v71, 0, v6, 4
	v_mov_b32_e32 v72, v0
	s_mov_b32 s2, 0
.LBB38_405:                             ; =>This Inner Loop Header: Depth=1
	scratch_load_b32 v73, v71, off
	ds_load_b32 v74, v70
	v_dual_add_nc_u32 v72, 1, v72 :: v_dual_add_nc_u32 v70, 4, v70
	s_wait_xcnt 0x0
	v_add_nc_u32_e32 v71, 4, v71
	s_delay_alu instid0(VALU_DEP_2)
	v_cmp_lt_u32_e32 vcc_lo, 2, v72
	s_or_b32 s2, vcc_lo, s2
	s_wait_loadcnt_dscnt 0x0
	v_fmac_f32_e32 v69, v73, v74
	s_and_not1_b32 exec_lo, exec_lo, s2
	s_cbranch_execnz .LBB38_405
; %bb.406:
	s_or_b32 exec_lo, exec_lo, s2
.LBB38_407:
	s_delay_alu instid0(SALU_CYCLE_1)
	s_or_b32 exec_lo, exec_lo, s1
	v_mov_b32_e32 v70, 0
	ds_load_b32 v70, v70 offset:16
	s_wait_dscnt 0x0
	v_mul_f32_e32 v69, v69, v70
	scratch_store_b32 off, v69, off offset:16
.LBB38_408:
	s_wait_xcnt 0x0
	s_or_b32 exec_lo, exec_lo, s0
	scratch_load_b32 v69, off, off offset:20
	s_mov_b32 s0, exec_lo
	s_wait_loadcnt 0x0
	ds_store_b32 v1, v69
	s_wait_storecnt_dscnt 0x0
	s_barrier_signal -1
	s_barrier_wait -1
	s_wait_xcnt 0x0
	v_cmpx_gt_u32_e32 5, v0
	s_cbranch_execz .LBB38_418
; %bb.409:
	v_cmp_ne_u32_e32 vcc_lo, 1, v68
	s_cbranch_vccnz .LBB38_411
; %bb.410:
	scratch_load_b32 v69, v7, off
	ds_load_b32 v70, v1
	s_wait_loadcnt_dscnt 0x0
	v_mul_f32_e32 v69, v69, v70
	s_cbranch_execz .LBB38_412
	s_branch .LBB38_413
.LBB38_411:
                                        ; implicit-def: $vgpr69
.LBB38_412:
	ds_load_b32 v69, v1
.LBB38_413:
	s_mov_b32 s1, exec_lo
	v_cmpx_ne_u32_e32 4, v0
	s_cbranch_execz .LBB38_417
; %bb.414:
	v_add_nc_u32_e32 v70, 0xa4, v6
	v_add3_u32 v71, 0, v6, 4
	v_mov_b32_e32 v72, v0
	s_mov_b32 s2, 0
.LBB38_415:                             ; =>This Inner Loop Header: Depth=1
	scratch_load_b32 v73, v71, off
	ds_load_b32 v74, v70
	v_dual_add_nc_u32 v72, 1, v72 :: v_dual_add_nc_u32 v70, 4, v70
	s_wait_xcnt 0x0
	v_add_nc_u32_e32 v71, 4, v71
	s_delay_alu instid0(VALU_DEP_2)
	v_cmp_lt_u32_e32 vcc_lo, 3, v72
	s_or_b32 s2, vcc_lo, s2
	s_wait_loadcnt_dscnt 0x0
	v_fmac_f32_e32 v69, v73, v74
	s_and_not1_b32 exec_lo, exec_lo, s2
	s_cbranch_execnz .LBB38_415
; %bb.416:
	s_or_b32 exec_lo, exec_lo, s2
.LBB38_417:
	s_delay_alu instid0(SALU_CYCLE_1)
	s_or_b32 exec_lo, exec_lo, s1
	v_mov_b32_e32 v70, 0
	ds_load_b32 v70, v70 offset:20
	s_wait_dscnt 0x0
	v_mul_f32_e32 v69, v69, v70
	scratch_store_b32 off, v69, off offset:20
.LBB38_418:
	s_wait_xcnt 0x0
	s_or_b32 exec_lo, exec_lo, s0
	scratch_load_b32 v69, off, off offset:24
	s_mov_b32 s0, exec_lo
	s_wait_loadcnt 0x0
	ds_store_b32 v1, v69
	s_wait_storecnt_dscnt 0x0
	s_barrier_signal -1
	s_barrier_wait -1
	s_wait_xcnt 0x0
	v_cmpx_gt_u32_e32 6, v0
	s_cbranch_execz .LBB38_428
; %bb.419:
	v_cmp_ne_u32_e32 vcc_lo, 1, v68
	s_cbranch_vccnz .LBB38_421
; %bb.420:
	scratch_load_b32 v69, v7, off
	ds_load_b32 v70, v1
	s_wait_loadcnt_dscnt 0x0
	v_mul_f32_e32 v69, v69, v70
	s_cbranch_execz .LBB38_422
	s_branch .LBB38_423
.LBB38_421:
                                        ; implicit-def: $vgpr69
.LBB38_422:
	ds_load_b32 v69, v1
.LBB38_423:
	s_mov_b32 s1, exec_lo
	v_cmpx_ne_u32_e32 5, v0
	s_cbranch_execz .LBB38_427
; %bb.424:
	v_add_nc_u32_e32 v70, 0xa4, v6
	v_add3_u32 v71, 0, v6, 4
	v_mov_b32_e32 v72, v0
	s_mov_b32 s2, 0
.LBB38_425:                             ; =>This Inner Loop Header: Depth=1
	scratch_load_b32 v73, v71, off
	ds_load_b32 v74, v70
	v_dual_add_nc_u32 v72, 1, v72 :: v_dual_add_nc_u32 v70, 4, v70
	s_wait_xcnt 0x0
	v_add_nc_u32_e32 v71, 4, v71
	s_delay_alu instid0(VALU_DEP_2)
	v_cmp_lt_u32_e32 vcc_lo, 4, v72
	s_or_b32 s2, vcc_lo, s2
	s_wait_loadcnt_dscnt 0x0
	v_fmac_f32_e32 v69, v73, v74
	s_and_not1_b32 exec_lo, exec_lo, s2
	s_cbranch_execnz .LBB38_425
; %bb.426:
	s_or_b32 exec_lo, exec_lo, s2
.LBB38_427:
	s_delay_alu instid0(SALU_CYCLE_1)
	s_or_b32 exec_lo, exec_lo, s1
	v_mov_b32_e32 v70, 0
	ds_load_b32 v70, v70 offset:24
	s_wait_dscnt 0x0
	v_mul_f32_e32 v69, v69, v70
	scratch_store_b32 off, v69, off offset:24
.LBB38_428:
	s_wait_xcnt 0x0
	s_or_b32 exec_lo, exec_lo, s0
	scratch_load_b32 v69, off, off offset:28
	s_mov_b32 s0, exec_lo
	s_wait_loadcnt 0x0
	ds_store_b32 v1, v69
	s_wait_storecnt_dscnt 0x0
	s_barrier_signal -1
	s_barrier_wait -1
	s_wait_xcnt 0x0
	v_cmpx_gt_u32_e32 7, v0
	s_cbranch_execz .LBB38_438
; %bb.429:
	v_cmp_ne_u32_e32 vcc_lo, 1, v68
	s_cbranch_vccnz .LBB38_431
; %bb.430:
	scratch_load_b32 v69, v7, off
	ds_load_b32 v70, v1
	s_wait_loadcnt_dscnt 0x0
	v_mul_f32_e32 v69, v69, v70
	s_cbranch_execz .LBB38_432
	s_branch .LBB38_433
.LBB38_431:
                                        ; implicit-def: $vgpr69
.LBB38_432:
	ds_load_b32 v69, v1
.LBB38_433:
	s_mov_b32 s1, exec_lo
	v_cmpx_ne_u32_e32 6, v0
	s_cbranch_execz .LBB38_437
; %bb.434:
	v_add_nc_u32_e32 v70, 0xa4, v6
	v_add3_u32 v71, 0, v6, 4
	v_mov_b32_e32 v72, v0
	s_mov_b32 s2, 0
.LBB38_435:                             ; =>This Inner Loop Header: Depth=1
	scratch_load_b32 v73, v71, off
	ds_load_b32 v74, v70
	v_dual_add_nc_u32 v72, 1, v72 :: v_dual_add_nc_u32 v70, 4, v70
	s_wait_xcnt 0x0
	v_add_nc_u32_e32 v71, 4, v71
	s_delay_alu instid0(VALU_DEP_2)
	v_cmp_lt_u32_e32 vcc_lo, 5, v72
	s_or_b32 s2, vcc_lo, s2
	s_wait_loadcnt_dscnt 0x0
	v_fmac_f32_e32 v69, v73, v74
	s_and_not1_b32 exec_lo, exec_lo, s2
	s_cbranch_execnz .LBB38_435
; %bb.436:
	s_or_b32 exec_lo, exec_lo, s2
.LBB38_437:
	s_delay_alu instid0(SALU_CYCLE_1)
	s_or_b32 exec_lo, exec_lo, s1
	v_mov_b32_e32 v70, 0
	ds_load_b32 v70, v70 offset:28
	s_wait_dscnt 0x0
	v_mul_f32_e32 v69, v69, v70
	scratch_store_b32 off, v69, off offset:28
.LBB38_438:
	s_wait_xcnt 0x0
	s_or_b32 exec_lo, exec_lo, s0
	scratch_load_b32 v69, off, off offset:32
	s_mov_b32 s0, exec_lo
	s_wait_loadcnt 0x0
	ds_store_b32 v1, v69
	s_wait_storecnt_dscnt 0x0
	s_barrier_signal -1
	s_barrier_wait -1
	s_wait_xcnt 0x0
	v_cmpx_gt_u32_e32 8, v0
	s_cbranch_execz .LBB38_448
; %bb.439:
	v_cmp_ne_u32_e32 vcc_lo, 1, v68
	s_cbranch_vccnz .LBB38_441
; %bb.440:
	scratch_load_b32 v69, v7, off
	ds_load_b32 v70, v1
	s_wait_loadcnt_dscnt 0x0
	v_mul_f32_e32 v69, v69, v70
	s_cbranch_execz .LBB38_442
	s_branch .LBB38_443
.LBB38_441:
                                        ; implicit-def: $vgpr69
.LBB38_442:
	ds_load_b32 v69, v1
.LBB38_443:
	s_mov_b32 s1, exec_lo
	v_cmpx_ne_u32_e32 7, v0
	s_cbranch_execz .LBB38_447
; %bb.444:
	v_add_nc_u32_e32 v70, 0xa4, v6
	v_add3_u32 v71, 0, v6, 4
	v_mov_b32_e32 v72, v0
	s_mov_b32 s2, 0
.LBB38_445:                             ; =>This Inner Loop Header: Depth=1
	scratch_load_b32 v73, v71, off
	ds_load_b32 v74, v70
	v_dual_add_nc_u32 v72, 1, v72 :: v_dual_add_nc_u32 v70, 4, v70
	s_wait_xcnt 0x0
	v_add_nc_u32_e32 v71, 4, v71
	s_delay_alu instid0(VALU_DEP_2)
	v_cmp_lt_u32_e32 vcc_lo, 6, v72
	s_or_b32 s2, vcc_lo, s2
	s_wait_loadcnt_dscnt 0x0
	v_fmac_f32_e32 v69, v73, v74
	s_and_not1_b32 exec_lo, exec_lo, s2
	s_cbranch_execnz .LBB38_445
; %bb.446:
	s_or_b32 exec_lo, exec_lo, s2
.LBB38_447:
	s_delay_alu instid0(SALU_CYCLE_1)
	s_or_b32 exec_lo, exec_lo, s1
	v_mov_b32_e32 v70, 0
	ds_load_b32 v70, v70 offset:32
	s_wait_dscnt 0x0
	v_mul_f32_e32 v69, v69, v70
	scratch_store_b32 off, v69, off offset:32
.LBB38_448:
	s_wait_xcnt 0x0
	s_or_b32 exec_lo, exec_lo, s0
	scratch_load_b32 v69, off, off offset:36
	s_mov_b32 s0, exec_lo
	s_wait_loadcnt 0x0
	ds_store_b32 v1, v69
	s_wait_storecnt_dscnt 0x0
	s_barrier_signal -1
	s_barrier_wait -1
	s_wait_xcnt 0x0
	v_cmpx_gt_u32_e32 9, v0
	s_cbranch_execz .LBB38_458
; %bb.449:
	v_cmp_ne_u32_e32 vcc_lo, 1, v68
	s_cbranch_vccnz .LBB38_451
; %bb.450:
	scratch_load_b32 v69, v7, off
	ds_load_b32 v70, v1
	s_wait_loadcnt_dscnt 0x0
	v_mul_f32_e32 v69, v69, v70
	s_cbranch_execz .LBB38_452
	s_branch .LBB38_453
.LBB38_451:
                                        ; implicit-def: $vgpr69
.LBB38_452:
	ds_load_b32 v69, v1
.LBB38_453:
	s_mov_b32 s1, exec_lo
	v_cmpx_ne_u32_e32 8, v0
	s_cbranch_execz .LBB38_457
; %bb.454:
	v_add_nc_u32_e32 v70, 0xa4, v6
	v_add3_u32 v71, 0, v6, 4
	v_mov_b32_e32 v72, v0
	s_mov_b32 s2, 0
.LBB38_455:                             ; =>This Inner Loop Header: Depth=1
	scratch_load_b32 v73, v71, off
	ds_load_b32 v74, v70
	v_dual_add_nc_u32 v72, 1, v72 :: v_dual_add_nc_u32 v70, 4, v70
	s_wait_xcnt 0x0
	v_add_nc_u32_e32 v71, 4, v71
	s_delay_alu instid0(VALU_DEP_2)
	v_cmp_lt_u32_e32 vcc_lo, 7, v72
	s_or_b32 s2, vcc_lo, s2
	s_wait_loadcnt_dscnt 0x0
	v_fmac_f32_e32 v69, v73, v74
	s_and_not1_b32 exec_lo, exec_lo, s2
	s_cbranch_execnz .LBB38_455
; %bb.456:
	s_or_b32 exec_lo, exec_lo, s2
.LBB38_457:
	s_delay_alu instid0(SALU_CYCLE_1)
	s_or_b32 exec_lo, exec_lo, s1
	v_mov_b32_e32 v70, 0
	ds_load_b32 v70, v70 offset:36
	s_wait_dscnt 0x0
	v_mul_f32_e32 v69, v69, v70
	scratch_store_b32 off, v69, off offset:36
.LBB38_458:
	s_wait_xcnt 0x0
	s_or_b32 exec_lo, exec_lo, s0
	scratch_load_b32 v69, off, off offset:40
	s_mov_b32 s0, exec_lo
	s_wait_loadcnt 0x0
	ds_store_b32 v1, v69
	s_wait_storecnt_dscnt 0x0
	s_barrier_signal -1
	s_barrier_wait -1
	s_wait_xcnt 0x0
	v_cmpx_gt_u32_e32 10, v0
	s_cbranch_execz .LBB38_468
; %bb.459:
	v_cmp_ne_u32_e32 vcc_lo, 1, v68
	s_cbranch_vccnz .LBB38_461
; %bb.460:
	scratch_load_b32 v69, v7, off
	ds_load_b32 v70, v1
	s_wait_loadcnt_dscnt 0x0
	v_mul_f32_e32 v69, v69, v70
	s_cbranch_execz .LBB38_462
	s_branch .LBB38_463
.LBB38_461:
                                        ; implicit-def: $vgpr69
.LBB38_462:
	ds_load_b32 v69, v1
.LBB38_463:
	s_mov_b32 s1, exec_lo
	v_cmpx_ne_u32_e32 9, v0
	s_cbranch_execz .LBB38_467
; %bb.464:
	v_add_nc_u32_e32 v70, 0xa4, v6
	v_add3_u32 v71, 0, v6, 4
	v_mov_b32_e32 v72, v0
	s_mov_b32 s2, 0
.LBB38_465:                             ; =>This Inner Loop Header: Depth=1
	scratch_load_b32 v73, v71, off
	ds_load_b32 v74, v70
	v_dual_add_nc_u32 v72, 1, v72 :: v_dual_add_nc_u32 v70, 4, v70
	s_wait_xcnt 0x0
	v_add_nc_u32_e32 v71, 4, v71
	s_delay_alu instid0(VALU_DEP_2)
	v_cmp_lt_u32_e32 vcc_lo, 8, v72
	s_or_b32 s2, vcc_lo, s2
	s_wait_loadcnt_dscnt 0x0
	v_fmac_f32_e32 v69, v73, v74
	s_and_not1_b32 exec_lo, exec_lo, s2
	s_cbranch_execnz .LBB38_465
; %bb.466:
	s_or_b32 exec_lo, exec_lo, s2
.LBB38_467:
	s_delay_alu instid0(SALU_CYCLE_1)
	s_or_b32 exec_lo, exec_lo, s1
	v_mov_b32_e32 v70, 0
	ds_load_b32 v70, v70 offset:40
	s_wait_dscnt 0x0
	v_mul_f32_e32 v69, v69, v70
	scratch_store_b32 off, v69, off offset:40
.LBB38_468:
	s_wait_xcnt 0x0
	s_or_b32 exec_lo, exec_lo, s0
	scratch_load_b32 v69, off, off offset:44
	s_mov_b32 s0, exec_lo
	s_wait_loadcnt 0x0
	ds_store_b32 v1, v69
	s_wait_storecnt_dscnt 0x0
	s_barrier_signal -1
	s_barrier_wait -1
	s_wait_xcnt 0x0
	v_cmpx_gt_u32_e32 11, v0
	s_cbranch_execz .LBB38_478
; %bb.469:
	v_cmp_ne_u32_e32 vcc_lo, 1, v68
	s_cbranch_vccnz .LBB38_471
; %bb.470:
	scratch_load_b32 v69, v7, off
	ds_load_b32 v70, v1
	s_wait_loadcnt_dscnt 0x0
	v_mul_f32_e32 v69, v69, v70
	s_cbranch_execz .LBB38_472
	s_branch .LBB38_473
.LBB38_471:
                                        ; implicit-def: $vgpr69
.LBB38_472:
	ds_load_b32 v69, v1
.LBB38_473:
	s_mov_b32 s1, exec_lo
	v_cmpx_ne_u32_e32 10, v0
	s_cbranch_execz .LBB38_477
; %bb.474:
	v_add_nc_u32_e32 v70, 0xa4, v6
	v_add3_u32 v71, 0, v6, 4
	v_mov_b32_e32 v72, v0
	s_mov_b32 s2, 0
.LBB38_475:                             ; =>This Inner Loop Header: Depth=1
	scratch_load_b32 v73, v71, off
	ds_load_b32 v74, v70
	v_dual_add_nc_u32 v72, 1, v72 :: v_dual_add_nc_u32 v70, 4, v70
	s_wait_xcnt 0x0
	v_add_nc_u32_e32 v71, 4, v71
	s_delay_alu instid0(VALU_DEP_2)
	v_cmp_lt_u32_e32 vcc_lo, 9, v72
	s_or_b32 s2, vcc_lo, s2
	s_wait_loadcnt_dscnt 0x0
	v_fmac_f32_e32 v69, v73, v74
	s_and_not1_b32 exec_lo, exec_lo, s2
	s_cbranch_execnz .LBB38_475
; %bb.476:
	s_or_b32 exec_lo, exec_lo, s2
.LBB38_477:
	s_delay_alu instid0(SALU_CYCLE_1)
	s_or_b32 exec_lo, exec_lo, s1
	v_mov_b32_e32 v70, 0
	ds_load_b32 v70, v70 offset:44
	s_wait_dscnt 0x0
	v_mul_f32_e32 v69, v69, v70
	scratch_store_b32 off, v69, off offset:44
.LBB38_478:
	s_wait_xcnt 0x0
	s_or_b32 exec_lo, exec_lo, s0
	scratch_load_b32 v69, off, off offset:48
	s_mov_b32 s0, exec_lo
	s_wait_loadcnt 0x0
	ds_store_b32 v1, v69
	s_wait_storecnt_dscnt 0x0
	s_barrier_signal -1
	s_barrier_wait -1
	s_wait_xcnt 0x0
	v_cmpx_gt_u32_e32 12, v0
	s_cbranch_execz .LBB38_488
; %bb.479:
	v_cmp_ne_u32_e32 vcc_lo, 1, v68
	s_cbranch_vccnz .LBB38_481
; %bb.480:
	scratch_load_b32 v69, v7, off
	ds_load_b32 v70, v1
	s_wait_loadcnt_dscnt 0x0
	v_mul_f32_e32 v69, v69, v70
	s_cbranch_execz .LBB38_482
	s_branch .LBB38_483
.LBB38_481:
                                        ; implicit-def: $vgpr69
.LBB38_482:
	ds_load_b32 v69, v1
.LBB38_483:
	s_mov_b32 s1, exec_lo
	v_cmpx_ne_u32_e32 11, v0
	s_cbranch_execz .LBB38_487
; %bb.484:
	v_add_nc_u32_e32 v70, 0xa4, v6
	v_add3_u32 v71, 0, v6, 4
	v_mov_b32_e32 v72, v0
	s_mov_b32 s2, 0
.LBB38_485:                             ; =>This Inner Loop Header: Depth=1
	scratch_load_b32 v73, v71, off
	ds_load_b32 v74, v70
	v_dual_add_nc_u32 v72, 1, v72 :: v_dual_add_nc_u32 v70, 4, v70
	s_wait_xcnt 0x0
	v_add_nc_u32_e32 v71, 4, v71
	s_delay_alu instid0(VALU_DEP_2)
	v_cmp_lt_u32_e32 vcc_lo, 10, v72
	s_or_b32 s2, vcc_lo, s2
	s_wait_loadcnt_dscnt 0x0
	v_fmac_f32_e32 v69, v73, v74
	s_and_not1_b32 exec_lo, exec_lo, s2
	s_cbranch_execnz .LBB38_485
; %bb.486:
	s_or_b32 exec_lo, exec_lo, s2
.LBB38_487:
	s_delay_alu instid0(SALU_CYCLE_1)
	s_or_b32 exec_lo, exec_lo, s1
	v_mov_b32_e32 v70, 0
	ds_load_b32 v70, v70 offset:48
	s_wait_dscnt 0x0
	v_mul_f32_e32 v69, v69, v70
	scratch_store_b32 off, v69, off offset:48
.LBB38_488:
	s_wait_xcnt 0x0
	s_or_b32 exec_lo, exec_lo, s0
	scratch_load_b32 v69, off, off offset:52
	s_mov_b32 s0, exec_lo
	s_wait_loadcnt 0x0
	ds_store_b32 v1, v69
	s_wait_storecnt_dscnt 0x0
	s_barrier_signal -1
	s_barrier_wait -1
	s_wait_xcnt 0x0
	v_cmpx_gt_u32_e32 13, v0
	s_cbranch_execz .LBB38_498
; %bb.489:
	v_cmp_ne_u32_e32 vcc_lo, 1, v68
	s_cbranch_vccnz .LBB38_491
; %bb.490:
	scratch_load_b32 v69, v7, off
	ds_load_b32 v70, v1
	s_wait_loadcnt_dscnt 0x0
	v_mul_f32_e32 v69, v69, v70
	s_cbranch_execz .LBB38_492
	s_branch .LBB38_493
.LBB38_491:
                                        ; implicit-def: $vgpr69
.LBB38_492:
	ds_load_b32 v69, v1
.LBB38_493:
	s_mov_b32 s1, exec_lo
	v_cmpx_ne_u32_e32 12, v0
	s_cbranch_execz .LBB38_497
; %bb.494:
	v_add_nc_u32_e32 v70, 0xa4, v6
	v_add3_u32 v71, 0, v6, 4
	v_mov_b32_e32 v72, v0
	s_mov_b32 s2, 0
.LBB38_495:                             ; =>This Inner Loop Header: Depth=1
	scratch_load_b32 v73, v71, off
	ds_load_b32 v74, v70
	v_dual_add_nc_u32 v72, 1, v72 :: v_dual_add_nc_u32 v70, 4, v70
	s_wait_xcnt 0x0
	v_add_nc_u32_e32 v71, 4, v71
	s_delay_alu instid0(VALU_DEP_2)
	v_cmp_lt_u32_e32 vcc_lo, 11, v72
	s_or_b32 s2, vcc_lo, s2
	s_wait_loadcnt_dscnt 0x0
	v_fmac_f32_e32 v69, v73, v74
	s_and_not1_b32 exec_lo, exec_lo, s2
	s_cbranch_execnz .LBB38_495
; %bb.496:
	s_or_b32 exec_lo, exec_lo, s2
.LBB38_497:
	s_delay_alu instid0(SALU_CYCLE_1)
	s_or_b32 exec_lo, exec_lo, s1
	v_mov_b32_e32 v70, 0
	ds_load_b32 v70, v70 offset:52
	s_wait_dscnt 0x0
	v_mul_f32_e32 v69, v69, v70
	scratch_store_b32 off, v69, off offset:52
.LBB38_498:
	s_wait_xcnt 0x0
	s_or_b32 exec_lo, exec_lo, s0
	scratch_load_b32 v69, off, off offset:56
	s_mov_b32 s0, exec_lo
	s_wait_loadcnt 0x0
	ds_store_b32 v1, v69
	s_wait_storecnt_dscnt 0x0
	s_barrier_signal -1
	s_barrier_wait -1
	s_wait_xcnt 0x0
	v_cmpx_gt_u32_e32 14, v0
	s_cbranch_execz .LBB38_508
; %bb.499:
	v_cmp_ne_u32_e32 vcc_lo, 1, v68
	s_cbranch_vccnz .LBB38_501
; %bb.500:
	scratch_load_b32 v69, v7, off
	ds_load_b32 v70, v1
	s_wait_loadcnt_dscnt 0x0
	v_mul_f32_e32 v69, v69, v70
	s_cbranch_execz .LBB38_502
	s_branch .LBB38_503
.LBB38_501:
                                        ; implicit-def: $vgpr69
.LBB38_502:
	ds_load_b32 v69, v1
.LBB38_503:
	s_mov_b32 s1, exec_lo
	v_cmpx_ne_u32_e32 13, v0
	s_cbranch_execz .LBB38_507
; %bb.504:
	v_add_nc_u32_e32 v70, 0xa4, v6
	v_add3_u32 v71, 0, v6, 4
	v_mov_b32_e32 v72, v0
	s_mov_b32 s2, 0
.LBB38_505:                             ; =>This Inner Loop Header: Depth=1
	scratch_load_b32 v73, v71, off
	ds_load_b32 v74, v70
	v_dual_add_nc_u32 v72, 1, v72 :: v_dual_add_nc_u32 v70, 4, v70
	s_wait_xcnt 0x0
	v_add_nc_u32_e32 v71, 4, v71
	s_delay_alu instid0(VALU_DEP_2)
	v_cmp_lt_u32_e32 vcc_lo, 12, v72
	s_or_b32 s2, vcc_lo, s2
	s_wait_loadcnt_dscnt 0x0
	v_fmac_f32_e32 v69, v73, v74
	s_and_not1_b32 exec_lo, exec_lo, s2
	s_cbranch_execnz .LBB38_505
; %bb.506:
	s_or_b32 exec_lo, exec_lo, s2
.LBB38_507:
	s_delay_alu instid0(SALU_CYCLE_1)
	s_or_b32 exec_lo, exec_lo, s1
	v_mov_b32_e32 v70, 0
	ds_load_b32 v70, v70 offset:56
	s_wait_dscnt 0x0
	v_mul_f32_e32 v69, v69, v70
	scratch_store_b32 off, v69, off offset:56
.LBB38_508:
	s_wait_xcnt 0x0
	s_or_b32 exec_lo, exec_lo, s0
	scratch_load_b32 v69, off, off offset:60
	s_mov_b32 s0, exec_lo
	s_wait_loadcnt 0x0
	ds_store_b32 v1, v69
	s_wait_storecnt_dscnt 0x0
	s_barrier_signal -1
	s_barrier_wait -1
	s_wait_xcnt 0x0
	v_cmpx_gt_u32_e32 15, v0
	s_cbranch_execz .LBB38_518
; %bb.509:
	v_cmp_ne_u32_e32 vcc_lo, 1, v68
	s_cbranch_vccnz .LBB38_511
; %bb.510:
	scratch_load_b32 v69, v7, off
	ds_load_b32 v70, v1
	s_wait_loadcnt_dscnt 0x0
	v_mul_f32_e32 v69, v69, v70
	s_cbranch_execz .LBB38_512
	s_branch .LBB38_513
.LBB38_511:
                                        ; implicit-def: $vgpr69
.LBB38_512:
	ds_load_b32 v69, v1
.LBB38_513:
	s_mov_b32 s1, exec_lo
	v_cmpx_ne_u32_e32 14, v0
	s_cbranch_execz .LBB38_517
; %bb.514:
	v_add_nc_u32_e32 v70, 0xa4, v6
	v_add3_u32 v71, 0, v6, 4
	v_mov_b32_e32 v72, v0
	s_mov_b32 s2, 0
.LBB38_515:                             ; =>This Inner Loop Header: Depth=1
	scratch_load_b32 v73, v71, off
	ds_load_b32 v74, v70
	v_dual_add_nc_u32 v72, 1, v72 :: v_dual_add_nc_u32 v70, 4, v70
	s_wait_xcnt 0x0
	v_add_nc_u32_e32 v71, 4, v71
	s_delay_alu instid0(VALU_DEP_2)
	v_cmp_lt_u32_e32 vcc_lo, 13, v72
	s_or_b32 s2, vcc_lo, s2
	s_wait_loadcnt_dscnt 0x0
	v_fmac_f32_e32 v69, v73, v74
	s_and_not1_b32 exec_lo, exec_lo, s2
	s_cbranch_execnz .LBB38_515
; %bb.516:
	s_or_b32 exec_lo, exec_lo, s2
.LBB38_517:
	s_delay_alu instid0(SALU_CYCLE_1)
	s_or_b32 exec_lo, exec_lo, s1
	v_mov_b32_e32 v70, 0
	ds_load_b32 v70, v70 offset:60
	s_wait_dscnt 0x0
	v_mul_f32_e32 v69, v69, v70
	scratch_store_b32 off, v69, off offset:60
.LBB38_518:
	s_wait_xcnt 0x0
	s_or_b32 exec_lo, exec_lo, s0
	scratch_load_b32 v69, off, off offset:64
	s_mov_b32 s0, exec_lo
	s_wait_loadcnt 0x0
	ds_store_b32 v1, v69
	s_wait_storecnt_dscnt 0x0
	s_barrier_signal -1
	s_barrier_wait -1
	s_wait_xcnt 0x0
	v_cmpx_gt_u32_e32 16, v0
	s_cbranch_execz .LBB38_528
; %bb.519:
	v_cmp_ne_u32_e32 vcc_lo, 1, v68
	s_cbranch_vccnz .LBB38_521
; %bb.520:
	scratch_load_b32 v69, v7, off
	ds_load_b32 v70, v1
	s_wait_loadcnt_dscnt 0x0
	v_mul_f32_e32 v69, v69, v70
	s_cbranch_execz .LBB38_522
	s_branch .LBB38_523
.LBB38_521:
                                        ; implicit-def: $vgpr69
.LBB38_522:
	ds_load_b32 v69, v1
.LBB38_523:
	s_mov_b32 s1, exec_lo
	v_cmpx_ne_u32_e32 15, v0
	s_cbranch_execz .LBB38_527
; %bb.524:
	v_add_nc_u32_e32 v70, 0xa4, v6
	v_add3_u32 v71, 0, v6, 4
	v_mov_b32_e32 v72, v0
	s_mov_b32 s2, 0
.LBB38_525:                             ; =>This Inner Loop Header: Depth=1
	scratch_load_b32 v73, v71, off
	ds_load_b32 v74, v70
	v_dual_add_nc_u32 v72, 1, v72 :: v_dual_add_nc_u32 v70, 4, v70
	s_wait_xcnt 0x0
	v_add_nc_u32_e32 v71, 4, v71
	s_delay_alu instid0(VALU_DEP_2)
	v_cmp_lt_u32_e32 vcc_lo, 14, v72
	s_or_b32 s2, vcc_lo, s2
	s_wait_loadcnt_dscnt 0x0
	v_fmac_f32_e32 v69, v73, v74
	s_and_not1_b32 exec_lo, exec_lo, s2
	s_cbranch_execnz .LBB38_525
; %bb.526:
	s_or_b32 exec_lo, exec_lo, s2
.LBB38_527:
	s_delay_alu instid0(SALU_CYCLE_1)
	s_or_b32 exec_lo, exec_lo, s1
	v_mov_b32_e32 v70, 0
	ds_load_b32 v70, v70 offset:64
	s_wait_dscnt 0x0
	v_mul_f32_e32 v69, v69, v70
	scratch_store_b32 off, v69, off offset:64
.LBB38_528:
	s_wait_xcnt 0x0
	s_or_b32 exec_lo, exec_lo, s0
	scratch_load_b32 v69, off, off offset:68
	s_mov_b32 s0, exec_lo
	s_wait_loadcnt 0x0
	ds_store_b32 v1, v69
	s_wait_storecnt_dscnt 0x0
	s_barrier_signal -1
	s_barrier_wait -1
	s_wait_xcnt 0x0
	v_cmpx_gt_u32_e32 17, v0
	s_cbranch_execz .LBB38_538
; %bb.529:
	v_cmp_ne_u32_e32 vcc_lo, 1, v68
	s_cbranch_vccnz .LBB38_531
; %bb.530:
	scratch_load_b32 v69, v7, off
	ds_load_b32 v70, v1
	s_wait_loadcnt_dscnt 0x0
	v_mul_f32_e32 v69, v69, v70
	s_cbranch_execz .LBB38_532
	s_branch .LBB38_533
.LBB38_531:
                                        ; implicit-def: $vgpr69
.LBB38_532:
	ds_load_b32 v69, v1
.LBB38_533:
	s_mov_b32 s1, exec_lo
	v_cmpx_ne_u32_e32 16, v0
	s_cbranch_execz .LBB38_537
; %bb.534:
	v_add_nc_u32_e32 v70, 0xa4, v6
	v_add3_u32 v71, 0, v6, 4
	v_mov_b32_e32 v72, v0
	s_mov_b32 s2, 0
.LBB38_535:                             ; =>This Inner Loop Header: Depth=1
	scratch_load_b32 v73, v71, off
	ds_load_b32 v74, v70
	v_dual_add_nc_u32 v72, 1, v72 :: v_dual_add_nc_u32 v70, 4, v70
	s_wait_xcnt 0x0
	v_add_nc_u32_e32 v71, 4, v71
	s_delay_alu instid0(VALU_DEP_2)
	v_cmp_lt_u32_e32 vcc_lo, 15, v72
	s_or_b32 s2, vcc_lo, s2
	s_wait_loadcnt_dscnt 0x0
	v_fmac_f32_e32 v69, v73, v74
	s_and_not1_b32 exec_lo, exec_lo, s2
	s_cbranch_execnz .LBB38_535
; %bb.536:
	s_or_b32 exec_lo, exec_lo, s2
.LBB38_537:
	s_delay_alu instid0(SALU_CYCLE_1)
	s_or_b32 exec_lo, exec_lo, s1
	v_mov_b32_e32 v70, 0
	ds_load_b32 v70, v70 offset:68
	s_wait_dscnt 0x0
	v_mul_f32_e32 v69, v69, v70
	scratch_store_b32 off, v69, off offset:68
.LBB38_538:
	s_wait_xcnt 0x0
	s_or_b32 exec_lo, exec_lo, s0
	scratch_load_b32 v69, off, off offset:72
	s_mov_b32 s0, exec_lo
	s_wait_loadcnt 0x0
	ds_store_b32 v1, v69
	s_wait_storecnt_dscnt 0x0
	s_barrier_signal -1
	s_barrier_wait -1
	s_wait_xcnt 0x0
	v_cmpx_gt_u32_e32 18, v0
	s_cbranch_execz .LBB38_548
; %bb.539:
	v_cmp_ne_u32_e32 vcc_lo, 1, v68
	s_cbranch_vccnz .LBB38_541
; %bb.540:
	scratch_load_b32 v69, v7, off
	ds_load_b32 v70, v1
	s_wait_loadcnt_dscnt 0x0
	v_mul_f32_e32 v69, v69, v70
	s_cbranch_execz .LBB38_542
	s_branch .LBB38_543
.LBB38_541:
                                        ; implicit-def: $vgpr69
.LBB38_542:
	ds_load_b32 v69, v1
.LBB38_543:
	s_mov_b32 s1, exec_lo
	v_cmpx_ne_u32_e32 17, v0
	s_cbranch_execz .LBB38_547
; %bb.544:
	v_add_nc_u32_e32 v70, 0xa4, v6
	v_add3_u32 v71, 0, v6, 4
	v_mov_b32_e32 v72, v0
	s_mov_b32 s2, 0
.LBB38_545:                             ; =>This Inner Loop Header: Depth=1
	scratch_load_b32 v73, v71, off
	ds_load_b32 v74, v70
	v_dual_add_nc_u32 v72, 1, v72 :: v_dual_add_nc_u32 v70, 4, v70
	s_wait_xcnt 0x0
	v_add_nc_u32_e32 v71, 4, v71
	s_delay_alu instid0(VALU_DEP_2)
	v_cmp_lt_u32_e32 vcc_lo, 16, v72
	s_or_b32 s2, vcc_lo, s2
	s_wait_loadcnt_dscnt 0x0
	v_fmac_f32_e32 v69, v73, v74
	s_and_not1_b32 exec_lo, exec_lo, s2
	s_cbranch_execnz .LBB38_545
; %bb.546:
	s_or_b32 exec_lo, exec_lo, s2
.LBB38_547:
	s_delay_alu instid0(SALU_CYCLE_1)
	s_or_b32 exec_lo, exec_lo, s1
	v_mov_b32_e32 v70, 0
	ds_load_b32 v70, v70 offset:72
	s_wait_dscnt 0x0
	v_mul_f32_e32 v69, v69, v70
	scratch_store_b32 off, v69, off offset:72
.LBB38_548:
	s_wait_xcnt 0x0
	s_or_b32 exec_lo, exec_lo, s0
	scratch_load_b32 v69, off, off offset:76
	s_mov_b32 s0, exec_lo
	s_wait_loadcnt 0x0
	ds_store_b32 v1, v69
	s_wait_storecnt_dscnt 0x0
	s_barrier_signal -1
	s_barrier_wait -1
	s_wait_xcnt 0x0
	v_cmpx_gt_u32_e32 19, v0
	s_cbranch_execz .LBB38_558
; %bb.549:
	v_cmp_ne_u32_e32 vcc_lo, 1, v68
	s_cbranch_vccnz .LBB38_551
; %bb.550:
	scratch_load_b32 v69, v7, off
	ds_load_b32 v70, v1
	s_wait_loadcnt_dscnt 0x0
	v_mul_f32_e32 v69, v69, v70
	s_cbranch_execz .LBB38_552
	s_branch .LBB38_553
.LBB38_551:
                                        ; implicit-def: $vgpr69
.LBB38_552:
	ds_load_b32 v69, v1
.LBB38_553:
	s_mov_b32 s1, exec_lo
	v_cmpx_ne_u32_e32 18, v0
	s_cbranch_execz .LBB38_557
; %bb.554:
	v_add_nc_u32_e32 v70, 0xa4, v6
	v_add3_u32 v71, 0, v6, 4
	v_mov_b32_e32 v72, v0
	s_mov_b32 s2, 0
.LBB38_555:                             ; =>This Inner Loop Header: Depth=1
	scratch_load_b32 v73, v71, off
	ds_load_b32 v74, v70
	v_dual_add_nc_u32 v72, 1, v72 :: v_dual_add_nc_u32 v70, 4, v70
	s_wait_xcnt 0x0
	v_add_nc_u32_e32 v71, 4, v71
	s_delay_alu instid0(VALU_DEP_2)
	v_cmp_lt_u32_e32 vcc_lo, 17, v72
	s_or_b32 s2, vcc_lo, s2
	s_wait_loadcnt_dscnt 0x0
	v_fmac_f32_e32 v69, v73, v74
	s_and_not1_b32 exec_lo, exec_lo, s2
	s_cbranch_execnz .LBB38_555
; %bb.556:
	s_or_b32 exec_lo, exec_lo, s2
.LBB38_557:
	s_delay_alu instid0(SALU_CYCLE_1)
	s_or_b32 exec_lo, exec_lo, s1
	v_mov_b32_e32 v70, 0
	ds_load_b32 v70, v70 offset:76
	s_wait_dscnt 0x0
	v_mul_f32_e32 v69, v69, v70
	scratch_store_b32 off, v69, off offset:76
.LBB38_558:
	s_wait_xcnt 0x0
	s_or_b32 exec_lo, exec_lo, s0
	scratch_load_b32 v69, off, off offset:80
	s_mov_b32 s0, exec_lo
	s_wait_loadcnt 0x0
	ds_store_b32 v1, v69
	s_wait_storecnt_dscnt 0x0
	s_barrier_signal -1
	s_barrier_wait -1
	s_wait_xcnt 0x0
	v_cmpx_gt_u32_e32 20, v0
	s_cbranch_execz .LBB38_568
; %bb.559:
	v_cmp_ne_u32_e32 vcc_lo, 1, v68
	s_cbranch_vccnz .LBB38_561
; %bb.560:
	scratch_load_b32 v69, v7, off
	ds_load_b32 v70, v1
	s_wait_loadcnt_dscnt 0x0
	v_mul_f32_e32 v69, v69, v70
	s_cbranch_execz .LBB38_562
	s_branch .LBB38_563
.LBB38_561:
                                        ; implicit-def: $vgpr69
.LBB38_562:
	ds_load_b32 v69, v1
.LBB38_563:
	s_mov_b32 s1, exec_lo
	v_cmpx_ne_u32_e32 19, v0
	s_cbranch_execz .LBB38_567
; %bb.564:
	v_add_nc_u32_e32 v70, 0xa4, v6
	v_add3_u32 v71, 0, v6, 4
	v_mov_b32_e32 v72, v0
	s_mov_b32 s2, 0
.LBB38_565:                             ; =>This Inner Loop Header: Depth=1
	scratch_load_b32 v73, v71, off
	ds_load_b32 v74, v70
	v_dual_add_nc_u32 v72, 1, v72 :: v_dual_add_nc_u32 v70, 4, v70
	s_wait_xcnt 0x0
	v_add_nc_u32_e32 v71, 4, v71
	s_delay_alu instid0(VALU_DEP_2)
	v_cmp_lt_u32_e32 vcc_lo, 18, v72
	s_or_b32 s2, vcc_lo, s2
	s_wait_loadcnt_dscnt 0x0
	v_fmac_f32_e32 v69, v73, v74
	s_and_not1_b32 exec_lo, exec_lo, s2
	s_cbranch_execnz .LBB38_565
; %bb.566:
	s_or_b32 exec_lo, exec_lo, s2
.LBB38_567:
	s_delay_alu instid0(SALU_CYCLE_1)
	s_or_b32 exec_lo, exec_lo, s1
	v_mov_b32_e32 v70, 0
	ds_load_b32 v70, v70 offset:80
	s_wait_dscnt 0x0
	v_mul_f32_e32 v69, v69, v70
	scratch_store_b32 off, v69, off offset:80
.LBB38_568:
	s_wait_xcnt 0x0
	s_or_b32 exec_lo, exec_lo, s0
	scratch_load_b32 v69, off, off offset:84
	s_mov_b32 s0, exec_lo
	s_wait_loadcnt 0x0
	ds_store_b32 v1, v69
	s_wait_storecnt_dscnt 0x0
	s_barrier_signal -1
	s_barrier_wait -1
	s_wait_xcnt 0x0
	v_cmpx_gt_u32_e32 21, v0
	s_cbranch_execz .LBB38_578
; %bb.569:
	v_cmp_ne_u32_e32 vcc_lo, 1, v68
	s_cbranch_vccnz .LBB38_571
; %bb.570:
	scratch_load_b32 v69, v7, off
	ds_load_b32 v70, v1
	s_wait_loadcnt_dscnt 0x0
	v_mul_f32_e32 v69, v69, v70
	s_cbranch_execz .LBB38_572
	s_branch .LBB38_573
.LBB38_571:
                                        ; implicit-def: $vgpr69
.LBB38_572:
	ds_load_b32 v69, v1
.LBB38_573:
	s_mov_b32 s1, exec_lo
	v_cmpx_ne_u32_e32 20, v0
	s_cbranch_execz .LBB38_577
; %bb.574:
	v_add_nc_u32_e32 v70, 0xa4, v6
	v_add3_u32 v71, 0, v6, 4
	v_mov_b32_e32 v72, v0
	s_mov_b32 s2, 0
.LBB38_575:                             ; =>This Inner Loop Header: Depth=1
	scratch_load_b32 v73, v71, off
	ds_load_b32 v74, v70
	v_dual_add_nc_u32 v72, 1, v72 :: v_dual_add_nc_u32 v70, 4, v70
	s_wait_xcnt 0x0
	v_add_nc_u32_e32 v71, 4, v71
	s_delay_alu instid0(VALU_DEP_2)
	v_cmp_lt_u32_e32 vcc_lo, 19, v72
	s_or_b32 s2, vcc_lo, s2
	s_wait_loadcnt_dscnt 0x0
	v_fmac_f32_e32 v69, v73, v74
	s_and_not1_b32 exec_lo, exec_lo, s2
	s_cbranch_execnz .LBB38_575
; %bb.576:
	s_or_b32 exec_lo, exec_lo, s2
.LBB38_577:
	s_delay_alu instid0(SALU_CYCLE_1)
	s_or_b32 exec_lo, exec_lo, s1
	v_mov_b32_e32 v70, 0
	ds_load_b32 v70, v70 offset:84
	s_wait_dscnt 0x0
	v_mul_f32_e32 v69, v69, v70
	scratch_store_b32 off, v69, off offset:84
.LBB38_578:
	s_wait_xcnt 0x0
	s_or_b32 exec_lo, exec_lo, s0
	scratch_load_b32 v69, off, off offset:88
	s_mov_b32 s0, exec_lo
	s_wait_loadcnt 0x0
	ds_store_b32 v1, v69
	s_wait_storecnt_dscnt 0x0
	s_barrier_signal -1
	s_barrier_wait -1
	s_wait_xcnt 0x0
	v_cmpx_gt_u32_e32 22, v0
	s_cbranch_execz .LBB38_588
; %bb.579:
	v_cmp_ne_u32_e32 vcc_lo, 1, v68
	s_cbranch_vccnz .LBB38_581
; %bb.580:
	scratch_load_b32 v69, v7, off
	ds_load_b32 v70, v1
	s_wait_loadcnt_dscnt 0x0
	v_mul_f32_e32 v69, v69, v70
	s_cbranch_execz .LBB38_582
	s_branch .LBB38_583
.LBB38_581:
                                        ; implicit-def: $vgpr69
.LBB38_582:
	ds_load_b32 v69, v1
.LBB38_583:
	s_mov_b32 s1, exec_lo
	v_cmpx_ne_u32_e32 21, v0
	s_cbranch_execz .LBB38_587
; %bb.584:
	v_add_nc_u32_e32 v70, 0xa4, v6
	v_add3_u32 v71, 0, v6, 4
	v_mov_b32_e32 v72, v0
	s_mov_b32 s2, 0
.LBB38_585:                             ; =>This Inner Loop Header: Depth=1
	scratch_load_b32 v73, v71, off
	ds_load_b32 v74, v70
	v_dual_add_nc_u32 v72, 1, v72 :: v_dual_add_nc_u32 v70, 4, v70
	s_wait_xcnt 0x0
	v_add_nc_u32_e32 v71, 4, v71
	s_delay_alu instid0(VALU_DEP_2)
	v_cmp_lt_u32_e32 vcc_lo, 20, v72
	s_or_b32 s2, vcc_lo, s2
	s_wait_loadcnt_dscnt 0x0
	v_fmac_f32_e32 v69, v73, v74
	s_and_not1_b32 exec_lo, exec_lo, s2
	s_cbranch_execnz .LBB38_585
; %bb.586:
	s_or_b32 exec_lo, exec_lo, s2
.LBB38_587:
	s_delay_alu instid0(SALU_CYCLE_1)
	s_or_b32 exec_lo, exec_lo, s1
	v_mov_b32_e32 v70, 0
	ds_load_b32 v70, v70 offset:88
	s_wait_dscnt 0x0
	v_mul_f32_e32 v69, v69, v70
	scratch_store_b32 off, v69, off offset:88
.LBB38_588:
	s_wait_xcnt 0x0
	s_or_b32 exec_lo, exec_lo, s0
	scratch_load_b32 v69, off, off offset:92
	s_mov_b32 s0, exec_lo
	s_wait_loadcnt 0x0
	ds_store_b32 v1, v69
	s_wait_storecnt_dscnt 0x0
	s_barrier_signal -1
	s_barrier_wait -1
	s_wait_xcnt 0x0
	v_cmpx_gt_u32_e32 23, v0
	s_cbranch_execz .LBB38_598
; %bb.589:
	v_cmp_ne_u32_e32 vcc_lo, 1, v68
	s_cbranch_vccnz .LBB38_591
; %bb.590:
	scratch_load_b32 v69, v7, off
	ds_load_b32 v70, v1
	s_wait_loadcnt_dscnt 0x0
	v_mul_f32_e32 v69, v69, v70
	s_cbranch_execz .LBB38_592
	s_branch .LBB38_593
.LBB38_591:
                                        ; implicit-def: $vgpr69
.LBB38_592:
	ds_load_b32 v69, v1
.LBB38_593:
	s_mov_b32 s1, exec_lo
	v_cmpx_ne_u32_e32 22, v0
	s_cbranch_execz .LBB38_597
; %bb.594:
	v_add_nc_u32_e32 v70, 0xa4, v6
	v_add3_u32 v71, 0, v6, 4
	v_mov_b32_e32 v72, v0
	s_mov_b32 s2, 0
.LBB38_595:                             ; =>This Inner Loop Header: Depth=1
	scratch_load_b32 v73, v71, off
	ds_load_b32 v74, v70
	v_dual_add_nc_u32 v72, 1, v72 :: v_dual_add_nc_u32 v70, 4, v70
	s_wait_xcnt 0x0
	v_add_nc_u32_e32 v71, 4, v71
	s_delay_alu instid0(VALU_DEP_2)
	v_cmp_lt_u32_e32 vcc_lo, 21, v72
	s_or_b32 s2, vcc_lo, s2
	s_wait_loadcnt_dscnt 0x0
	v_fmac_f32_e32 v69, v73, v74
	s_and_not1_b32 exec_lo, exec_lo, s2
	s_cbranch_execnz .LBB38_595
; %bb.596:
	s_or_b32 exec_lo, exec_lo, s2
.LBB38_597:
	s_delay_alu instid0(SALU_CYCLE_1)
	s_or_b32 exec_lo, exec_lo, s1
	v_mov_b32_e32 v70, 0
	ds_load_b32 v70, v70 offset:92
	s_wait_dscnt 0x0
	v_mul_f32_e32 v69, v69, v70
	scratch_store_b32 off, v69, off offset:92
.LBB38_598:
	s_wait_xcnt 0x0
	s_or_b32 exec_lo, exec_lo, s0
	scratch_load_b32 v69, off, off offset:96
	s_mov_b32 s0, exec_lo
	s_wait_loadcnt 0x0
	ds_store_b32 v1, v69
	s_wait_storecnt_dscnt 0x0
	s_barrier_signal -1
	s_barrier_wait -1
	s_wait_xcnt 0x0
	v_cmpx_gt_u32_e32 24, v0
	s_cbranch_execz .LBB38_608
; %bb.599:
	v_cmp_ne_u32_e32 vcc_lo, 1, v68
	s_cbranch_vccnz .LBB38_601
; %bb.600:
	scratch_load_b32 v69, v7, off
	ds_load_b32 v70, v1
	s_wait_loadcnt_dscnt 0x0
	v_mul_f32_e32 v69, v69, v70
	s_cbranch_execz .LBB38_602
	s_branch .LBB38_603
.LBB38_601:
                                        ; implicit-def: $vgpr69
.LBB38_602:
	ds_load_b32 v69, v1
.LBB38_603:
	s_mov_b32 s1, exec_lo
	v_cmpx_ne_u32_e32 23, v0
	s_cbranch_execz .LBB38_607
; %bb.604:
	v_add_nc_u32_e32 v70, 0xa4, v6
	v_add3_u32 v71, 0, v6, 4
	v_mov_b32_e32 v72, v0
	s_mov_b32 s2, 0
.LBB38_605:                             ; =>This Inner Loop Header: Depth=1
	scratch_load_b32 v73, v71, off
	ds_load_b32 v74, v70
	v_dual_add_nc_u32 v72, 1, v72 :: v_dual_add_nc_u32 v70, 4, v70
	s_wait_xcnt 0x0
	v_add_nc_u32_e32 v71, 4, v71
	s_delay_alu instid0(VALU_DEP_2)
	v_cmp_lt_u32_e32 vcc_lo, 22, v72
	s_or_b32 s2, vcc_lo, s2
	s_wait_loadcnt_dscnt 0x0
	v_fmac_f32_e32 v69, v73, v74
	s_and_not1_b32 exec_lo, exec_lo, s2
	s_cbranch_execnz .LBB38_605
; %bb.606:
	s_or_b32 exec_lo, exec_lo, s2
.LBB38_607:
	s_delay_alu instid0(SALU_CYCLE_1)
	s_or_b32 exec_lo, exec_lo, s1
	v_mov_b32_e32 v70, 0
	ds_load_b32 v70, v70 offset:96
	s_wait_dscnt 0x0
	v_mul_f32_e32 v69, v69, v70
	scratch_store_b32 off, v69, off offset:96
.LBB38_608:
	s_wait_xcnt 0x0
	s_or_b32 exec_lo, exec_lo, s0
	scratch_load_b32 v69, off, off offset:100
	s_mov_b32 s0, exec_lo
	s_wait_loadcnt 0x0
	ds_store_b32 v1, v69
	s_wait_storecnt_dscnt 0x0
	s_barrier_signal -1
	s_barrier_wait -1
	s_wait_xcnt 0x0
	v_cmpx_gt_u32_e32 25, v0
	s_cbranch_execz .LBB38_618
; %bb.609:
	v_cmp_ne_u32_e32 vcc_lo, 1, v68
	s_cbranch_vccnz .LBB38_611
; %bb.610:
	scratch_load_b32 v69, v7, off
	ds_load_b32 v70, v1
	s_wait_loadcnt_dscnt 0x0
	v_mul_f32_e32 v69, v69, v70
	s_cbranch_execz .LBB38_612
	s_branch .LBB38_613
.LBB38_611:
                                        ; implicit-def: $vgpr69
.LBB38_612:
	ds_load_b32 v69, v1
.LBB38_613:
	s_mov_b32 s1, exec_lo
	v_cmpx_ne_u32_e32 24, v0
	s_cbranch_execz .LBB38_617
; %bb.614:
	v_add_nc_u32_e32 v70, 0xa4, v6
	v_add3_u32 v71, 0, v6, 4
	v_mov_b32_e32 v72, v0
	s_mov_b32 s2, 0
.LBB38_615:                             ; =>This Inner Loop Header: Depth=1
	scratch_load_b32 v73, v71, off
	ds_load_b32 v74, v70
	v_dual_add_nc_u32 v72, 1, v72 :: v_dual_add_nc_u32 v70, 4, v70
	s_wait_xcnt 0x0
	v_add_nc_u32_e32 v71, 4, v71
	s_delay_alu instid0(VALU_DEP_2)
	v_cmp_lt_u32_e32 vcc_lo, 23, v72
	s_or_b32 s2, vcc_lo, s2
	s_wait_loadcnt_dscnt 0x0
	v_fmac_f32_e32 v69, v73, v74
	s_and_not1_b32 exec_lo, exec_lo, s2
	s_cbranch_execnz .LBB38_615
; %bb.616:
	s_or_b32 exec_lo, exec_lo, s2
.LBB38_617:
	s_delay_alu instid0(SALU_CYCLE_1)
	s_or_b32 exec_lo, exec_lo, s1
	v_mov_b32_e32 v70, 0
	ds_load_b32 v70, v70 offset:100
	s_wait_dscnt 0x0
	v_mul_f32_e32 v69, v69, v70
	scratch_store_b32 off, v69, off offset:100
.LBB38_618:
	s_wait_xcnt 0x0
	s_or_b32 exec_lo, exec_lo, s0
	scratch_load_b32 v69, off, off offset:104
	s_mov_b32 s0, exec_lo
	s_wait_loadcnt 0x0
	ds_store_b32 v1, v69
	s_wait_storecnt_dscnt 0x0
	s_barrier_signal -1
	s_barrier_wait -1
	s_wait_xcnt 0x0
	v_cmpx_gt_u32_e32 26, v0
	s_cbranch_execz .LBB38_628
; %bb.619:
	v_cmp_ne_u32_e32 vcc_lo, 1, v68
	s_cbranch_vccnz .LBB38_621
; %bb.620:
	scratch_load_b32 v69, v7, off
	ds_load_b32 v70, v1
	s_wait_loadcnt_dscnt 0x0
	v_mul_f32_e32 v69, v69, v70
	s_cbranch_execz .LBB38_622
	s_branch .LBB38_623
.LBB38_621:
                                        ; implicit-def: $vgpr69
.LBB38_622:
	ds_load_b32 v69, v1
.LBB38_623:
	s_mov_b32 s1, exec_lo
	v_cmpx_ne_u32_e32 25, v0
	s_cbranch_execz .LBB38_627
; %bb.624:
	v_add_nc_u32_e32 v70, 0xa4, v6
	v_add3_u32 v71, 0, v6, 4
	v_mov_b32_e32 v72, v0
	s_mov_b32 s2, 0
.LBB38_625:                             ; =>This Inner Loop Header: Depth=1
	scratch_load_b32 v73, v71, off
	ds_load_b32 v74, v70
	v_dual_add_nc_u32 v72, 1, v72 :: v_dual_add_nc_u32 v70, 4, v70
	s_wait_xcnt 0x0
	v_add_nc_u32_e32 v71, 4, v71
	s_delay_alu instid0(VALU_DEP_2)
	v_cmp_lt_u32_e32 vcc_lo, 24, v72
	s_or_b32 s2, vcc_lo, s2
	s_wait_loadcnt_dscnt 0x0
	v_fmac_f32_e32 v69, v73, v74
	s_and_not1_b32 exec_lo, exec_lo, s2
	s_cbranch_execnz .LBB38_625
; %bb.626:
	s_or_b32 exec_lo, exec_lo, s2
.LBB38_627:
	s_delay_alu instid0(SALU_CYCLE_1)
	s_or_b32 exec_lo, exec_lo, s1
	v_mov_b32_e32 v70, 0
	ds_load_b32 v70, v70 offset:104
	s_wait_dscnt 0x0
	v_mul_f32_e32 v69, v69, v70
	scratch_store_b32 off, v69, off offset:104
.LBB38_628:
	s_wait_xcnt 0x0
	s_or_b32 exec_lo, exec_lo, s0
	scratch_load_b32 v69, off, off offset:108
	s_mov_b32 s0, exec_lo
	s_wait_loadcnt 0x0
	ds_store_b32 v1, v69
	s_wait_storecnt_dscnt 0x0
	s_barrier_signal -1
	s_barrier_wait -1
	s_wait_xcnt 0x0
	v_cmpx_gt_u32_e32 27, v0
	s_cbranch_execz .LBB38_638
; %bb.629:
	v_cmp_ne_u32_e32 vcc_lo, 1, v68
	s_cbranch_vccnz .LBB38_631
; %bb.630:
	scratch_load_b32 v69, v7, off
	ds_load_b32 v70, v1
	s_wait_loadcnt_dscnt 0x0
	v_mul_f32_e32 v69, v69, v70
	s_cbranch_execz .LBB38_632
	s_branch .LBB38_633
.LBB38_631:
                                        ; implicit-def: $vgpr69
.LBB38_632:
	ds_load_b32 v69, v1
.LBB38_633:
	s_mov_b32 s1, exec_lo
	v_cmpx_ne_u32_e32 26, v0
	s_cbranch_execz .LBB38_637
; %bb.634:
	v_add_nc_u32_e32 v70, 0xa4, v6
	v_add3_u32 v71, 0, v6, 4
	v_mov_b32_e32 v72, v0
	s_mov_b32 s2, 0
.LBB38_635:                             ; =>This Inner Loop Header: Depth=1
	scratch_load_b32 v73, v71, off
	ds_load_b32 v74, v70
	v_dual_add_nc_u32 v72, 1, v72 :: v_dual_add_nc_u32 v70, 4, v70
	s_wait_xcnt 0x0
	v_add_nc_u32_e32 v71, 4, v71
	s_delay_alu instid0(VALU_DEP_2)
	v_cmp_lt_u32_e32 vcc_lo, 25, v72
	s_or_b32 s2, vcc_lo, s2
	s_wait_loadcnt_dscnt 0x0
	v_fmac_f32_e32 v69, v73, v74
	s_and_not1_b32 exec_lo, exec_lo, s2
	s_cbranch_execnz .LBB38_635
; %bb.636:
	s_or_b32 exec_lo, exec_lo, s2
.LBB38_637:
	s_delay_alu instid0(SALU_CYCLE_1)
	s_or_b32 exec_lo, exec_lo, s1
	v_mov_b32_e32 v70, 0
	ds_load_b32 v70, v70 offset:108
	s_wait_dscnt 0x0
	v_mul_f32_e32 v69, v69, v70
	scratch_store_b32 off, v69, off offset:108
.LBB38_638:
	s_wait_xcnt 0x0
	s_or_b32 exec_lo, exec_lo, s0
	scratch_load_b32 v69, off, off offset:112
	s_mov_b32 s0, exec_lo
	s_wait_loadcnt 0x0
	ds_store_b32 v1, v69
	s_wait_storecnt_dscnt 0x0
	s_barrier_signal -1
	s_barrier_wait -1
	s_wait_xcnt 0x0
	v_cmpx_gt_u32_e32 28, v0
	s_cbranch_execz .LBB38_648
; %bb.639:
	v_cmp_ne_u32_e32 vcc_lo, 1, v68
	s_cbranch_vccnz .LBB38_641
; %bb.640:
	scratch_load_b32 v69, v7, off
	ds_load_b32 v70, v1
	s_wait_loadcnt_dscnt 0x0
	v_mul_f32_e32 v69, v69, v70
	s_cbranch_execz .LBB38_642
	s_branch .LBB38_643
.LBB38_641:
                                        ; implicit-def: $vgpr69
.LBB38_642:
	ds_load_b32 v69, v1
.LBB38_643:
	s_mov_b32 s1, exec_lo
	v_cmpx_ne_u32_e32 27, v0
	s_cbranch_execz .LBB38_647
; %bb.644:
	v_add_nc_u32_e32 v70, 0xa4, v6
	v_add3_u32 v71, 0, v6, 4
	v_mov_b32_e32 v72, v0
	s_mov_b32 s2, 0
.LBB38_645:                             ; =>This Inner Loop Header: Depth=1
	scratch_load_b32 v73, v71, off
	ds_load_b32 v74, v70
	v_dual_add_nc_u32 v72, 1, v72 :: v_dual_add_nc_u32 v70, 4, v70
	s_wait_xcnt 0x0
	v_add_nc_u32_e32 v71, 4, v71
	s_delay_alu instid0(VALU_DEP_2)
	v_cmp_lt_u32_e32 vcc_lo, 26, v72
	s_or_b32 s2, vcc_lo, s2
	s_wait_loadcnt_dscnt 0x0
	v_fmac_f32_e32 v69, v73, v74
	s_and_not1_b32 exec_lo, exec_lo, s2
	s_cbranch_execnz .LBB38_645
; %bb.646:
	s_or_b32 exec_lo, exec_lo, s2
.LBB38_647:
	s_delay_alu instid0(SALU_CYCLE_1)
	s_or_b32 exec_lo, exec_lo, s1
	v_mov_b32_e32 v70, 0
	ds_load_b32 v70, v70 offset:112
	s_wait_dscnt 0x0
	v_mul_f32_e32 v69, v69, v70
	scratch_store_b32 off, v69, off offset:112
.LBB38_648:
	s_wait_xcnt 0x0
	s_or_b32 exec_lo, exec_lo, s0
	scratch_load_b32 v69, off, off offset:116
	s_mov_b32 s0, exec_lo
	s_wait_loadcnt 0x0
	ds_store_b32 v1, v69
	s_wait_storecnt_dscnt 0x0
	s_barrier_signal -1
	s_barrier_wait -1
	s_wait_xcnt 0x0
	v_cmpx_gt_u32_e32 29, v0
	s_cbranch_execz .LBB38_658
; %bb.649:
	v_cmp_ne_u32_e32 vcc_lo, 1, v68
	s_cbranch_vccnz .LBB38_651
; %bb.650:
	scratch_load_b32 v69, v7, off
	ds_load_b32 v70, v1
	s_wait_loadcnt_dscnt 0x0
	v_mul_f32_e32 v69, v69, v70
	s_cbranch_execz .LBB38_652
	s_branch .LBB38_653
.LBB38_651:
                                        ; implicit-def: $vgpr69
.LBB38_652:
	ds_load_b32 v69, v1
.LBB38_653:
	s_mov_b32 s1, exec_lo
	v_cmpx_ne_u32_e32 28, v0
	s_cbranch_execz .LBB38_657
; %bb.654:
	v_add_nc_u32_e32 v70, 0xa4, v6
	v_add3_u32 v71, 0, v6, 4
	v_mov_b32_e32 v72, v0
	s_mov_b32 s2, 0
.LBB38_655:                             ; =>This Inner Loop Header: Depth=1
	scratch_load_b32 v73, v71, off
	ds_load_b32 v74, v70
	v_dual_add_nc_u32 v72, 1, v72 :: v_dual_add_nc_u32 v70, 4, v70
	s_wait_xcnt 0x0
	v_add_nc_u32_e32 v71, 4, v71
	s_delay_alu instid0(VALU_DEP_2)
	v_cmp_lt_u32_e32 vcc_lo, 27, v72
	s_or_b32 s2, vcc_lo, s2
	s_wait_loadcnt_dscnt 0x0
	v_fmac_f32_e32 v69, v73, v74
	s_and_not1_b32 exec_lo, exec_lo, s2
	s_cbranch_execnz .LBB38_655
; %bb.656:
	s_or_b32 exec_lo, exec_lo, s2
.LBB38_657:
	s_delay_alu instid0(SALU_CYCLE_1)
	s_or_b32 exec_lo, exec_lo, s1
	v_mov_b32_e32 v70, 0
	ds_load_b32 v70, v70 offset:116
	s_wait_dscnt 0x0
	v_mul_f32_e32 v69, v69, v70
	scratch_store_b32 off, v69, off offset:116
.LBB38_658:
	s_wait_xcnt 0x0
	s_or_b32 exec_lo, exec_lo, s0
	scratch_load_b32 v69, off, off offset:120
	s_mov_b32 s0, exec_lo
	s_wait_loadcnt 0x0
	ds_store_b32 v1, v69
	s_wait_storecnt_dscnt 0x0
	s_barrier_signal -1
	s_barrier_wait -1
	s_wait_xcnt 0x0
	v_cmpx_gt_u32_e32 30, v0
	s_cbranch_execz .LBB38_668
; %bb.659:
	v_cmp_ne_u32_e32 vcc_lo, 1, v68
	s_cbranch_vccnz .LBB38_661
; %bb.660:
	scratch_load_b32 v69, v7, off
	ds_load_b32 v70, v1
	s_wait_loadcnt_dscnt 0x0
	v_mul_f32_e32 v69, v69, v70
	s_cbranch_execz .LBB38_662
	s_branch .LBB38_663
.LBB38_661:
                                        ; implicit-def: $vgpr69
.LBB38_662:
	ds_load_b32 v69, v1
.LBB38_663:
	s_mov_b32 s1, exec_lo
	v_cmpx_ne_u32_e32 29, v0
	s_cbranch_execz .LBB38_667
; %bb.664:
	v_add_nc_u32_e32 v70, 0xa4, v6
	v_add3_u32 v71, 0, v6, 4
	v_mov_b32_e32 v72, v0
	s_mov_b32 s2, 0
.LBB38_665:                             ; =>This Inner Loop Header: Depth=1
	scratch_load_b32 v73, v71, off
	ds_load_b32 v74, v70
	v_dual_add_nc_u32 v72, 1, v72 :: v_dual_add_nc_u32 v70, 4, v70
	s_wait_xcnt 0x0
	v_add_nc_u32_e32 v71, 4, v71
	s_delay_alu instid0(VALU_DEP_2)
	v_cmp_lt_u32_e32 vcc_lo, 28, v72
	s_or_b32 s2, vcc_lo, s2
	s_wait_loadcnt_dscnt 0x0
	v_fmac_f32_e32 v69, v73, v74
	s_and_not1_b32 exec_lo, exec_lo, s2
	s_cbranch_execnz .LBB38_665
; %bb.666:
	s_or_b32 exec_lo, exec_lo, s2
.LBB38_667:
	s_delay_alu instid0(SALU_CYCLE_1)
	s_or_b32 exec_lo, exec_lo, s1
	v_mov_b32_e32 v70, 0
	ds_load_b32 v70, v70 offset:120
	s_wait_dscnt 0x0
	v_mul_f32_e32 v69, v69, v70
	scratch_store_b32 off, v69, off offset:120
.LBB38_668:
	s_wait_xcnt 0x0
	s_or_b32 exec_lo, exec_lo, s0
	scratch_load_b32 v69, off, off offset:124
	s_mov_b32 s0, exec_lo
	s_wait_loadcnt 0x0
	ds_store_b32 v1, v69
	s_wait_storecnt_dscnt 0x0
	s_barrier_signal -1
	s_barrier_wait -1
	s_wait_xcnt 0x0
	v_cmpx_gt_u32_e32 31, v0
	s_cbranch_execz .LBB38_678
; %bb.669:
	v_cmp_ne_u32_e32 vcc_lo, 1, v68
	s_cbranch_vccnz .LBB38_671
; %bb.670:
	scratch_load_b32 v69, v7, off
	ds_load_b32 v70, v1
	s_wait_loadcnt_dscnt 0x0
	v_mul_f32_e32 v69, v69, v70
	s_cbranch_execz .LBB38_672
	s_branch .LBB38_673
.LBB38_671:
                                        ; implicit-def: $vgpr69
.LBB38_672:
	ds_load_b32 v69, v1
.LBB38_673:
	s_mov_b32 s1, exec_lo
	v_cmpx_ne_u32_e32 30, v0
	s_cbranch_execz .LBB38_677
; %bb.674:
	v_add_nc_u32_e32 v70, 0xa4, v6
	v_add3_u32 v71, 0, v6, 4
	v_mov_b32_e32 v72, v0
	s_mov_b32 s2, 0
.LBB38_675:                             ; =>This Inner Loop Header: Depth=1
	scratch_load_b32 v73, v71, off
	ds_load_b32 v74, v70
	v_dual_add_nc_u32 v72, 1, v72 :: v_dual_add_nc_u32 v70, 4, v70
	s_wait_xcnt 0x0
	v_add_nc_u32_e32 v71, 4, v71
	s_delay_alu instid0(VALU_DEP_2)
	v_cmp_lt_u32_e32 vcc_lo, 29, v72
	s_or_b32 s2, vcc_lo, s2
	s_wait_loadcnt_dscnt 0x0
	v_fmac_f32_e32 v69, v73, v74
	s_and_not1_b32 exec_lo, exec_lo, s2
	s_cbranch_execnz .LBB38_675
; %bb.676:
	s_or_b32 exec_lo, exec_lo, s2
.LBB38_677:
	s_delay_alu instid0(SALU_CYCLE_1)
	s_or_b32 exec_lo, exec_lo, s1
	v_mov_b32_e32 v70, 0
	ds_load_b32 v70, v70 offset:124
	s_wait_dscnt 0x0
	v_mul_f32_e32 v69, v69, v70
	scratch_store_b32 off, v69, off offset:124
.LBB38_678:
	s_wait_xcnt 0x0
	s_or_b32 exec_lo, exec_lo, s0
	scratch_load_b32 v69, off, off offset:128
	s_mov_b32 s0, exec_lo
	s_wait_loadcnt 0x0
	ds_store_b32 v1, v69
	s_wait_storecnt_dscnt 0x0
	s_barrier_signal -1
	s_barrier_wait -1
	s_wait_xcnt 0x0
	v_cmpx_gt_u32_e32 32, v0
	s_cbranch_execz .LBB38_688
; %bb.679:
	v_cmp_ne_u32_e32 vcc_lo, 1, v68
	s_cbranch_vccnz .LBB38_681
; %bb.680:
	scratch_load_b32 v69, v7, off
	ds_load_b32 v70, v1
	s_wait_loadcnt_dscnt 0x0
	v_mul_f32_e32 v69, v69, v70
	s_cbranch_execz .LBB38_682
	s_branch .LBB38_683
.LBB38_681:
                                        ; implicit-def: $vgpr69
.LBB38_682:
	ds_load_b32 v69, v1
.LBB38_683:
	s_mov_b32 s1, exec_lo
	v_cmpx_ne_u32_e32 31, v0
	s_cbranch_execz .LBB38_687
; %bb.684:
	v_add_nc_u32_e32 v70, 0xa4, v6
	v_add3_u32 v71, 0, v6, 4
	v_mov_b32_e32 v72, v0
	s_mov_b32 s2, 0
.LBB38_685:                             ; =>This Inner Loop Header: Depth=1
	scratch_load_b32 v73, v71, off
	ds_load_b32 v74, v70
	v_dual_add_nc_u32 v72, 1, v72 :: v_dual_add_nc_u32 v70, 4, v70
	s_wait_xcnt 0x0
	v_add_nc_u32_e32 v71, 4, v71
	s_delay_alu instid0(VALU_DEP_2)
	v_cmp_lt_u32_e32 vcc_lo, 30, v72
	s_or_b32 s2, vcc_lo, s2
	s_wait_loadcnt_dscnt 0x0
	v_fmac_f32_e32 v69, v73, v74
	s_and_not1_b32 exec_lo, exec_lo, s2
	s_cbranch_execnz .LBB38_685
; %bb.686:
	s_or_b32 exec_lo, exec_lo, s2
.LBB38_687:
	s_delay_alu instid0(SALU_CYCLE_1)
	s_or_b32 exec_lo, exec_lo, s1
	v_mov_b32_e32 v70, 0
	ds_load_b32 v70, v70 offset:128
	s_wait_dscnt 0x0
	v_mul_f32_e32 v69, v69, v70
	scratch_store_b32 off, v69, off offset:128
.LBB38_688:
	s_wait_xcnt 0x0
	s_or_b32 exec_lo, exec_lo, s0
	scratch_load_b32 v69, off, off offset:132
	s_mov_b32 s0, exec_lo
	s_wait_loadcnt 0x0
	ds_store_b32 v1, v69
	s_wait_storecnt_dscnt 0x0
	s_barrier_signal -1
	s_barrier_wait -1
	s_wait_xcnt 0x0
	v_cmpx_gt_u32_e32 33, v0
	s_cbranch_execz .LBB38_698
; %bb.689:
	v_cmp_ne_u32_e32 vcc_lo, 1, v68
	s_cbranch_vccnz .LBB38_691
; %bb.690:
	scratch_load_b32 v69, v7, off
	ds_load_b32 v70, v1
	s_wait_loadcnt_dscnt 0x0
	v_mul_f32_e32 v69, v69, v70
	s_cbranch_execz .LBB38_692
	s_branch .LBB38_693
.LBB38_691:
                                        ; implicit-def: $vgpr69
.LBB38_692:
	ds_load_b32 v69, v1
.LBB38_693:
	s_mov_b32 s1, exec_lo
	v_cmpx_ne_u32_e32 32, v0
	s_cbranch_execz .LBB38_697
; %bb.694:
	v_add_nc_u32_e32 v70, 0xa4, v6
	v_add3_u32 v71, 0, v6, 4
	v_mov_b32_e32 v72, v0
	s_mov_b32 s2, 0
.LBB38_695:                             ; =>This Inner Loop Header: Depth=1
	scratch_load_b32 v73, v71, off
	ds_load_b32 v74, v70
	v_dual_add_nc_u32 v72, 1, v72 :: v_dual_add_nc_u32 v70, 4, v70
	s_wait_xcnt 0x0
	v_add_nc_u32_e32 v71, 4, v71
	s_delay_alu instid0(VALU_DEP_2)
	v_cmp_lt_u32_e32 vcc_lo, 31, v72
	s_or_b32 s2, vcc_lo, s2
	s_wait_loadcnt_dscnt 0x0
	v_fmac_f32_e32 v69, v73, v74
	s_and_not1_b32 exec_lo, exec_lo, s2
	s_cbranch_execnz .LBB38_695
; %bb.696:
	s_or_b32 exec_lo, exec_lo, s2
.LBB38_697:
	s_delay_alu instid0(SALU_CYCLE_1)
	s_or_b32 exec_lo, exec_lo, s1
	v_mov_b32_e32 v70, 0
	ds_load_b32 v70, v70 offset:132
	s_wait_dscnt 0x0
	v_mul_f32_e32 v69, v69, v70
	scratch_store_b32 off, v69, off offset:132
.LBB38_698:
	s_wait_xcnt 0x0
	s_or_b32 exec_lo, exec_lo, s0
	scratch_load_b32 v69, off, off offset:136
	s_mov_b32 s0, exec_lo
	s_wait_loadcnt 0x0
	ds_store_b32 v1, v69
	s_wait_storecnt_dscnt 0x0
	s_barrier_signal -1
	s_barrier_wait -1
	s_wait_xcnt 0x0
	v_cmpx_gt_u32_e32 34, v0
	s_cbranch_execz .LBB38_708
; %bb.699:
	v_cmp_ne_u32_e32 vcc_lo, 1, v68
	s_cbranch_vccnz .LBB38_701
; %bb.700:
	scratch_load_b32 v69, v7, off
	ds_load_b32 v70, v1
	s_wait_loadcnt_dscnt 0x0
	v_mul_f32_e32 v69, v69, v70
	s_cbranch_execz .LBB38_702
	s_branch .LBB38_703
.LBB38_701:
                                        ; implicit-def: $vgpr69
.LBB38_702:
	ds_load_b32 v69, v1
.LBB38_703:
	s_mov_b32 s1, exec_lo
	v_cmpx_ne_u32_e32 33, v0
	s_cbranch_execz .LBB38_707
; %bb.704:
	v_add_nc_u32_e32 v70, 0xa4, v6
	v_add3_u32 v71, 0, v6, 4
	v_mov_b32_e32 v72, v0
	s_mov_b32 s2, 0
.LBB38_705:                             ; =>This Inner Loop Header: Depth=1
	scratch_load_b32 v73, v71, off
	ds_load_b32 v74, v70
	v_dual_add_nc_u32 v72, 1, v72 :: v_dual_add_nc_u32 v70, 4, v70
	s_wait_xcnt 0x0
	v_add_nc_u32_e32 v71, 4, v71
	s_delay_alu instid0(VALU_DEP_2)
	v_cmp_lt_u32_e32 vcc_lo, 32, v72
	s_or_b32 s2, vcc_lo, s2
	s_wait_loadcnt_dscnt 0x0
	v_fmac_f32_e32 v69, v73, v74
	s_and_not1_b32 exec_lo, exec_lo, s2
	s_cbranch_execnz .LBB38_705
; %bb.706:
	s_or_b32 exec_lo, exec_lo, s2
.LBB38_707:
	s_delay_alu instid0(SALU_CYCLE_1)
	s_or_b32 exec_lo, exec_lo, s1
	v_mov_b32_e32 v70, 0
	ds_load_b32 v70, v70 offset:136
	s_wait_dscnt 0x0
	v_mul_f32_e32 v69, v69, v70
	scratch_store_b32 off, v69, off offset:136
.LBB38_708:
	s_wait_xcnt 0x0
	s_or_b32 exec_lo, exec_lo, s0
	scratch_load_b32 v69, off, off offset:140
	s_mov_b32 s0, exec_lo
	s_wait_loadcnt 0x0
	ds_store_b32 v1, v69
	s_wait_storecnt_dscnt 0x0
	s_barrier_signal -1
	s_barrier_wait -1
	s_wait_xcnt 0x0
	v_cmpx_gt_u32_e32 35, v0
	s_cbranch_execz .LBB38_718
; %bb.709:
	v_cmp_ne_u32_e32 vcc_lo, 1, v68
	s_cbranch_vccnz .LBB38_711
; %bb.710:
	scratch_load_b32 v69, v7, off
	ds_load_b32 v70, v1
	s_wait_loadcnt_dscnt 0x0
	v_mul_f32_e32 v69, v69, v70
	s_cbranch_execz .LBB38_712
	s_branch .LBB38_713
.LBB38_711:
                                        ; implicit-def: $vgpr69
.LBB38_712:
	ds_load_b32 v69, v1
.LBB38_713:
	s_mov_b32 s1, exec_lo
	v_cmpx_ne_u32_e32 34, v0
	s_cbranch_execz .LBB38_717
; %bb.714:
	v_add_nc_u32_e32 v70, 0xa4, v6
	v_add3_u32 v71, 0, v6, 4
	v_mov_b32_e32 v72, v0
	s_mov_b32 s2, 0
.LBB38_715:                             ; =>This Inner Loop Header: Depth=1
	scratch_load_b32 v73, v71, off
	ds_load_b32 v74, v70
	v_dual_add_nc_u32 v72, 1, v72 :: v_dual_add_nc_u32 v70, 4, v70
	s_wait_xcnt 0x0
	v_add_nc_u32_e32 v71, 4, v71
	s_delay_alu instid0(VALU_DEP_2)
	v_cmp_lt_u32_e32 vcc_lo, 33, v72
	s_or_b32 s2, vcc_lo, s2
	s_wait_loadcnt_dscnt 0x0
	v_fmac_f32_e32 v69, v73, v74
	s_and_not1_b32 exec_lo, exec_lo, s2
	s_cbranch_execnz .LBB38_715
; %bb.716:
	s_or_b32 exec_lo, exec_lo, s2
.LBB38_717:
	s_delay_alu instid0(SALU_CYCLE_1)
	s_or_b32 exec_lo, exec_lo, s1
	v_mov_b32_e32 v70, 0
	ds_load_b32 v70, v70 offset:140
	s_wait_dscnt 0x0
	v_mul_f32_e32 v69, v69, v70
	scratch_store_b32 off, v69, off offset:140
.LBB38_718:
	s_wait_xcnt 0x0
	s_or_b32 exec_lo, exec_lo, s0
	scratch_load_b32 v69, off, off offset:144
	s_mov_b32 s0, exec_lo
	s_wait_loadcnt 0x0
	ds_store_b32 v1, v69
	s_wait_storecnt_dscnt 0x0
	s_barrier_signal -1
	s_barrier_wait -1
	s_wait_xcnt 0x0
	v_cmpx_gt_u32_e32 36, v0
	s_cbranch_execz .LBB38_728
; %bb.719:
	v_cmp_ne_u32_e32 vcc_lo, 1, v68
	s_cbranch_vccnz .LBB38_721
; %bb.720:
	scratch_load_b32 v69, v7, off
	ds_load_b32 v70, v1
	s_wait_loadcnt_dscnt 0x0
	v_mul_f32_e32 v69, v69, v70
	s_cbranch_execz .LBB38_722
	s_branch .LBB38_723
.LBB38_721:
                                        ; implicit-def: $vgpr69
.LBB38_722:
	ds_load_b32 v69, v1
.LBB38_723:
	s_mov_b32 s1, exec_lo
	v_cmpx_ne_u32_e32 35, v0
	s_cbranch_execz .LBB38_727
; %bb.724:
	v_add_nc_u32_e32 v70, 0xa4, v6
	v_add3_u32 v71, 0, v6, 4
	v_mov_b32_e32 v72, v0
	s_mov_b32 s2, 0
.LBB38_725:                             ; =>This Inner Loop Header: Depth=1
	scratch_load_b32 v73, v71, off
	ds_load_b32 v74, v70
	v_dual_add_nc_u32 v72, 1, v72 :: v_dual_add_nc_u32 v70, 4, v70
	s_wait_xcnt 0x0
	v_add_nc_u32_e32 v71, 4, v71
	s_delay_alu instid0(VALU_DEP_2)
	v_cmp_lt_u32_e32 vcc_lo, 34, v72
	s_or_b32 s2, vcc_lo, s2
	s_wait_loadcnt_dscnt 0x0
	v_fmac_f32_e32 v69, v73, v74
	s_and_not1_b32 exec_lo, exec_lo, s2
	s_cbranch_execnz .LBB38_725
; %bb.726:
	s_or_b32 exec_lo, exec_lo, s2
.LBB38_727:
	s_delay_alu instid0(SALU_CYCLE_1)
	s_or_b32 exec_lo, exec_lo, s1
	v_mov_b32_e32 v70, 0
	ds_load_b32 v70, v70 offset:144
	s_wait_dscnt 0x0
	v_mul_f32_e32 v69, v69, v70
	scratch_store_b32 off, v69, off offset:144
.LBB38_728:
	s_wait_xcnt 0x0
	s_or_b32 exec_lo, exec_lo, s0
	scratch_load_b32 v69, off, off offset:148
	v_cmp_gt_u32_e64 s0, 37, v0
	s_wait_loadcnt 0x0
	ds_store_b32 v1, v69
	s_wait_storecnt_dscnt 0x0
	s_barrier_signal -1
	s_barrier_wait -1
	s_wait_xcnt 0x0
	s_and_saveexec_b32 s1, s0
	s_cbranch_execz .LBB38_738
; %bb.729:
	v_cmp_ne_u32_e32 vcc_lo, 1, v68
	s_cbranch_vccnz .LBB38_731
; %bb.730:
	scratch_load_b32 v69, v7, off
	ds_load_b32 v70, v1
	s_wait_loadcnt_dscnt 0x0
	v_mul_f32_e32 v69, v69, v70
	s_cbranch_execz .LBB38_732
	s_branch .LBB38_733
.LBB38_731:
                                        ; implicit-def: $vgpr69
.LBB38_732:
	ds_load_b32 v69, v1
.LBB38_733:
	s_mov_b32 s2, exec_lo
	v_cmpx_ne_u32_e32 36, v0
	s_cbranch_execz .LBB38_737
; %bb.734:
	v_add_nc_u32_e32 v70, 0xa4, v6
	v_add3_u32 v71, 0, v6, 4
	v_mov_b32_e32 v72, v0
	s_mov_b32 s3, 0
.LBB38_735:                             ; =>This Inner Loop Header: Depth=1
	scratch_load_b32 v73, v71, off
	ds_load_b32 v74, v70
	v_dual_add_nc_u32 v72, 1, v72 :: v_dual_add_nc_u32 v70, 4, v70
	s_wait_xcnt 0x0
	v_add_nc_u32_e32 v71, 4, v71
	s_delay_alu instid0(VALU_DEP_2)
	v_cmp_lt_u32_e32 vcc_lo, 35, v72
	s_or_b32 s3, vcc_lo, s3
	s_wait_loadcnt_dscnt 0x0
	v_fmac_f32_e32 v69, v73, v74
	s_and_not1_b32 exec_lo, exec_lo, s3
	s_cbranch_execnz .LBB38_735
; %bb.736:
	s_or_b32 exec_lo, exec_lo, s3
.LBB38_737:
	s_delay_alu instid0(SALU_CYCLE_1)
	s_or_b32 exec_lo, exec_lo, s2
	v_mov_b32_e32 v70, 0
	ds_load_b32 v70, v70 offset:148
	s_wait_dscnt 0x0
	v_mul_f32_e32 v69, v69, v70
	scratch_store_b32 off, v69, off offset:148
.LBB38_738:
	s_wait_xcnt 0x0
	s_or_b32 exec_lo, exec_lo, s1
	scratch_load_b32 v69, off, off offset:152
	s_mov_b32 s1, exec_lo
	s_wait_loadcnt 0x0
	ds_store_b32 v1, v69
	s_wait_storecnt_dscnt 0x0
	s_barrier_signal -1
	s_barrier_wait -1
	s_wait_xcnt 0x0
	v_cmpx_ne_u32_e32 38, v0
	s_cbranch_execz .LBB38_748
; %bb.739:
	v_cmp_ne_u32_e32 vcc_lo, 1, v68
	s_cbranch_vccnz .LBB38_741
; %bb.740:
	scratch_load_b32 v7, v7, off
	ds_load_b32 v68, v1
	s_wait_loadcnt_dscnt 0x0
	v_mul_f32_e32 v7, v7, v68
	s_cbranch_execz .LBB38_742
	s_branch .LBB38_743
.LBB38_741:
                                        ; implicit-def: $vgpr7
.LBB38_742:
	ds_load_b32 v7, v1
.LBB38_743:
	s_and_saveexec_b32 s2, s0
	s_cbranch_execz .LBB38_747
; %bb.744:
	v_add_nc_u32_e32 v1, 0xa4, v6
	v_add3_u32 v6, 0, v6, 4
	s_mov_b32 s0, 0
.LBB38_745:                             ; =>This Inner Loop Header: Depth=1
	scratch_load_b32 v68, v6, off
	ds_load_b32 v69, v1
	v_dual_add_nc_u32 v0, 1, v0 :: v_dual_add_nc_u32 v1, 4, v1
	s_wait_xcnt 0x0
	v_add_nc_u32_e32 v6, 4, v6
	s_delay_alu instid0(VALU_DEP_2)
	v_cmp_lt_u32_e32 vcc_lo, 36, v0
	s_or_b32 s0, vcc_lo, s0
	s_wait_loadcnt_dscnt 0x0
	v_fmac_f32_e32 v7, v68, v69
	s_and_not1_b32 exec_lo, exec_lo, s0
	s_cbranch_execnz .LBB38_745
; %bb.746:
	s_or_b32 exec_lo, exec_lo, s0
.LBB38_747:
	s_delay_alu instid0(SALU_CYCLE_1)
	s_or_b32 exec_lo, exec_lo, s2
	v_mov_b32_e32 v0, 0
	ds_load_b32 v0, v0 offset:152
	s_wait_dscnt 0x0
	v_mul_f32_e32 v0, v7, v0
	scratch_store_b32 off, v0, off offset:152
.LBB38_748:
	s_wait_xcnt 0x0
	s_or_b32 exec_lo, exec_lo, s1
.LBB38_749:
	s_clause 0x2
	scratch_load_b128 v[68:71], off, off
	scratch_load_b128 v[72:75], off, off offset:16
	scratch_load_b128 v[76:79], off, off offset:32
	s_wait_loadcnt 0x2
	global_store_b32 v[2:3], v68, off
	scratch_load_b128 v[0:3], off, off offset:48
	s_clause 0x1
	global_store_b32 v[4:5], v69, off
	global_store_b32 v[94:95], v70, off
	scratch_load_b128 v[4:7], off, off offset:64
	global_store_b32 v[92:93], v71, off
	scratch_load_b128 v[68:71], off, off offset:80
	s_wait_loadcnt 0x4
	global_store_b32 v[90:91], v72, off
	scratch_load_b128 v[90:93], off, off offset:96
	s_clause 0x1
	global_store_b32 v[86:87], v73, off
	global_store_b32 v[88:89], v74, off
	scratch_load_b128 v[86:89], off, off offset:112
	global_store_b32 v[84:85], v75, off
	scratch_load_b128 v[72:75], off, off offset:128
	s_wait_loadcnt 0x6
	global_store_b32 v[82:83], v76, off
	scratch_load_b96 v[80:82], off, off offset:144
	s_clause 0x2
	global_store_b32 v[8:9], v77, off
	global_store_b32 v[10:11], v78, off
	global_store_b32 v[12:13], v79, off
	s_wait_loadcnt 0x6
	s_clause 0x3
	global_store_b32 v[14:15], v0, off
	global_store_b32 v[16:17], v1, off
	global_store_b32 v[18:19], v2, off
	global_store_b32 v[20:21], v3, off
	s_wait_loadcnt 0x5
	s_clause 0x3
	global_store_b32 v[22:23], v4, off
	;; [unrolled: 6-line block ×7, first 2 shown]
	global_store_b32 v[64:65], v81, off
	global_store_b32 v[66:67], v82, off
.LBB38_750:
	s_sendmsg sendmsg(MSG_DEALLOC_VGPRS)
	s_endpgm
	.section	.rodata,"a",@progbits
	.p2align	6, 0x0
	.amdhsa_kernel _ZN9rocsolver6v33100L18trti2_kernel_smallILi39EfPfEEv13rocblas_fill_17rocblas_diagonal_T1_iil
		.amdhsa_group_segment_fixed_size 316
		.amdhsa_private_segment_fixed_size 160
		.amdhsa_kernarg_size 32
		.amdhsa_user_sgpr_count 2
		.amdhsa_user_sgpr_dispatch_ptr 0
		.amdhsa_user_sgpr_queue_ptr 0
		.amdhsa_user_sgpr_kernarg_segment_ptr 1
		.amdhsa_user_sgpr_dispatch_id 0
		.amdhsa_user_sgpr_kernarg_preload_length 0
		.amdhsa_user_sgpr_kernarg_preload_offset 0
		.amdhsa_user_sgpr_private_segment_size 0
		.amdhsa_wavefront_size32 1
		.amdhsa_uses_dynamic_stack 0
		.amdhsa_enable_private_segment 1
		.amdhsa_system_sgpr_workgroup_id_x 1
		.amdhsa_system_sgpr_workgroup_id_y 0
		.amdhsa_system_sgpr_workgroup_id_z 0
		.amdhsa_system_sgpr_workgroup_info 0
		.amdhsa_system_vgpr_workitem_id 0
		.amdhsa_next_free_vgpr 96
		.amdhsa_next_free_sgpr 17
		.amdhsa_named_barrier_count 0
		.amdhsa_reserve_vcc 1
		.amdhsa_float_round_mode_32 0
		.amdhsa_float_round_mode_16_64 0
		.amdhsa_float_denorm_mode_32 3
		.amdhsa_float_denorm_mode_16_64 3
		.amdhsa_fp16_overflow 0
		.amdhsa_memory_ordered 1
		.amdhsa_forward_progress 1
		.amdhsa_inst_pref_size 169
		.amdhsa_round_robin_scheduling 0
		.amdhsa_exception_fp_ieee_invalid_op 0
		.amdhsa_exception_fp_denorm_src 0
		.amdhsa_exception_fp_ieee_div_zero 0
		.amdhsa_exception_fp_ieee_overflow 0
		.amdhsa_exception_fp_ieee_underflow 0
		.amdhsa_exception_fp_ieee_inexact 0
		.amdhsa_exception_int_div_zero 0
	.end_amdhsa_kernel
	.section	.text._ZN9rocsolver6v33100L18trti2_kernel_smallILi39EfPfEEv13rocblas_fill_17rocblas_diagonal_T1_iil,"axG",@progbits,_ZN9rocsolver6v33100L18trti2_kernel_smallILi39EfPfEEv13rocblas_fill_17rocblas_diagonal_T1_iil,comdat
.Lfunc_end38:
	.size	_ZN9rocsolver6v33100L18trti2_kernel_smallILi39EfPfEEv13rocblas_fill_17rocblas_diagonal_T1_iil, .Lfunc_end38-_ZN9rocsolver6v33100L18trti2_kernel_smallILi39EfPfEEv13rocblas_fill_17rocblas_diagonal_T1_iil
                                        ; -- End function
	.set _ZN9rocsolver6v33100L18trti2_kernel_smallILi39EfPfEEv13rocblas_fill_17rocblas_diagonal_T1_iil.num_vgpr, 96
	.set _ZN9rocsolver6v33100L18trti2_kernel_smallILi39EfPfEEv13rocblas_fill_17rocblas_diagonal_T1_iil.num_agpr, 0
	.set _ZN9rocsolver6v33100L18trti2_kernel_smallILi39EfPfEEv13rocblas_fill_17rocblas_diagonal_T1_iil.numbered_sgpr, 17
	.set _ZN9rocsolver6v33100L18trti2_kernel_smallILi39EfPfEEv13rocblas_fill_17rocblas_diagonal_T1_iil.num_named_barrier, 0
	.set _ZN9rocsolver6v33100L18trti2_kernel_smallILi39EfPfEEv13rocblas_fill_17rocblas_diagonal_T1_iil.private_seg_size, 160
	.set _ZN9rocsolver6v33100L18trti2_kernel_smallILi39EfPfEEv13rocblas_fill_17rocblas_diagonal_T1_iil.uses_vcc, 1
	.set _ZN9rocsolver6v33100L18trti2_kernel_smallILi39EfPfEEv13rocblas_fill_17rocblas_diagonal_T1_iil.uses_flat_scratch, 1
	.set _ZN9rocsolver6v33100L18trti2_kernel_smallILi39EfPfEEv13rocblas_fill_17rocblas_diagonal_T1_iil.has_dyn_sized_stack, 0
	.set _ZN9rocsolver6v33100L18trti2_kernel_smallILi39EfPfEEv13rocblas_fill_17rocblas_diagonal_T1_iil.has_recursion, 0
	.set _ZN9rocsolver6v33100L18trti2_kernel_smallILi39EfPfEEv13rocblas_fill_17rocblas_diagonal_T1_iil.has_indirect_call, 0
	.section	.AMDGPU.csdata,"",@progbits
; Kernel info:
; codeLenInByte = 21524
; TotalNumSgprs: 19
; NumVgprs: 96
; ScratchSize: 160
; MemoryBound: 0
; FloatMode: 240
; IeeeMode: 1
; LDSByteSize: 316 bytes/workgroup (compile time only)
; SGPRBlocks: 0
; VGPRBlocks: 5
; NumSGPRsForWavesPerEU: 19
; NumVGPRsForWavesPerEU: 96
; NamedBarCnt: 0
; Occupancy: 10
; WaveLimiterHint : 0
; COMPUTE_PGM_RSRC2:SCRATCH_EN: 1
; COMPUTE_PGM_RSRC2:USER_SGPR: 2
; COMPUTE_PGM_RSRC2:TRAP_HANDLER: 0
; COMPUTE_PGM_RSRC2:TGID_X_EN: 1
; COMPUTE_PGM_RSRC2:TGID_Y_EN: 0
; COMPUTE_PGM_RSRC2:TGID_Z_EN: 0
; COMPUTE_PGM_RSRC2:TIDIG_COMP_CNT: 0
	.section	.text._ZN9rocsolver6v33100L18trti2_kernel_smallILi40EfPfEEv13rocblas_fill_17rocblas_diagonal_T1_iil,"axG",@progbits,_ZN9rocsolver6v33100L18trti2_kernel_smallILi40EfPfEEv13rocblas_fill_17rocblas_diagonal_T1_iil,comdat
	.globl	_ZN9rocsolver6v33100L18trti2_kernel_smallILi40EfPfEEv13rocblas_fill_17rocblas_diagonal_T1_iil ; -- Begin function _ZN9rocsolver6v33100L18trti2_kernel_smallILi40EfPfEEv13rocblas_fill_17rocblas_diagonal_T1_iil
	.p2align	8
	.type	_ZN9rocsolver6v33100L18trti2_kernel_smallILi40EfPfEEv13rocblas_fill_17rocblas_diagonal_T1_iil,@function
_ZN9rocsolver6v33100L18trti2_kernel_smallILi40EfPfEEv13rocblas_fill_17rocblas_diagonal_T1_iil: ; @_ZN9rocsolver6v33100L18trti2_kernel_smallILi40EfPfEEv13rocblas_fill_17rocblas_diagonal_T1_iil
; %bb.0:
	s_mov_b32 s2, exec_lo
	v_cmpx_gt_u32_e32 40, v0
	s_cbranch_execz .LBB39_770
; %bb.1:
	s_load_b256 s[4:11], s[0:1], 0x0
	s_wait_xcnt 0x0
	s_bfe_u32 s0, ttmp6, 0x4000c
	s_and_b32 s1, ttmp6, 15
	s_add_co_i32 s0, s0, 1
	s_getreg_b32 s2, hwreg(HW_REG_IB_STS2, 6, 4)
	s_mul_i32 s0, ttmp9, s0
	v_dual_mov_b32 v7, 0 :: v_dual_lshlrev_b32 v6, 2, v0
	s_add_co_i32 s0, s1, s0
	s_wait_kmcnt 0x0
	v_add3_u32 v8, s9, s9, v0
	s_ashr_i32 s1, s8, 31
	s_cmp_eq_u32 s2, 0
	s_cselect_b32 s2, ttmp9, s0
	s_delay_alu instid0(VALU_DEP_1)
	v_add_nc_u32_e32 v10, s9, v8
	s_ashr_i32 s3, s2, 31
	s_mov_b32 s0, s8
	s_mul_u64 s[2:3], s[10:11], s[2:3]
	s_lshl_b64 s[0:1], s[0:1], 2
	v_add_nc_u32_e32 v12, s9, v10
	s_lshl_b64 s[2:3], s[2:3], 2
	s_delay_alu instid0(SALU_CYCLE_1) | instskip(NEXT) | instid1(SALU_CYCLE_1)
	s_add_nc_u64 s[2:3], s[6:7], s[2:3]
	s_add_nc_u64 s[6:7], s[2:3], s[0:1]
	s_delay_alu instid0(VALU_DEP_1)
	v_add_nc_u32_e32 v14, s9, v12
	v_add_nc_u64_e32 v[2:3], s[6:7], v[6:7]
	s_mov_b32 s0, s9
	s_ashr_i32 s1, s9, 31
	s_cmp_lg_u32 s5, 0x84
	v_add_nc_u32_e32 v16, s9, v14
	s_cselect_b32 s3, -1, 0
	s_cmp_eq_u32 s5, 0x84
	v_lshl_add_u64 v[4:5], s[0:1], 2, v[2:3]
	s_delay_alu instid0(VALU_DEP_2) | instskip(NEXT) | instid1(VALU_DEP_1)
	v_dual_ashrrev_i32 v11, 31, v10 :: v_dual_add_nc_u32 v18, s9, v16
	v_dual_ashrrev_i32 v13, 31, v12 :: v_dual_ashrrev_i32 v19, 31, v18
	v_add_nc_u32_e32 v20, s9, v18
	s_clause 0x7
	global_load_b32 v68, v0, s[6:7] scale_offset
	global_load_b32 v70, v8, s[6:7] scale_offset
	;; [unrolled: 1-line block ×7, first 2 shown]
	global_load_b32 v69, v[4:5], off
	v_dual_ashrrev_i32 v9, 31, v8 :: v_dual_ashrrev_i32 v15, 31, v14
	v_add_nc_u32_e32 v22, s9, v20
	s_delay_alu instid0(VALU_DEP_1) | instskip(NEXT) | instid1(VALU_DEP_1)
	v_add_nc_u32_e32 v24, s9, v22
	v_add_nc_u32_e32 v26, s9, v24
	s_delay_alu instid0(VALU_DEP_1) | instskip(NEXT) | instid1(VALU_DEP_1)
	v_dual_add_nc_u32 v28, s9, v26 :: v_dual_ashrrev_i32 v17, 31, v16
	v_dual_ashrrev_i32 v23, 31, v22 :: v_dual_add_nc_u32 v30, s9, v28
	s_delay_alu instid0(VALU_DEP_1)
	v_dual_ashrrev_i32 v25, 31, v24 :: v_dual_ashrrev_i32 v31, 31, v30
	v_add_nc_u32_e32 v32, s9, v30
	s_clause 0x3
	global_load_b32 v76, v20, s[6:7] scale_offset
	global_load_b32 v77, v22, s[6:7] scale_offset
	;; [unrolled: 1-line block ×4, first 2 shown]
	v_dual_ashrrev_i32 v21, 31, v20 :: v_dual_ashrrev_i32 v27, 31, v26
	v_add_nc_u32_e32 v34, s9, v32
	s_delay_alu instid0(VALU_DEP_1) | instskip(NEXT) | instid1(VALU_DEP_1)
	v_add_nc_u32_e32 v36, s9, v34
	v_add_nc_u32_e32 v38, s9, v36
	s_delay_alu instid0(VALU_DEP_1)
	v_add_nc_u32_e32 v40, s9, v38
	s_clause 0x3
	global_load_b32 v80, v28, s[6:7] scale_offset
	global_load_b32 v81, v30, s[6:7] scale_offset
	;; [unrolled: 1-line block ×4, first 2 shown]
	v_dual_ashrrev_i32 v29, 31, v28 :: v_dual_ashrrev_i32 v35, 31, v34
	v_add_nc_u32_e32 v42, s9, v40
	s_delay_alu instid0(VALU_DEP_1)
	v_dual_ashrrev_i32 v37, 31, v36 :: v_dual_ashrrev_i32 v43, 31, v42
	v_add_nc_u32_e32 v44, s9, v42
	s_clause 0x3
	global_load_b32 v84, v36, s[6:7] scale_offset
	global_load_b32 v85, v38, s[6:7] scale_offset
	;; [unrolled: 1-line block ×4, first 2 shown]
	v_dual_ashrrev_i32 v33, 31, v32 :: v_dual_ashrrev_i32 v39, 31, v38
	v_add_nc_u32_e32 v46, s9, v44
	s_delay_alu instid0(VALU_DEP_1) | instskip(NEXT) | instid1(VALU_DEP_1)
	v_add_nc_u32_e32 v48, s9, v46
	v_add_nc_u32_e32 v50, s9, v48
	s_delay_alu instid0(VALU_DEP_1) | instskip(NEXT) | instid1(VALU_DEP_1)
	v_dual_add_nc_u32 v52, s9, v50 :: v_dual_ashrrev_i32 v41, 31, v40
	v_dual_ashrrev_i32 v47, 31, v46 :: v_dual_add_nc_u32 v54, s9, v52
	s_delay_alu instid0(VALU_DEP_1)
	v_dual_ashrrev_i32 v49, 31, v48 :: v_dual_ashrrev_i32 v55, 31, v54
	v_add_nc_u32_e32 v56, s9, v54
	s_clause 0x3
	global_load_b32 v88, v44, s[6:7] scale_offset
	global_load_b32 v89, v46, s[6:7] scale_offset
	;; [unrolled: 1-line block ×4, first 2 shown]
	s_wait_loadcnt 0x10
	s_clause 0x1
	scratch_store_b128 off, v[68:71], off
	scratch_store_b128 off, v[72:75], off offset:16
	v_add_nc_u32_e32 v58, s9, v56
	v_dual_ashrrev_i32 v45, 31, v44 :: v_dual_ashrrev_i32 v51, 31, v50
	s_delay_alu instid0(VALU_DEP_2) | instskip(NEXT) | instid1(VALU_DEP_1)
	v_add_nc_u32_e32 v60, s9, v58
	v_add_nc_u32_e32 v62, s9, v60
	s_delay_alu instid0(VALU_DEP_1) | instskip(NEXT) | instid1(VALU_DEP_1)
	v_dual_add_nc_u32 v64, s9, v62 :: v_dual_ashrrev_i32 v53, 31, v52
	v_dual_ashrrev_i32 v59, 31, v58 :: v_dual_add_nc_u32 v66, s9, v64
	s_delay_alu instid0(VALU_DEP_1)
	v_dual_ashrrev_i32 v61, 31, v60 :: v_dual_ashrrev_i32 v67, 31, v66
	s_wait_xcnt 0x1
	v_add_nc_u32_e32 v68, s9, v66
	s_clause 0x7
	global_load_b32 v92, v52, s[6:7] scale_offset
	global_load_b32 v93, v54, s[6:7] scale_offset
	;; [unrolled: 1-line block ×8, first 2 shown]
	v_dual_ashrrev_i32 v57, 31, v56 :: v_dual_ashrrev_i32 v63, 31, v62
	s_wait_loadcnt 0x14
	scratch_store_b128 off, v[76:79], off offset:32
	v_add_nc_u32_e32 v70, s9, v68
	s_wait_xcnt 0x9
	s_delay_alu instid0(VALU_DEP_1) | instskip(NEXT) | instid1(VALU_DEP_1)
	v_add_nc_u32_e32 v72, s9, v70
	v_add_nc_u32_e32 v74, s9, v72
	s_wait_xcnt 0x0
	s_delay_alu instid0(VALU_DEP_1) | instskip(SKIP_4) | instid1(VALU_DEP_1)
	v_dual_add_nc_u32 v76, s9, v74 :: v_dual_ashrrev_i32 v65, 31, v64
	v_ashrrev_i32_e32 v71, 31, v70
	s_wait_loadcnt 0x10
	scratch_store_b128 off, v[80:83], off offset:48
	v_add_nc_u32_e32 v78, s9, v76
	v_dual_ashrrev_i32 v73, 31, v72 :: v_dual_ashrrev_i32 v79, 31, v78
	s_wait_xcnt 0x0
	v_dual_add_nc_u32 v80, s9, v78 :: v_dual_ashrrev_i32 v69, 31, v68
	v_ashrrev_i32_e32 v75, 31, v74
	s_wait_loadcnt 0xc
	scratch_store_b128 off, v[84:87], off offset:64
	v_add_nc_u32_e32 v82, s9, v80
	v_ashrrev_i32_e32 v77, 31, v76
	s_wait_xcnt 0x0
	v_dual_mov_b32 v84, -1.0 :: v_dual_ashrrev_i32 v81, 31, v80
	s_delay_alu instid0(VALU_DEP_3)
	v_ashrrev_i32_e32 v83, 31, v82
	s_wait_loadcnt 0x8
	scratch_store_b128 off, v[88:91], off offset:80
	s_wait_loadcnt 0x4
	scratch_store_b128 off, v[92:95], off offset:96
	;; [unrolled: 2-line block ×3, first 2 shown]
	s_clause 0x7
	global_load_b32 v86, v68, s[6:7] scale_offset
	global_load_b32 v87, v70, s[6:7] scale_offset
	;; [unrolled: 1-line block ×8, first 2 shown]
	s_wait_loadcnt 0x4
	scratch_store_b128 off, v[86:89], off offset:128
	s_wait_loadcnt 0x0
	scratch_store_b128 off, v[90:93], off offset:144
	s_cbranch_scc1 .LBB39_3
; %bb.2:
	scratch_load_b32 v1, v0, off scale_offset
	s_wait_loadcnt 0x0
	v_div_scale_f32 v7, null, v1, v1, 1.0
	s_delay_alu instid0(VALU_DEP_1) | instskip(SKIP_1) | instid1(TRANS32_DEP_1)
	v_rcp_f32_e32 v84, v7
	v_nop
	v_fma_f32 v85, -v7, v84, 1.0
	s_delay_alu instid0(VALU_DEP_1) | instskip(SKIP_2) | instid1(VALU_DEP_1)
	v_fmac_f32_e32 v84, v85, v84
	v_div_scale_f32 v85, vcc_lo, 1.0, v1, 1.0
	s_wait_xcnt 0x2
	v_mul_f32_e32 v86, v85, v84
	s_delay_alu instid0(VALU_DEP_1) | instskip(NEXT) | instid1(VALU_DEP_1)
	v_fma_f32 v87, -v7, v86, v85
	v_fmac_f32_e32 v86, v87, v84
	s_delay_alu instid0(VALU_DEP_1) | instskip(NEXT) | instid1(VALU_DEP_1)
	v_fma_f32 v7, -v7, v86, v85
	v_div_fmas_f32 v7, v7, v84, v86
	s_delay_alu instid0(VALU_DEP_1) | instskip(NEXT) | instid1(VALU_DEP_1)
	v_div_fixup_f32 v1, v7, v1, 1.0
	v_xor_b32_e32 v84, 0x80000000, v1
	scratch_store_b32 v0, v1, off scale_offset
.LBB39_3:
	s_wait_xcnt 0x0
	v_add_nc_u32_e32 v1, 0xa0, v6
	v_mov_b32_e32 v7, v6
	s_cmp_eq_u32 s4, 0x79
	s_mov_b32 s1, -1
	ds_store_b32 v6, v84
	s_cbranch_scc1 .LBB39_387
; %bb.4:
	scratch_load_b32 v84, off, off offset:152
	v_cmp_eq_u32_e64 s0, 39, v0
	s_movk_i32 s1, 0x50
	s_movk_i32 s10, 0x60
	;; [unrolled: 1-line block ×5, first 2 shown]
	s_wait_loadcnt 0x0
	ds_store_b32 v1, v84
	s_wait_storecnt_dscnt 0x0
	s_barrier_signal -1
	s_barrier_wait -1
	s_wait_xcnt 0x0
	s_and_saveexec_b32 s2, s0
	s_cbranch_execz .LBB39_10
; %bb.5:
	s_and_b32 vcc_lo, exec_lo, s3
	s_cbranch_vccz .LBB39_7
; %bb.6:
	scratch_load_b32 v84, v7, off
	ds_load_b32 v85, v1
	s_wait_loadcnt_dscnt 0x0
	v_mul_f32_e32 v84, v84, v85
	s_cbranch_execz .LBB39_8
	s_branch .LBB39_9
.LBB39_7:
                                        ; implicit-def: $vgpr84
.LBB39_8:
	ds_load_b32 v84, v1
.LBB39_9:
	v_mov_b32_e32 v85, 0
	ds_load_b32 v85, v85 offset:152
	s_wait_dscnt 0x0
	v_mul_f32_e32 v84, v84, v85
	scratch_store_b32 off, v84, off offset:152
.LBB39_10:
	s_wait_xcnt 0x0
	s_or_b32 exec_lo, exec_lo, s2
	scratch_load_b32 v84, off, off offset:148
	s_mov_b32 s9, s1
	v_cmp_lt_u32_e64 s1, 37, v0
	s_mov_b32 s4, 16
	s_mov_b32 s2, 32
	;; [unrolled: 1-line block ×4, first 2 shown]
	s_wait_loadcnt 0x0
	ds_store_b32 v1, v84
	s_wait_storecnt_dscnt 0x0
	s_barrier_signal -1
	s_barrier_wait -1
	s_wait_xcnt 0x0
	s_and_saveexec_b32 s14, s1
	s_cbranch_execz .LBB39_16
; %bb.11:
	s_and_not1_b32 vcc_lo, exec_lo, s3
	s_cbranch_vccnz .LBB39_13
; %bb.12:
	scratch_load_b32 v84, v7, off
	ds_load_b32 v85, v1
	s_wait_loadcnt_dscnt 0x0
	v_mul_f32_e32 v84, v84, v85
	s_cbranch_execz .LBB39_14
	s_branch .LBB39_15
.LBB39_13:
                                        ; implicit-def: $vgpr84
.LBB39_14:
	ds_load_b32 v84, v1
.LBB39_15:
	scratch_load_b32 v85, off, off offset:152
	v_mov_b32_e32 v86, 0
	ds_load_2addr_b32 v[86:87], v86 offset0:37 offset1:78
	s_wait_loadcnt_dscnt 0x0
	v_fma_f32 v85, v85, v87, v84
	s_delay_alu instid0(VALU_DEP_1) | instskip(NEXT) | instid1(VALU_DEP_1)
	v_cndmask_b32_e64 v84, v84, v85, s0
	v_mul_f32_e32 v84, v84, v86
	scratch_store_b32 off, v84, off offset:148
.LBB39_16:
	s_wait_xcnt 0x0
	s_or_b32 exec_lo, exec_lo, s14
	scratch_load_b32 v84, off, off offset:144
	v_cmp_lt_u32_e64 s0, 36, v0
	s_wait_loadcnt 0x0
	ds_store_b32 v1, v84
	s_wait_storecnt_dscnt 0x0
	s_barrier_signal -1
	s_barrier_wait -1
	s_wait_xcnt 0x0
	s_and_saveexec_b32 s14, s0
	s_cbranch_execz .LBB39_26
; %bb.17:
	s_and_not1_b32 vcc_lo, exec_lo, s3
	s_cbranch_vccnz .LBB39_19
; %bb.18:
	scratch_load_b32 v84, v7, off
	ds_load_b32 v85, v1
	s_wait_loadcnt_dscnt 0x0
	v_mul_f32_e32 v84, v84, v85
	s_cbranch_execz .LBB39_20
	s_branch .LBB39_21
.LBB39_19:
                                        ; implicit-def: $vgpr84
.LBB39_20:
	ds_load_b32 v84, v1
.LBB39_21:
	s_and_saveexec_b32 s15, s1
	s_cbranch_execz .LBB39_25
; %bb.22:
	v_subrev_nc_u32_e32 v85, 37, v0
	s_movk_i32 s1, 0x94
	s_movk_i32 s17, 0x134
	s_mov_b32 s16, 0
.LBB39_23:                              ; =>This Inner Loop Header: Depth=1
	scratch_load_b32 v86, off, s1
	v_dual_mov_b32 v87, s17 :: v_dual_add_nc_u32 v85, -1, v85
	s_add_co_i32 s17, s17, 4
	s_wait_xcnt 0x0
	s_add_co_i32 s1, s1, 4
	ds_load_b32 v87, v87
	v_cmp_eq_u32_e32 vcc_lo, 0, v85
	s_or_b32 s16, vcc_lo, s16
	s_wait_loadcnt_dscnt 0x0
	v_fmac_f32_e32 v84, v86, v87
	s_and_not1_b32 exec_lo, exec_lo, s16
	s_cbranch_execnz .LBB39_23
; %bb.24:
	s_or_b32 exec_lo, exec_lo, s16
.LBB39_25:
	s_delay_alu instid0(SALU_CYCLE_1)
	s_or_b32 exec_lo, exec_lo, s15
	v_mov_b32_e32 v85, 0
	ds_load_b32 v85, v85 offset:144
	s_wait_dscnt 0x0
	v_mul_f32_e32 v84, v84, v85
	scratch_store_b32 off, v84, off offset:144
.LBB39_26:
	s_wait_xcnt 0x0
	s_or_b32 exec_lo, exec_lo, s14
	scratch_load_b32 v84, off, off offset:140
	v_cmp_lt_u32_e64 s1, 35, v0
	s_wait_loadcnt 0x0
	ds_store_b32 v1, v84
	s_wait_storecnt_dscnt 0x0
	s_barrier_signal -1
	s_barrier_wait -1
	s_wait_xcnt 0x0
	s_and_saveexec_b32 s14, s1
	s_cbranch_execz .LBB39_36
; %bb.27:
	s_and_not1_b32 vcc_lo, exec_lo, s3
	s_cbranch_vccnz .LBB39_29
; %bb.28:
	scratch_load_b32 v84, v7, off
	ds_load_b32 v85, v1
	s_wait_loadcnt_dscnt 0x0
	v_mul_f32_e32 v84, v84, v85
	s_cbranch_execz .LBB39_30
	s_branch .LBB39_31
.LBB39_29:
                                        ; implicit-def: $vgpr84
.LBB39_30:
	ds_load_b32 v84, v1
.LBB39_31:
	s_and_saveexec_b32 s15, s0
	s_cbranch_execz .LBB39_35
; %bb.32:
	v_subrev_nc_u32_e32 v85, 36, v0
	s_movk_i32 s16, 0x130
	s_mov_b32 s0, 0
.LBB39_33:                              ; =>This Inner Loop Header: Depth=1
	scratch_load_b32 v86, off, s13
	v_dual_mov_b32 v87, s16 :: v_dual_add_nc_u32 v85, -1, v85
	s_add_co_i32 s16, s16, 4
	s_wait_xcnt 0x0
	s_add_co_i32 s13, s13, 4
	ds_load_b32 v87, v87
	v_cmp_eq_u32_e32 vcc_lo, 0, v85
	s_or_b32 s0, vcc_lo, s0
	s_wait_loadcnt_dscnt 0x0
	v_fmac_f32_e32 v84, v86, v87
	s_and_not1_b32 exec_lo, exec_lo, s0
	s_cbranch_execnz .LBB39_33
; %bb.34:
	s_or_b32 exec_lo, exec_lo, s0
.LBB39_35:
	s_delay_alu instid0(SALU_CYCLE_1)
	s_or_b32 exec_lo, exec_lo, s15
	v_mov_b32_e32 v85, 0
	ds_load_b32 v85, v85 offset:140
	s_wait_dscnt 0x0
	v_mul_f32_e32 v84, v84, v85
	scratch_store_b32 off, v84, off offset:140
.LBB39_36:
	s_wait_xcnt 0x0
	s_or_b32 exec_lo, exec_lo, s14
	scratch_load_b32 v84, off, off offset:136
	v_cmp_lt_u32_e64 s0, 34, v0
	s_wait_loadcnt 0x0
	ds_store_b32 v1, v84
	s_wait_storecnt_dscnt 0x0
	s_barrier_signal -1
	s_barrier_wait -1
	s_wait_xcnt 0x0
	s_and_saveexec_b32 s13, s0
	s_cbranch_execz .LBB39_46
; %bb.37:
	s_and_not1_b32 vcc_lo, exec_lo, s3
	s_cbranch_vccnz .LBB39_39
; %bb.38:
	scratch_load_b32 v84, v7, off
	ds_load_b32 v85, v1
	s_wait_loadcnt_dscnt 0x0
	v_mul_f32_e32 v84, v84, v85
	s_cbranch_execz .LBB39_40
	s_branch .LBB39_41
.LBB39_39:
                                        ; implicit-def: $vgpr84
.LBB39_40:
	ds_load_b32 v84, v1
.LBB39_41:
	s_and_saveexec_b32 s14, s1
	s_cbranch_execz .LBB39_45
; %bb.42:
	v_subrev_nc_u32_e32 v85, 35, v0
	s_movk_i32 s1, 0x8c
	s_movk_i32 s16, 0x12c
	s_mov_b32 s15, 0
.LBB39_43:                              ; =>This Inner Loop Header: Depth=1
	scratch_load_b32 v86, off, s1
	v_dual_mov_b32 v87, s16 :: v_dual_add_nc_u32 v85, -1, v85
	s_add_co_i32 s16, s16, 4
	s_wait_xcnt 0x0
	s_add_co_i32 s1, s1, 4
	ds_load_b32 v87, v87
	v_cmp_eq_u32_e32 vcc_lo, 0, v85
	s_or_b32 s15, vcc_lo, s15
	s_wait_loadcnt_dscnt 0x0
	v_fmac_f32_e32 v84, v86, v87
	s_and_not1_b32 exec_lo, exec_lo, s15
	s_cbranch_execnz .LBB39_43
; %bb.44:
	s_or_b32 exec_lo, exec_lo, s15
.LBB39_45:
	s_delay_alu instid0(SALU_CYCLE_1)
	s_or_b32 exec_lo, exec_lo, s14
	v_mov_b32_e32 v85, 0
	ds_load_b32 v85, v85 offset:136
	s_wait_dscnt 0x0
	v_mul_f32_e32 v84, v84, v85
	scratch_store_b32 off, v84, off offset:136
.LBB39_46:
	s_wait_xcnt 0x0
	s_or_b32 exec_lo, exec_lo, s13
	scratch_load_b32 v84, off, off offset:132
	v_cmp_lt_u32_e64 s1, 33, v0
	s_wait_loadcnt 0x0
	ds_store_b32 v1, v84
	s_wait_storecnt_dscnt 0x0
	s_barrier_signal -1
	s_barrier_wait -1
	s_wait_xcnt 0x0
	s_and_saveexec_b32 s13, s1
	s_cbranch_execz .LBB39_56
; %bb.47:
	s_and_not1_b32 vcc_lo, exec_lo, s3
	s_cbranch_vccnz .LBB39_49
; %bb.48:
	scratch_load_b32 v84, v7, off
	ds_load_b32 v85, v1
	s_wait_loadcnt_dscnt 0x0
	v_mul_f32_e32 v84, v84, v85
	s_cbranch_execz .LBB39_50
	s_branch .LBB39_51
.LBB39_49:
                                        ; implicit-def: $vgpr84
.LBB39_50:
	ds_load_b32 v84, v1
.LBB39_51:
	s_and_saveexec_b32 s14, s0
	s_cbranch_execz .LBB39_55
; %bb.52:
	v_subrev_nc_u32_e32 v85, 34, v0
	s_movk_i32 s0, 0x88
	s_movk_i32 s16, 0x128
	s_mov_b32 s15, 0
.LBB39_53:                              ; =>This Inner Loop Header: Depth=1
	scratch_load_b32 v86, off, s0
	v_dual_mov_b32 v87, s16 :: v_dual_add_nc_u32 v85, -1, v85
	s_add_co_i32 s16, s16, 4
	s_wait_xcnt 0x0
	s_add_co_i32 s0, s0, 4
	ds_load_b32 v87, v87
	v_cmp_eq_u32_e32 vcc_lo, 0, v85
	s_or_b32 s15, vcc_lo, s15
	s_wait_loadcnt_dscnt 0x0
	v_fmac_f32_e32 v84, v86, v87
	s_and_not1_b32 exec_lo, exec_lo, s15
	s_cbranch_execnz .LBB39_53
; %bb.54:
	s_or_b32 exec_lo, exec_lo, s15
.LBB39_55:
	s_delay_alu instid0(SALU_CYCLE_1)
	s_or_b32 exec_lo, exec_lo, s14
	v_mov_b32_e32 v85, 0
	ds_load_b32 v85, v85 offset:132
	s_wait_dscnt 0x0
	v_mul_f32_e32 v84, v84, v85
	scratch_store_b32 off, v84, off offset:132
.LBB39_56:
	;; [unrolled: 58-line block ×3, first 2 shown]
	s_wait_xcnt 0x0
	s_or_b32 exec_lo, exec_lo, s13
	scratch_load_b32 v84, off, off offset:124
	v_cmp_lt_u32_e64 s1, 31, v0
	s_wait_loadcnt 0x0
	ds_store_b32 v1, v84
	s_wait_storecnt_dscnt 0x0
	s_barrier_signal -1
	s_barrier_wait -1
	s_wait_xcnt 0x0
	s_and_saveexec_b32 s13, s1
	s_cbranch_execz .LBB39_76
; %bb.67:
	s_and_not1_b32 vcc_lo, exec_lo, s3
	s_cbranch_vccnz .LBB39_69
; %bb.68:
	scratch_load_b32 v84, v7, off
	ds_load_b32 v85, v1
	s_wait_loadcnt_dscnt 0x0
	v_mul_f32_e32 v84, v84, v85
	s_cbranch_execz .LBB39_70
	s_branch .LBB39_71
.LBB39_69:
                                        ; implicit-def: $vgpr84
.LBB39_70:
	ds_load_b32 v84, v1
.LBB39_71:
	s_and_saveexec_b32 s14, s0
	s_cbranch_execz .LBB39_75
; %bb.72:
	v_subrev_nc_u32_e32 v85, 32, v0
	s_movk_i32 s15, 0x120
	s_mov_b32 s0, 0
.LBB39_73:                              ; =>This Inner Loop Header: Depth=1
	scratch_load_b32 v86, off, s12
	v_dual_mov_b32 v87, s15 :: v_dual_add_nc_u32 v85, -1, v85
	s_add_co_i32 s15, s15, 4
	s_wait_xcnt 0x0
	s_add_co_i32 s12, s12, 4
	ds_load_b32 v87, v87
	v_cmp_eq_u32_e32 vcc_lo, 0, v85
	s_or_b32 s0, vcc_lo, s0
	s_wait_loadcnt_dscnt 0x0
	v_fmac_f32_e32 v84, v86, v87
	s_and_not1_b32 exec_lo, exec_lo, s0
	s_cbranch_execnz .LBB39_73
; %bb.74:
	s_or_b32 exec_lo, exec_lo, s0
.LBB39_75:
	s_delay_alu instid0(SALU_CYCLE_1)
	s_or_b32 exec_lo, exec_lo, s14
	v_mov_b32_e32 v85, 0
	ds_load_b32 v85, v85 offset:124
	s_wait_dscnt 0x0
	v_mul_f32_e32 v84, v84, v85
	scratch_store_b32 off, v84, off offset:124
.LBB39_76:
	s_wait_xcnt 0x0
	s_or_b32 exec_lo, exec_lo, s13
	scratch_load_b32 v84, off, off offset:120
	v_cmp_lt_u32_e64 s0, 30, v0
	s_wait_loadcnt 0x0
	ds_store_b32 v1, v84
	s_wait_storecnt_dscnt 0x0
	s_barrier_signal -1
	s_barrier_wait -1
	s_wait_xcnt 0x0
	s_and_saveexec_b32 s12, s0
	s_cbranch_execz .LBB39_86
; %bb.77:
	s_and_not1_b32 vcc_lo, exec_lo, s3
	s_cbranch_vccnz .LBB39_79
; %bb.78:
	scratch_load_b32 v84, v7, off
	ds_load_b32 v85, v1
	s_wait_loadcnt_dscnt 0x0
	v_mul_f32_e32 v84, v84, v85
	s_cbranch_execz .LBB39_80
	s_branch .LBB39_81
.LBB39_79:
                                        ; implicit-def: $vgpr84
.LBB39_80:
	ds_load_b32 v84, v1
.LBB39_81:
	s_and_saveexec_b32 s13, s1
	s_cbranch_execz .LBB39_85
; %bb.82:
	v_subrev_nc_u32_e32 v85, 31, v0
	s_movk_i32 s1, 0x7c
	s_movk_i32 s15, 0x11c
	s_mov_b32 s14, 0
.LBB39_83:                              ; =>This Inner Loop Header: Depth=1
	scratch_load_b32 v86, off, s1
	v_dual_mov_b32 v87, s15 :: v_dual_add_nc_u32 v85, -1, v85
	s_add_co_i32 s15, s15, 4
	s_wait_xcnt 0x0
	s_add_co_i32 s1, s1, 4
	ds_load_b32 v87, v87
	v_cmp_eq_u32_e32 vcc_lo, 0, v85
	s_or_b32 s14, vcc_lo, s14
	s_wait_loadcnt_dscnt 0x0
	v_fmac_f32_e32 v84, v86, v87
	s_and_not1_b32 exec_lo, exec_lo, s14
	s_cbranch_execnz .LBB39_83
; %bb.84:
	s_or_b32 exec_lo, exec_lo, s14
.LBB39_85:
	s_delay_alu instid0(SALU_CYCLE_1)
	s_or_b32 exec_lo, exec_lo, s13
	v_mov_b32_e32 v85, 0
	ds_load_b32 v85, v85 offset:120
	s_wait_dscnt 0x0
	v_mul_f32_e32 v84, v84, v85
	scratch_store_b32 off, v84, off offset:120
.LBB39_86:
	s_wait_xcnt 0x0
	s_or_b32 exec_lo, exec_lo, s12
	scratch_load_b32 v84, off, off offset:116
	v_cmp_lt_u32_e64 s1, 29, v0
	s_wait_loadcnt 0x0
	ds_store_b32 v1, v84
	s_wait_storecnt_dscnt 0x0
	s_barrier_signal -1
	s_barrier_wait -1
	s_wait_xcnt 0x0
	s_and_saveexec_b32 s12, s1
	s_cbranch_execz .LBB39_96
; %bb.87:
	s_and_not1_b32 vcc_lo, exec_lo, s3
	s_cbranch_vccnz .LBB39_89
; %bb.88:
	scratch_load_b32 v84, v7, off
	ds_load_b32 v85, v1
	s_wait_loadcnt_dscnt 0x0
	v_mul_f32_e32 v84, v84, v85
	s_cbranch_execz .LBB39_90
	s_branch .LBB39_91
.LBB39_89:
                                        ; implicit-def: $vgpr84
.LBB39_90:
	ds_load_b32 v84, v1
.LBB39_91:
	s_and_saveexec_b32 s13, s0
	s_cbranch_execz .LBB39_95
; %bb.92:
	v_subrev_nc_u32_e32 v85, 30, v0
	s_movk_i32 s0, 0x78
	s_movk_i32 s15, 0x118
	s_mov_b32 s14, 0
.LBB39_93:                              ; =>This Inner Loop Header: Depth=1
	scratch_load_b32 v86, off, s0
	v_dual_mov_b32 v87, s15 :: v_dual_add_nc_u32 v85, -1, v85
	s_add_co_i32 s15, s15, 4
	s_wait_xcnt 0x0
	s_add_co_i32 s0, s0, 4
	ds_load_b32 v87, v87
	v_cmp_eq_u32_e32 vcc_lo, 0, v85
	s_or_b32 s14, vcc_lo, s14
	s_wait_loadcnt_dscnt 0x0
	v_fmac_f32_e32 v84, v86, v87
	s_and_not1_b32 exec_lo, exec_lo, s14
	s_cbranch_execnz .LBB39_93
; %bb.94:
	s_or_b32 exec_lo, exec_lo, s14
.LBB39_95:
	s_delay_alu instid0(SALU_CYCLE_1)
	s_or_b32 exec_lo, exec_lo, s13
	v_mov_b32_e32 v85, 0
	ds_load_b32 v85, v85 offset:116
	s_wait_dscnt 0x0
	v_mul_f32_e32 v84, v84, v85
	scratch_store_b32 off, v84, off offset:116
.LBB39_96:
	s_wait_xcnt 0x0
	s_or_b32 exec_lo, exec_lo, s12
	scratch_load_b32 v84, off, off offset:112
	v_cmp_lt_u32_e64 s0, 28, v0
	s_wait_loadcnt 0x0
	ds_store_b32 v1, v84
	s_wait_storecnt_dscnt 0x0
	s_barrier_signal -1
	s_barrier_wait -1
	s_wait_xcnt 0x0
	s_and_saveexec_b32 s12, s0
	s_cbranch_execz .LBB39_106
; %bb.97:
	s_and_not1_b32 vcc_lo, exec_lo, s3
	s_cbranch_vccnz .LBB39_99
; %bb.98:
	scratch_load_b32 v84, v7, off
	ds_load_b32 v85, v1
	s_wait_loadcnt_dscnt 0x0
	v_mul_f32_e32 v84, v84, v85
	s_cbranch_execz .LBB39_100
	s_branch .LBB39_101
.LBB39_99:
                                        ; implicit-def: $vgpr84
.LBB39_100:
	ds_load_b32 v84, v1
.LBB39_101:
	s_and_saveexec_b32 s13, s1
	s_cbranch_execz .LBB39_105
; %bb.102:
	v_subrev_nc_u32_e32 v85, 29, v0
	s_movk_i32 s1, 0x74
	s_movk_i32 s15, 0x114
	s_mov_b32 s14, 0
.LBB39_103:                             ; =>This Inner Loop Header: Depth=1
	scratch_load_b32 v86, off, s1
	v_dual_mov_b32 v87, s15 :: v_dual_add_nc_u32 v85, -1, v85
	s_add_co_i32 s15, s15, 4
	s_wait_xcnt 0x0
	s_add_co_i32 s1, s1, 4
	ds_load_b32 v87, v87
	v_cmp_eq_u32_e32 vcc_lo, 0, v85
	s_or_b32 s14, vcc_lo, s14
	s_wait_loadcnt_dscnt 0x0
	v_fmac_f32_e32 v84, v86, v87
	s_and_not1_b32 exec_lo, exec_lo, s14
	s_cbranch_execnz .LBB39_103
; %bb.104:
	s_or_b32 exec_lo, exec_lo, s14
.LBB39_105:
	s_delay_alu instid0(SALU_CYCLE_1)
	s_or_b32 exec_lo, exec_lo, s13
	v_mov_b32_e32 v85, 0
	ds_load_b32 v85, v85 offset:112
	s_wait_dscnt 0x0
	v_mul_f32_e32 v84, v84, v85
	scratch_store_b32 off, v84, off offset:112
.LBB39_106:
	s_wait_xcnt 0x0
	s_or_b32 exec_lo, exec_lo, s12
	scratch_load_b32 v84, off, off offset:108
	v_cmp_lt_u32_e64 s1, 27, v0
	s_wait_loadcnt 0x0
	ds_store_b32 v1, v84
	s_wait_storecnt_dscnt 0x0
	s_barrier_signal -1
	s_barrier_wait -1
	s_wait_xcnt 0x0
	s_and_saveexec_b32 s12, s1
	s_cbranch_execz .LBB39_116
; %bb.107:
	s_and_not1_b32 vcc_lo, exec_lo, s3
	s_cbranch_vccnz .LBB39_109
; %bb.108:
	scratch_load_b32 v84, v7, off
	ds_load_b32 v85, v1
	s_wait_loadcnt_dscnt 0x0
	v_mul_f32_e32 v84, v84, v85
	s_cbranch_execz .LBB39_110
	s_branch .LBB39_111
.LBB39_109:
                                        ; implicit-def: $vgpr84
.LBB39_110:
	ds_load_b32 v84, v1
.LBB39_111:
	s_and_saveexec_b32 s13, s0
	s_cbranch_execz .LBB39_115
; %bb.112:
	v_subrev_nc_u32_e32 v85, 28, v0
	s_movk_i32 s14, 0x110
	s_mov_b32 s0, 0
.LBB39_113:                             ; =>This Inner Loop Header: Depth=1
	scratch_load_b32 v86, off, s11
	v_dual_mov_b32 v87, s14 :: v_dual_add_nc_u32 v85, -1, v85
	s_add_co_i32 s14, s14, 4
	s_wait_xcnt 0x0
	s_add_co_i32 s11, s11, 4
	ds_load_b32 v87, v87
	v_cmp_eq_u32_e32 vcc_lo, 0, v85
	s_or_b32 s0, vcc_lo, s0
	s_wait_loadcnt_dscnt 0x0
	v_fmac_f32_e32 v84, v86, v87
	s_and_not1_b32 exec_lo, exec_lo, s0
	s_cbranch_execnz .LBB39_113
; %bb.114:
	s_or_b32 exec_lo, exec_lo, s0
.LBB39_115:
	s_delay_alu instid0(SALU_CYCLE_1)
	s_or_b32 exec_lo, exec_lo, s13
	v_mov_b32_e32 v85, 0
	ds_load_b32 v85, v85 offset:108
	s_wait_dscnt 0x0
	v_mul_f32_e32 v84, v84, v85
	scratch_store_b32 off, v84, off offset:108
.LBB39_116:
	s_wait_xcnt 0x0
	s_or_b32 exec_lo, exec_lo, s12
	scratch_load_b32 v84, off, off offset:104
	v_cmp_lt_u32_e64 s0, 26, v0
	s_wait_loadcnt 0x0
	ds_store_b32 v1, v84
	s_wait_storecnt_dscnt 0x0
	s_barrier_signal -1
	s_barrier_wait -1
	s_wait_xcnt 0x0
	s_and_saveexec_b32 s11, s0
	s_cbranch_execz .LBB39_126
; %bb.117:
	s_and_not1_b32 vcc_lo, exec_lo, s3
	s_cbranch_vccnz .LBB39_119
; %bb.118:
	scratch_load_b32 v84, v7, off
	ds_load_b32 v85, v1
	s_wait_loadcnt_dscnt 0x0
	v_mul_f32_e32 v84, v84, v85
	s_cbranch_execz .LBB39_120
	s_branch .LBB39_121
.LBB39_119:
                                        ; implicit-def: $vgpr84
.LBB39_120:
	ds_load_b32 v84, v1
.LBB39_121:
	s_and_saveexec_b32 s12, s1
	s_cbranch_execz .LBB39_125
; %bb.122:
	v_subrev_nc_u32_e32 v85, 27, v0
	s_movk_i32 s1, 0x6c
	s_movk_i32 s14, 0x10c
	s_mov_b32 s13, 0
.LBB39_123:                             ; =>This Inner Loop Header: Depth=1
	scratch_load_b32 v86, off, s1
	v_dual_mov_b32 v87, s14 :: v_dual_add_nc_u32 v85, -1, v85
	s_add_co_i32 s14, s14, 4
	s_wait_xcnt 0x0
	s_add_co_i32 s1, s1, 4
	ds_load_b32 v87, v87
	v_cmp_eq_u32_e32 vcc_lo, 0, v85
	s_or_b32 s13, vcc_lo, s13
	s_wait_loadcnt_dscnt 0x0
	v_fmac_f32_e32 v84, v86, v87
	s_and_not1_b32 exec_lo, exec_lo, s13
	s_cbranch_execnz .LBB39_123
; %bb.124:
	s_or_b32 exec_lo, exec_lo, s13
.LBB39_125:
	s_delay_alu instid0(SALU_CYCLE_1)
	s_or_b32 exec_lo, exec_lo, s12
	v_mov_b32_e32 v85, 0
	ds_load_b32 v85, v85 offset:104
	s_wait_dscnt 0x0
	v_mul_f32_e32 v84, v84, v85
	scratch_store_b32 off, v84, off offset:104
.LBB39_126:
	s_wait_xcnt 0x0
	s_or_b32 exec_lo, exec_lo, s11
	scratch_load_b32 v84, off, off offset:100
	v_cmp_lt_u32_e64 s1, 25, v0
	s_wait_loadcnt 0x0
	ds_store_b32 v1, v84
	s_wait_storecnt_dscnt 0x0
	s_barrier_signal -1
	s_barrier_wait -1
	s_wait_xcnt 0x0
	s_and_saveexec_b32 s11, s1
	s_cbranch_execz .LBB39_136
; %bb.127:
	s_and_not1_b32 vcc_lo, exec_lo, s3
	s_cbranch_vccnz .LBB39_129
; %bb.128:
	scratch_load_b32 v84, v7, off
	ds_load_b32 v85, v1
	s_wait_loadcnt_dscnt 0x0
	v_mul_f32_e32 v84, v84, v85
	s_cbranch_execz .LBB39_130
	s_branch .LBB39_131
.LBB39_129:
                                        ; implicit-def: $vgpr84
.LBB39_130:
	ds_load_b32 v84, v1
.LBB39_131:
	s_and_saveexec_b32 s12, s0
	s_cbranch_execz .LBB39_135
; %bb.132:
	v_subrev_nc_u32_e32 v85, 26, v0
	s_movk_i32 s0, 0x68
	s_movk_i32 s14, 0x108
	s_mov_b32 s13, 0
.LBB39_133:                             ; =>This Inner Loop Header: Depth=1
	scratch_load_b32 v86, off, s0
	v_dual_mov_b32 v87, s14 :: v_dual_add_nc_u32 v85, -1, v85
	s_add_co_i32 s14, s14, 4
	s_wait_xcnt 0x0
	s_add_co_i32 s0, s0, 4
	ds_load_b32 v87, v87
	v_cmp_eq_u32_e32 vcc_lo, 0, v85
	s_or_b32 s13, vcc_lo, s13
	s_wait_loadcnt_dscnt 0x0
	v_fmac_f32_e32 v84, v86, v87
	s_and_not1_b32 exec_lo, exec_lo, s13
	s_cbranch_execnz .LBB39_133
; %bb.134:
	s_or_b32 exec_lo, exec_lo, s13
.LBB39_135:
	s_delay_alu instid0(SALU_CYCLE_1)
	s_or_b32 exec_lo, exec_lo, s12
	v_mov_b32_e32 v85, 0
	ds_load_b32 v85, v85 offset:100
	s_wait_dscnt 0x0
	v_mul_f32_e32 v84, v84, v85
	scratch_store_b32 off, v84, off offset:100
.LBB39_136:
	;; [unrolled: 58-line block ×3, first 2 shown]
	s_wait_xcnt 0x0
	s_or_b32 exec_lo, exec_lo, s11
	scratch_load_b32 v84, off, off offset:92
	v_cmp_lt_u32_e64 s1, 23, v0
	s_wait_loadcnt 0x0
	ds_store_b32 v1, v84
	s_wait_storecnt_dscnt 0x0
	s_barrier_signal -1
	s_barrier_wait -1
	s_wait_xcnt 0x0
	s_and_saveexec_b32 s11, s1
	s_cbranch_execz .LBB39_156
; %bb.147:
	s_and_not1_b32 vcc_lo, exec_lo, s3
	s_cbranch_vccnz .LBB39_149
; %bb.148:
	scratch_load_b32 v84, v7, off
	ds_load_b32 v85, v1
	s_wait_loadcnt_dscnt 0x0
	v_mul_f32_e32 v84, v84, v85
	s_cbranch_execz .LBB39_150
	s_branch .LBB39_151
.LBB39_149:
                                        ; implicit-def: $vgpr84
.LBB39_150:
	ds_load_b32 v84, v1
.LBB39_151:
	s_and_saveexec_b32 s12, s0
	s_cbranch_execz .LBB39_155
; %bb.152:
	v_subrev_nc_u32_e32 v85, 24, v0
	s_movk_i32 s13, 0x100
	s_mov_b32 s0, 0
.LBB39_153:                             ; =>This Inner Loop Header: Depth=1
	scratch_load_b32 v86, off, s10
	v_dual_mov_b32 v87, s13 :: v_dual_add_nc_u32 v85, -1, v85
	s_add_co_i32 s13, s13, 4
	s_wait_xcnt 0x0
	s_add_co_i32 s10, s10, 4
	ds_load_b32 v87, v87
	v_cmp_eq_u32_e32 vcc_lo, 0, v85
	s_or_b32 s0, vcc_lo, s0
	s_wait_loadcnt_dscnt 0x0
	v_fmac_f32_e32 v84, v86, v87
	s_and_not1_b32 exec_lo, exec_lo, s0
	s_cbranch_execnz .LBB39_153
; %bb.154:
	s_or_b32 exec_lo, exec_lo, s0
.LBB39_155:
	s_delay_alu instid0(SALU_CYCLE_1)
	s_or_b32 exec_lo, exec_lo, s12
	v_mov_b32_e32 v85, 0
	ds_load_b32 v85, v85 offset:92
	s_wait_dscnt 0x0
	v_mul_f32_e32 v84, v84, v85
	scratch_store_b32 off, v84, off offset:92
.LBB39_156:
	s_wait_xcnt 0x0
	s_or_b32 exec_lo, exec_lo, s11
	scratch_load_b32 v84, off, off offset:88
	v_cmp_lt_u32_e64 s0, 22, v0
	s_wait_loadcnt 0x0
	ds_store_b32 v1, v84
	s_wait_storecnt_dscnt 0x0
	s_barrier_signal -1
	s_barrier_wait -1
	s_wait_xcnt 0x0
	s_and_saveexec_b32 s10, s0
	s_cbranch_execz .LBB39_166
; %bb.157:
	s_and_not1_b32 vcc_lo, exec_lo, s3
	s_cbranch_vccnz .LBB39_159
; %bb.158:
	scratch_load_b32 v84, v7, off
	ds_load_b32 v85, v1
	s_wait_loadcnt_dscnt 0x0
	v_mul_f32_e32 v84, v84, v85
	s_cbranch_execz .LBB39_160
	s_branch .LBB39_161
.LBB39_159:
                                        ; implicit-def: $vgpr84
.LBB39_160:
	ds_load_b32 v84, v1
.LBB39_161:
	s_and_saveexec_b32 s11, s1
	s_cbranch_execz .LBB39_165
; %bb.162:
	v_subrev_nc_u32_e32 v85, 23, v0
	s_movk_i32 s1, 0x5c
	s_movk_i32 s13, 0xfc
	s_mov_b32 s12, 0
.LBB39_163:                             ; =>This Inner Loop Header: Depth=1
	scratch_load_b32 v86, off, s1
	v_dual_mov_b32 v87, s13 :: v_dual_add_nc_u32 v85, -1, v85
	s_add_co_i32 s13, s13, 4
	s_wait_xcnt 0x0
	s_add_co_i32 s1, s1, 4
	ds_load_b32 v87, v87
	v_cmp_eq_u32_e32 vcc_lo, 0, v85
	s_or_b32 s12, vcc_lo, s12
	s_wait_loadcnt_dscnt 0x0
	v_fmac_f32_e32 v84, v86, v87
	s_and_not1_b32 exec_lo, exec_lo, s12
	s_cbranch_execnz .LBB39_163
; %bb.164:
	s_or_b32 exec_lo, exec_lo, s12
.LBB39_165:
	s_delay_alu instid0(SALU_CYCLE_1)
	s_or_b32 exec_lo, exec_lo, s11
	v_mov_b32_e32 v85, 0
	ds_load_b32 v85, v85 offset:88
	s_wait_dscnt 0x0
	v_mul_f32_e32 v84, v84, v85
	scratch_store_b32 off, v84, off offset:88
.LBB39_166:
	s_wait_xcnt 0x0
	s_or_b32 exec_lo, exec_lo, s10
	scratch_load_b32 v84, off, off offset:84
	v_cmp_lt_u32_e64 s1, 21, v0
	s_wait_loadcnt 0x0
	ds_store_b32 v1, v84
	s_wait_storecnt_dscnt 0x0
	s_barrier_signal -1
	s_barrier_wait -1
	s_wait_xcnt 0x0
	s_and_saveexec_b32 s10, s1
	s_cbranch_execz .LBB39_176
; %bb.167:
	s_and_not1_b32 vcc_lo, exec_lo, s3
	s_cbranch_vccnz .LBB39_169
; %bb.168:
	scratch_load_b32 v84, v7, off
	ds_load_b32 v85, v1
	s_wait_loadcnt_dscnt 0x0
	v_mul_f32_e32 v84, v84, v85
	s_cbranch_execz .LBB39_170
	s_branch .LBB39_171
.LBB39_169:
                                        ; implicit-def: $vgpr84
.LBB39_170:
	ds_load_b32 v84, v1
.LBB39_171:
	s_and_saveexec_b32 s11, s0
	s_cbranch_execz .LBB39_175
; %bb.172:
	v_subrev_nc_u32_e32 v85, 22, v0
	s_movk_i32 s0, 0x58
	s_movk_i32 s13, 0xf8
	s_mov_b32 s12, 0
.LBB39_173:                             ; =>This Inner Loop Header: Depth=1
	scratch_load_b32 v86, off, s0
	v_dual_mov_b32 v87, s13 :: v_dual_add_nc_u32 v85, -1, v85
	s_add_co_i32 s13, s13, 4
	s_wait_xcnt 0x0
	s_add_co_i32 s0, s0, 4
	ds_load_b32 v87, v87
	v_cmp_eq_u32_e32 vcc_lo, 0, v85
	s_or_b32 s12, vcc_lo, s12
	s_wait_loadcnt_dscnt 0x0
	v_fmac_f32_e32 v84, v86, v87
	s_and_not1_b32 exec_lo, exec_lo, s12
	s_cbranch_execnz .LBB39_173
; %bb.174:
	s_or_b32 exec_lo, exec_lo, s12
.LBB39_175:
	s_delay_alu instid0(SALU_CYCLE_1)
	s_or_b32 exec_lo, exec_lo, s11
	v_mov_b32_e32 v85, 0
	ds_load_b32 v85, v85 offset:84
	s_wait_dscnt 0x0
	v_mul_f32_e32 v84, v84, v85
	scratch_store_b32 off, v84, off offset:84
.LBB39_176:
	;; [unrolled: 58-line block ×3, first 2 shown]
	s_wait_xcnt 0x0
	s_or_b32 exec_lo, exec_lo, s10
	scratch_load_b32 v84, off, off offset:76
	v_cmp_lt_u32_e64 s1, 19, v0
	s_wait_loadcnt 0x0
	ds_store_b32 v1, v84
	s_wait_storecnt_dscnt 0x0
	s_barrier_signal -1
	s_barrier_wait -1
	s_wait_xcnt 0x0
	s_and_saveexec_b32 s10, s1
	s_cbranch_execz .LBB39_196
; %bb.187:
	s_and_not1_b32 vcc_lo, exec_lo, s3
	s_cbranch_vccnz .LBB39_189
; %bb.188:
	scratch_load_b32 v84, v7, off
	ds_load_b32 v85, v1
	s_wait_loadcnt_dscnt 0x0
	v_mul_f32_e32 v84, v84, v85
	s_cbranch_execz .LBB39_190
	s_branch .LBB39_191
.LBB39_189:
                                        ; implicit-def: $vgpr84
.LBB39_190:
	ds_load_b32 v84, v1
.LBB39_191:
	s_and_saveexec_b32 s11, s0
	s_cbranch_execz .LBB39_195
; %bb.192:
	v_subrev_nc_u32_e32 v85, 20, v0
	s_movk_i32 s12, 0xf0
	s_mov_b32 s0, 0
.LBB39_193:                             ; =>This Inner Loop Header: Depth=1
	scratch_load_b32 v86, off, s9
	v_dual_mov_b32 v87, s12 :: v_dual_add_nc_u32 v85, -1, v85
	s_add_co_i32 s12, s12, 4
	s_wait_xcnt 0x0
	s_add_co_i32 s9, s9, 4
	ds_load_b32 v87, v87
	v_cmp_eq_u32_e32 vcc_lo, 0, v85
	s_or_b32 s0, vcc_lo, s0
	s_wait_loadcnt_dscnt 0x0
	v_fmac_f32_e32 v84, v86, v87
	s_and_not1_b32 exec_lo, exec_lo, s0
	s_cbranch_execnz .LBB39_193
; %bb.194:
	s_or_b32 exec_lo, exec_lo, s0
.LBB39_195:
	s_delay_alu instid0(SALU_CYCLE_1)
	s_or_b32 exec_lo, exec_lo, s11
	v_mov_b32_e32 v85, 0
	ds_load_b32 v85, v85 offset:76
	s_wait_dscnt 0x0
	v_mul_f32_e32 v84, v84, v85
	scratch_store_b32 off, v84, off offset:76
.LBB39_196:
	s_wait_xcnt 0x0
	s_or_b32 exec_lo, exec_lo, s10
	scratch_load_b32 v84, off, off offset:72
	v_cmp_lt_u32_e64 s0, 18, v0
	s_wait_loadcnt 0x0
	ds_store_b32 v1, v84
	s_wait_storecnt_dscnt 0x0
	s_barrier_signal -1
	s_barrier_wait -1
	s_wait_xcnt 0x0
	s_and_saveexec_b32 s9, s0
	s_cbranch_execz .LBB39_206
; %bb.197:
	s_and_not1_b32 vcc_lo, exec_lo, s3
	s_cbranch_vccnz .LBB39_199
; %bb.198:
	scratch_load_b32 v84, v7, off
	ds_load_b32 v85, v1
	s_wait_loadcnt_dscnt 0x0
	v_mul_f32_e32 v84, v84, v85
	s_cbranch_execz .LBB39_200
	s_branch .LBB39_201
.LBB39_199:
                                        ; implicit-def: $vgpr84
.LBB39_200:
	ds_load_b32 v84, v1
.LBB39_201:
	s_and_saveexec_b32 s10, s1
	s_cbranch_execz .LBB39_205
; %bb.202:
	v_subrev_nc_u32_e32 v85, 19, v0
	s_movk_i32 s1, 0x4c
	s_movk_i32 s12, 0xec
	s_mov_b32 s11, 0
.LBB39_203:                             ; =>This Inner Loop Header: Depth=1
	scratch_load_b32 v86, off, s1
	v_dual_mov_b32 v87, s12 :: v_dual_add_nc_u32 v85, -1, v85
	s_add_co_i32 s12, s12, 4
	s_wait_xcnt 0x0
	s_add_co_i32 s1, s1, 4
	ds_load_b32 v87, v87
	v_cmp_eq_u32_e32 vcc_lo, 0, v85
	s_or_b32 s11, vcc_lo, s11
	s_wait_loadcnt_dscnt 0x0
	v_fmac_f32_e32 v84, v86, v87
	s_and_not1_b32 exec_lo, exec_lo, s11
	s_cbranch_execnz .LBB39_203
; %bb.204:
	s_or_b32 exec_lo, exec_lo, s11
.LBB39_205:
	s_delay_alu instid0(SALU_CYCLE_1)
	s_or_b32 exec_lo, exec_lo, s10
	v_mov_b32_e32 v85, 0
	ds_load_b32 v85, v85 offset:72
	s_wait_dscnt 0x0
	v_mul_f32_e32 v84, v84, v85
	scratch_store_b32 off, v84, off offset:72
.LBB39_206:
	s_wait_xcnt 0x0
	s_or_b32 exec_lo, exec_lo, s9
	scratch_load_b32 v84, off, off offset:68
	v_cmp_lt_u32_e64 s1, 17, v0
	s_wait_loadcnt 0x0
	ds_store_b32 v1, v84
	s_wait_storecnt_dscnt 0x0
	s_barrier_signal -1
	s_barrier_wait -1
	s_wait_xcnt 0x0
	s_and_saveexec_b32 s9, s1
	s_cbranch_execz .LBB39_216
; %bb.207:
	s_and_not1_b32 vcc_lo, exec_lo, s3
	s_cbranch_vccnz .LBB39_209
; %bb.208:
	scratch_load_b32 v84, v7, off
	ds_load_b32 v85, v1
	s_wait_loadcnt_dscnt 0x0
	v_mul_f32_e32 v84, v84, v85
	s_cbranch_execz .LBB39_210
	s_branch .LBB39_211
.LBB39_209:
                                        ; implicit-def: $vgpr84
.LBB39_210:
	ds_load_b32 v84, v1
.LBB39_211:
	s_and_saveexec_b32 s10, s0
	s_cbranch_execz .LBB39_215
; %bb.212:
	v_subrev_nc_u32_e32 v85, 18, v0
	s_movk_i32 s0, 0x48
	s_movk_i32 s12, 0xe8
	s_mov_b32 s11, 0
.LBB39_213:                             ; =>This Inner Loop Header: Depth=1
	scratch_load_b32 v86, off, s0
	v_dual_mov_b32 v87, s12 :: v_dual_add_nc_u32 v85, -1, v85
	s_add_co_i32 s12, s12, 4
	s_wait_xcnt 0x0
	s_add_co_i32 s0, s0, 4
	ds_load_b32 v87, v87
	v_cmp_eq_u32_e32 vcc_lo, 0, v85
	s_or_b32 s11, vcc_lo, s11
	s_wait_loadcnt_dscnt 0x0
	v_fmac_f32_e32 v84, v86, v87
	s_and_not1_b32 exec_lo, exec_lo, s11
	s_cbranch_execnz .LBB39_213
; %bb.214:
	s_or_b32 exec_lo, exec_lo, s11
.LBB39_215:
	s_delay_alu instid0(SALU_CYCLE_1)
	s_or_b32 exec_lo, exec_lo, s10
	v_mov_b32_e32 v85, 0
	ds_load_b32 v85, v85 offset:68
	s_wait_dscnt 0x0
	v_mul_f32_e32 v84, v84, v85
	scratch_store_b32 off, v84, off offset:68
.LBB39_216:
	;; [unrolled: 58-line block ×3, first 2 shown]
	s_wait_xcnt 0x0
	s_or_b32 exec_lo, exec_lo, s9
	scratch_load_b32 v84, off, off offset:60
	v_cmp_lt_u32_e64 s1, 15, v0
	s_wait_loadcnt 0x0
	ds_store_b32 v1, v84
	s_wait_storecnt_dscnt 0x0
	s_barrier_signal -1
	s_barrier_wait -1
	s_wait_xcnt 0x0
	s_and_saveexec_b32 s9, s1
	s_cbranch_execz .LBB39_236
; %bb.227:
	s_and_not1_b32 vcc_lo, exec_lo, s3
	s_cbranch_vccnz .LBB39_229
; %bb.228:
	scratch_load_b32 v84, v7, off
	ds_load_b32 v85, v1
	s_wait_loadcnt_dscnt 0x0
	v_mul_f32_e32 v84, v84, v85
	s_cbranch_execz .LBB39_230
	s_branch .LBB39_231
.LBB39_229:
                                        ; implicit-def: $vgpr84
.LBB39_230:
	ds_load_b32 v84, v1
.LBB39_231:
	s_and_saveexec_b32 s10, s0
	s_cbranch_execz .LBB39_235
; %bb.232:
	v_add_nc_u32_e32 v85, -16, v0
	s_movk_i32 s11, 0xe0
	s_mov_b32 s0, 0
.LBB39_233:                             ; =>This Inner Loop Header: Depth=1
	scratch_load_b32 v86, off, s8
	v_dual_mov_b32 v87, s11 :: v_dual_add_nc_u32 v85, -1, v85
	s_add_co_i32 s11, s11, 4
	s_wait_xcnt 0x0
	s_add_co_i32 s8, s8, 4
	ds_load_b32 v87, v87
	v_cmp_eq_u32_e32 vcc_lo, 0, v85
	s_or_b32 s0, vcc_lo, s0
	s_wait_loadcnt_dscnt 0x0
	v_fmac_f32_e32 v84, v86, v87
	s_and_not1_b32 exec_lo, exec_lo, s0
	s_cbranch_execnz .LBB39_233
; %bb.234:
	s_or_b32 exec_lo, exec_lo, s0
.LBB39_235:
	s_delay_alu instid0(SALU_CYCLE_1)
	s_or_b32 exec_lo, exec_lo, s10
	v_mov_b32_e32 v85, 0
	ds_load_b32 v85, v85 offset:60
	s_wait_dscnt 0x0
	v_mul_f32_e32 v84, v84, v85
	scratch_store_b32 off, v84, off offset:60
.LBB39_236:
	s_wait_xcnt 0x0
	s_or_b32 exec_lo, exec_lo, s9
	scratch_load_b32 v84, off, off offset:56
	v_cmp_lt_u32_e64 s0, 14, v0
	s_wait_loadcnt 0x0
	ds_store_b32 v1, v84
	s_wait_storecnt_dscnt 0x0
	s_barrier_signal -1
	s_barrier_wait -1
	s_wait_xcnt 0x0
	s_and_saveexec_b32 s8, s0
	s_cbranch_execz .LBB39_246
; %bb.237:
	s_and_not1_b32 vcc_lo, exec_lo, s3
	s_cbranch_vccnz .LBB39_239
; %bb.238:
	scratch_load_b32 v84, v7, off
	ds_load_b32 v85, v1
	s_wait_loadcnt_dscnt 0x0
	v_mul_f32_e32 v84, v84, v85
	s_cbranch_execz .LBB39_240
	s_branch .LBB39_241
.LBB39_239:
                                        ; implicit-def: $vgpr84
.LBB39_240:
	ds_load_b32 v84, v1
.LBB39_241:
	s_and_saveexec_b32 s9, s1
	s_cbranch_execz .LBB39_245
; %bb.242:
	v_add_nc_u32_e32 v85, -15, v0
	s_mov_b32 s1, 60
	s_movk_i32 s11, 0xdc
	s_mov_b32 s10, 0
.LBB39_243:                             ; =>This Inner Loop Header: Depth=1
	scratch_load_b32 v86, off, s1
	v_dual_mov_b32 v87, s11 :: v_dual_add_nc_u32 v85, -1, v85
	s_add_co_i32 s11, s11, 4
	s_wait_xcnt 0x0
	s_add_co_i32 s1, s1, 4
	ds_load_b32 v87, v87
	v_cmp_eq_u32_e32 vcc_lo, 0, v85
	s_or_b32 s10, vcc_lo, s10
	s_wait_loadcnt_dscnt 0x0
	v_fmac_f32_e32 v84, v86, v87
	s_and_not1_b32 exec_lo, exec_lo, s10
	s_cbranch_execnz .LBB39_243
; %bb.244:
	s_or_b32 exec_lo, exec_lo, s10
.LBB39_245:
	s_delay_alu instid0(SALU_CYCLE_1)
	s_or_b32 exec_lo, exec_lo, s9
	v_mov_b32_e32 v85, 0
	ds_load_b32 v85, v85 offset:56
	s_wait_dscnt 0x0
	v_mul_f32_e32 v84, v84, v85
	scratch_store_b32 off, v84, off offset:56
.LBB39_246:
	s_wait_xcnt 0x0
	s_or_b32 exec_lo, exec_lo, s8
	scratch_load_b32 v84, off, off offset:52
	v_cmp_lt_u32_e64 s1, 13, v0
	s_wait_loadcnt 0x0
	ds_store_b32 v1, v84
	s_wait_storecnt_dscnt 0x0
	s_barrier_signal -1
	s_barrier_wait -1
	s_wait_xcnt 0x0
	s_and_saveexec_b32 s8, s1
	s_cbranch_execz .LBB39_256
; %bb.247:
	s_and_not1_b32 vcc_lo, exec_lo, s3
	s_cbranch_vccnz .LBB39_249
; %bb.248:
	scratch_load_b32 v84, v7, off
	ds_load_b32 v85, v1
	s_wait_loadcnt_dscnt 0x0
	v_mul_f32_e32 v84, v84, v85
	s_cbranch_execz .LBB39_250
	s_branch .LBB39_251
.LBB39_249:
                                        ; implicit-def: $vgpr84
.LBB39_250:
	ds_load_b32 v84, v1
.LBB39_251:
	s_and_saveexec_b32 s9, s0
	s_cbranch_execz .LBB39_255
; %bb.252:
	v_add_nc_u32_e32 v85, -14, v0
	s_mov_b32 s0, 56
	s_movk_i32 s11, 0xd8
	s_mov_b32 s10, 0
.LBB39_253:                             ; =>This Inner Loop Header: Depth=1
	scratch_load_b32 v86, off, s0
	v_dual_mov_b32 v87, s11 :: v_dual_add_nc_u32 v85, -1, v85
	s_add_co_i32 s11, s11, 4
	s_wait_xcnt 0x0
	s_add_co_i32 s0, s0, 4
	ds_load_b32 v87, v87
	v_cmp_eq_u32_e32 vcc_lo, 0, v85
	s_or_b32 s10, vcc_lo, s10
	s_wait_loadcnt_dscnt 0x0
	v_fmac_f32_e32 v84, v86, v87
	s_and_not1_b32 exec_lo, exec_lo, s10
	s_cbranch_execnz .LBB39_253
; %bb.254:
	s_or_b32 exec_lo, exec_lo, s10
.LBB39_255:
	s_delay_alu instid0(SALU_CYCLE_1)
	s_or_b32 exec_lo, exec_lo, s9
	v_mov_b32_e32 v85, 0
	ds_load_b32 v85, v85 offset:52
	s_wait_dscnt 0x0
	v_mul_f32_e32 v84, v84, v85
	scratch_store_b32 off, v84, off offset:52
.LBB39_256:
	;; [unrolled: 58-line block ×3, first 2 shown]
	s_wait_xcnt 0x0
	s_or_b32 exec_lo, exec_lo, s8
	scratch_load_b32 v84, off, off offset:44
	v_cmp_lt_u32_e64 s1, 11, v0
	s_wait_loadcnt 0x0
	ds_store_b32 v1, v84
	s_wait_storecnt_dscnt 0x0
	s_barrier_signal -1
	s_barrier_wait -1
	s_wait_xcnt 0x0
	s_and_saveexec_b32 s8, s1
	s_cbranch_execz .LBB39_276
; %bb.267:
	s_and_not1_b32 vcc_lo, exec_lo, s3
	s_cbranch_vccnz .LBB39_269
; %bb.268:
	scratch_load_b32 v84, v7, off
	ds_load_b32 v85, v1
	s_wait_loadcnt_dscnt 0x0
	v_mul_f32_e32 v84, v84, v85
	s_cbranch_execz .LBB39_270
	s_branch .LBB39_271
.LBB39_269:
                                        ; implicit-def: $vgpr84
.LBB39_270:
	ds_load_b32 v84, v1
.LBB39_271:
	s_and_saveexec_b32 s9, s0
	s_cbranch_execz .LBB39_275
; %bb.272:
	v_add_nc_u32_e32 v85, -12, v0
	s_movk_i32 s10, 0xd0
	s_mov_b32 s0, 0
.LBB39_273:                             ; =>This Inner Loop Header: Depth=1
	scratch_load_b32 v86, off, s5
	v_dual_mov_b32 v87, s10 :: v_dual_add_nc_u32 v85, -1, v85
	s_add_co_i32 s10, s10, 4
	s_wait_xcnt 0x0
	s_add_co_i32 s5, s5, 4
	ds_load_b32 v87, v87
	v_cmp_eq_u32_e32 vcc_lo, 0, v85
	s_or_b32 s0, vcc_lo, s0
	s_wait_loadcnt_dscnt 0x0
	v_fmac_f32_e32 v84, v86, v87
	s_and_not1_b32 exec_lo, exec_lo, s0
	s_cbranch_execnz .LBB39_273
; %bb.274:
	s_or_b32 exec_lo, exec_lo, s0
.LBB39_275:
	s_delay_alu instid0(SALU_CYCLE_1)
	s_or_b32 exec_lo, exec_lo, s9
	v_mov_b32_e32 v85, 0
	ds_load_b32 v85, v85 offset:44
	s_wait_dscnt 0x0
	v_mul_f32_e32 v84, v84, v85
	scratch_store_b32 off, v84, off offset:44
.LBB39_276:
	s_wait_xcnt 0x0
	s_or_b32 exec_lo, exec_lo, s8
	scratch_load_b32 v84, off, off offset:40
	v_cmp_lt_u32_e64 s0, 10, v0
	s_wait_loadcnt 0x0
	ds_store_b32 v1, v84
	s_wait_storecnt_dscnt 0x0
	s_barrier_signal -1
	s_barrier_wait -1
	s_wait_xcnt 0x0
	s_and_saveexec_b32 s5, s0
	s_cbranch_execz .LBB39_286
; %bb.277:
	s_and_not1_b32 vcc_lo, exec_lo, s3
	s_cbranch_vccnz .LBB39_279
; %bb.278:
	scratch_load_b32 v84, v7, off
	ds_load_b32 v85, v1
	s_wait_loadcnt_dscnt 0x0
	v_mul_f32_e32 v84, v84, v85
	s_cbranch_execz .LBB39_280
	s_branch .LBB39_281
.LBB39_279:
                                        ; implicit-def: $vgpr84
.LBB39_280:
	ds_load_b32 v84, v1
.LBB39_281:
	s_and_saveexec_b32 s8, s1
	s_cbranch_execz .LBB39_285
; %bb.282:
	v_add_nc_u32_e32 v85, -11, v0
	s_mov_b32 s1, 44
	s_movk_i32 s10, 0xcc
	s_mov_b32 s9, 0
.LBB39_283:                             ; =>This Inner Loop Header: Depth=1
	scratch_load_b32 v86, off, s1
	v_dual_mov_b32 v87, s10 :: v_dual_add_nc_u32 v85, -1, v85
	s_add_co_i32 s10, s10, 4
	s_wait_xcnt 0x0
	s_add_co_i32 s1, s1, 4
	ds_load_b32 v87, v87
	v_cmp_eq_u32_e32 vcc_lo, 0, v85
	s_or_b32 s9, vcc_lo, s9
	s_wait_loadcnt_dscnt 0x0
	v_fmac_f32_e32 v84, v86, v87
	s_and_not1_b32 exec_lo, exec_lo, s9
	s_cbranch_execnz .LBB39_283
; %bb.284:
	s_or_b32 exec_lo, exec_lo, s9
.LBB39_285:
	s_delay_alu instid0(SALU_CYCLE_1)
	s_or_b32 exec_lo, exec_lo, s8
	v_mov_b32_e32 v85, 0
	ds_load_b32 v85, v85 offset:40
	s_wait_dscnt 0x0
	v_mul_f32_e32 v84, v84, v85
	scratch_store_b32 off, v84, off offset:40
.LBB39_286:
	s_wait_xcnt 0x0
	s_or_b32 exec_lo, exec_lo, s5
	scratch_load_b32 v84, off, off offset:36
	v_cmp_lt_u32_e64 s1, 9, v0
	s_wait_loadcnt 0x0
	ds_store_b32 v1, v84
	s_wait_storecnt_dscnt 0x0
	s_barrier_signal -1
	s_barrier_wait -1
	s_wait_xcnt 0x0
	s_and_saveexec_b32 s5, s1
	s_cbranch_execz .LBB39_296
; %bb.287:
	s_and_not1_b32 vcc_lo, exec_lo, s3
	s_cbranch_vccnz .LBB39_289
; %bb.288:
	scratch_load_b32 v84, v7, off
	ds_load_b32 v85, v1
	s_wait_loadcnt_dscnt 0x0
	v_mul_f32_e32 v84, v84, v85
	s_cbranch_execz .LBB39_290
	s_branch .LBB39_291
.LBB39_289:
                                        ; implicit-def: $vgpr84
.LBB39_290:
	ds_load_b32 v84, v1
.LBB39_291:
	s_and_saveexec_b32 s8, s0
	s_cbranch_execz .LBB39_295
; %bb.292:
	v_add_nc_u32_e32 v85, -10, v0
	s_mov_b32 s0, 40
	s_movk_i32 s10, 0xc8
	s_mov_b32 s9, 0
.LBB39_293:                             ; =>This Inner Loop Header: Depth=1
	scratch_load_b32 v86, off, s0
	v_dual_mov_b32 v87, s10 :: v_dual_add_nc_u32 v85, -1, v85
	s_add_co_i32 s10, s10, 4
	s_wait_xcnt 0x0
	s_add_co_i32 s0, s0, 4
	ds_load_b32 v87, v87
	v_cmp_eq_u32_e32 vcc_lo, 0, v85
	s_or_b32 s9, vcc_lo, s9
	s_wait_loadcnt_dscnt 0x0
	v_fmac_f32_e32 v84, v86, v87
	s_and_not1_b32 exec_lo, exec_lo, s9
	s_cbranch_execnz .LBB39_293
; %bb.294:
	s_or_b32 exec_lo, exec_lo, s9
.LBB39_295:
	s_delay_alu instid0(SALU_CYCLE_1)
	s_or_b32 exec_lo, exec_lo, s8
	v_mov_b32_e32 v85, 0
	ds_load_b32 v85, v85 offset:36
	s_wait_dscnt 0x0
	v_mul_f32_e32 v84, v84, v85
	scratch_store_b32 off, v84, off offset:36
.LBB39_296:
	;; [unrolled: 58-line block ×3, first 2 shown]
	s_wait_xcnt 0x0
	s_or_b32 exec_lo, exec_lo, s5
	scratch_load_b32 v84, off, off offset:28
	v_cmp_lt_u32_e64 s1, 7, v0
	s_wait_loadcnt 0x0
	ds_store_b32 v1, v84
	s_wait_storecnt_dscnt 0x0
	s_barrier_signal -1
	s_barrier_wait -1
	s_wait_xcnt 0x0
	s_and_saveexec_b32 s5, s1
	s_cbranch_execz .LBB39_316
; %bb.307:
	s_and_not1_b32 vcc_lo, exec_lo, s3
	s_cbranch_vccnz .LBB39_309
; %bb.308:
	scratch_load_b32 v84, v7, off
	ds_load_b32 v85, v1
	s_wait_loadcnt_dscnt 0x0
	v_mul_f32_e32 v84, v84, v85
	s_cbranch_execz .LBB39_310
	s_branch .LBB39_311
.LBB39_309:
                                        ; implicit-def: $vgpr84
.LBB39_310:
	ds_load_b32 v84, v1
.LBB39_311:
	s_and_saveexec_b32 s8, s0
	s_cbranch_execz .LBB39_315
; %bb.312:
	v_add_nc_u32_e32 v85, -8, v0
	s_movk_i32 s9, 0xc0
	s_mov_b32 s0, 0
.LBB39_313:                             ; =>This Inner Loop Header: Depth=1
	scratch_load_b32 v86, off, s2
	v_dual_mov_b32 v87, s9 :: v_dual_add_nc_u32 v85, -1, v85
	s_add_co_i32 s9, s9, 4
	s_wait_xcnt 0x0
	s_add_co_i32 s2, s2, 4
	ds_load_b32 v87, v87
	v_cmp_eq_u32_e32 vcc_lo, 0, v85
	s_or_b32 s0, vcc_lo, s0
	s_wait_loadcnt_dscnt 0x0
	v_fmac_f32_e32 v84, v86, v87
	s_and_not1_b32 exec_lo, exec_lo, s0
	s_cbranch_execnz .LBB39_313
; %bb.314:
	s_or_b32 exec_lo, exec_lo, s0
.LBB39_315:
	s_delay_alu instid0(SALU_CYCLE_1)
	s_or_b32 exec_lo, exec_lo, s8
	v_mov_b32_e32 v85, 0
	ds_load_b32 v85, v85 offset:28
	s_wait_dscnt 0x0
	v_mul_f32_e32 v84, v84, v85
	scratch_store_b32 off, v84, off offset:28
.LBB39_316:
	s_wait_xcnt 0x0
	s_or_b32 exec_lo, exec_lo, s5
	scratch_load_b32 v84, off, off offset:24
	v_cmp_lt_u32_e64 s0, 6, v0
	s_wait_loadcnt 0x0
	ds_store_b32 v1, v84
	s_wait_storecnt_dscnt 0x0
	s_barrier_signal -1
	s_barrier_wait -1
	s_wait_xcnt 0x0
	s_and_saveexec_b32 s2, s0
	s_cbranch_execz .LBB39_326
; %bb.317:
	s_and_not1_b32 vcc_lo, exec_lo, s3
	s_cbranch_vccnz .LBB39_319
; %bb.318:
	scratch_load_b32 v84, v7, off
	ds_load_b32 v85, v1
	s_wait_loadcnt_dscnt 0x0
	v_mul_f32_e32 v84, v84, v85
	s_cbranch_execz .LBB39_320
	s_branch .LBB39_321
.LBB39_319:
                                        ; implicit-def: $vgpr84
.LBB39_320:
	ds_load_b32 v84, v1
.LBB39_321:
	s_and_saveexec_b32 s5, s1
	s_cbranch_execz .LBB39_325
; %bb.322:
	v_add_nc_u32_e32 v85, -7, v0
	s_mov_b32 s1, 28
	s_movk_i32 s9, 0xbc
	s_mov_b32 s8, 0
.LBB39_323:                             ; =>This Inner Loop Header: Depth=1
	scratch_load_b32 v86, off, s1
	v_dual_mov_b32 v87, s9 :: v_dual_add_nc_u32 v85, -1, v85
	s_add_co_i32 s9, s9, 4
	s_wait_xcnt 0x0
	s_add_co_i32 s1, s1, 4
	ds_load_b32 v87, v87
	v_cmp_eq_u32_e32 vcc_lo, 0, v85
	s_or_b32 s8, vcc_lo, s8
	s_wait_loadcnt_dscnt 0x0
	v_fmac_f32_e32 v84, v86, v87
	s_and_not1_b32 exec_lo, exec_lo, s8
	s_cbranch_execnz .LBB39_323
; %bb.324:
	s_or_b32 exec_lo, exec_lo, s8
.LBB39_325:
	s_delay_alu instid0(SALU_CYCLE_1)
	s_or_b32 exec_lo, exec_lo, s5
	v_mov_b32_e32 v85, 0
	ds_load_b32 v85, v85 offset:24
	s_wait_dscnt 0x0
	v_mul_f32_e32 v84, v84, v85
	scratch_store_b32 off, v84, off offset:24
.LBB39_326:
	s_wait_xcnt 0x0
	s_or_b32 exec_lo, exec_lo, s2
	scratch_load_b32 v84, off, off offset:20
	v_cmp_lt_u32_e64 s1, 5, v0
	s_wait_loadcnt 0x0
	ds_store_b32 v1, v84
	s_wait_storecnt_dscnt 0x0
	s_barrier_signal -1
	s_barrier_wait -1
	s_wait_xcnt 0x0
	s_and_saveexec_b32 s2, s1
	s_cbranch_execz .LBB39_336
; %bb.327:
	s_and_not1_b32 vcc_lo, exec_lo, s3
	s_cbranch_vccnz .LBB39_329
; %bb.328:
	scratch_load_b32 v84, v7, off
	ds_load_b32 v85, v1
	s_wait_loadcnt_dscnt 0x0
	v_mul_f32_e32 v84, v84, v85
	s_cbranch_execz .LBB39_330
	s_branch .LBB39_331
.LBB39_329:
                                        ; implicit-def: $vgpr84
.LBB39_330:
	ds_load_b32 v84, v1
.LBB39_331:
	s_and_saveexec_b32 s5, s0
	s_cbranch_execz .LBB39_335
; %bb.332:
	v_add_nc_u32_e32 v85, -6, v0
	s_mov_b32 s0, 24
	s_movk_i32 s9, 0xb8
	s_mov_b32 s8, 0
.LBB39_333:                             ; =>This Inner Loop Header: Depth=1
	scratch_load_b32 v86, off, s0
	v_dual_mov_b32 v87, s9 :: v_dual_add_nc_u32 v85, -1, v85
	s_add_co_i32 s9, s9, 4
	s_wait_xcnt 0x0
	s_add_co_i32 s0, s0, 4
	ds_load_b32 v87, v87
	v_cmp_eq_u32_e32 vcc_lo, 0, v85
	s_or_b32 s8, vcc_lo, s8
	s_wait_loadcnt_dscnt 0x0
	v_fmac_f32_e32 v84, v86, v87
	s_and_not1_b32 exec_lo, exec_lo, s8
	s_cbranch_execnz .LBB39_333
; %bb.334:
	s_or_b32 exec_lo, exec_lo, s8
.LBB39_335:
	s_delay_alu instid0(SALU_CYCLE_1)
	s_or_b32 exec_lo, exec_lo, s5
	v_mov_b32_e32 v85, 0
	ds_load_b32 v85, v85 offset:20
	s_wait_dscnt 0x0
	v_mul_f32_e32 v84, v84, v85
	scratch_store_b32 off, v84, off offset:20
.LBB39_336:
	;; [unrolled: 58-line block ×3, first 2 shown]
	s_wait_xcnt 0x0
	s_or_b32 exec_lo, exec_lo, s2
	scratch_load_b32 v84, off, off offset:12
	v_cmp_lt_u32_e64 s2, 3, v0
	s_wait_loadcnt 0x0
	ds_store_b32 v1, v84
	s_wait_storecnt_dscnt 0x0
	s_barrier_signal -1
	s_barrier_wait -1
	s_wait_xcnt 0x0
	s_and_saveexec_b32 s1, s2
	s_cbranch_execz .LBB39_356
; %bb.347:
	s_and_not1_b32 vcc_lo, exec_lo, s3
	s_cbranch_vccnz .LBB39_349
; %bb.348:
	scratch_load_b32 v84, v7, off
	ds_load_b32 v85, v1
	s_wait_loadcnt_dscnt 0x0
	v_mul_f32_e32 v84, v84, v85
	s_cbranch_execz .LBB39_350
	s_branch .LBB39_351
.LBB39_349:
                                        ; implicit-def: $vgpr84
.LBB39_350:
	ds_load_b32 v84, v1
.LBB39_351:
	s_and_saveexec_b32 s5, s0
	s_cbranch_execz .LBB39_355
; %bb.352:
	v_add_nc_u32_e32 v85, -4, v0
	s_movk_i32 s8, 0xb0
	s_mov_b32 s0, 0
.LBB39_353:                             ; =>This Inner Loop Header: Depth=1
	scratch_load_b32 v86, off, s4
	v_dual_mov_b32 v87, s8 :: v_dual_add_nc_u32 v85, -1, v85
	s_add_co_i32 s8, s8, 4
	s_wait_xcnt 0x0
	s_add_co_i32 s4, s4, 4
	ds_load_b32 v87, v87
	v_cmp_eq_u32_e32 vcc_lo, 0, v85
	s_or_b32 s0, vcc_lo, s0
	s_wait_loadcnt_dscnt 0x0
	v_fmac_f32_e32 v84, v86, v87
	s_and_not1_b32 exec_lo, exec_lo, s0
	s_cbranch_execnz .LBB39_353
; %bb.354:
	s_or_b32 exec_lo, exec_lo, s0
.LBB39_355:
	s_delay_alu instid0(SALU_CYCLE_1)
	s_or_b32 exec_lo, exec_lo, s5
	v_mov_b32_e32 v85, 0
	ds_load_b32 v85, v85 offset:12
	s_wait_dscnt 0x0
	v_mul_f32_e32 v84, v84, v85
	scratch_store_b32 off, v84, off offset:12
.LBB39_356:
	s_wait_xcnt 0x0
	s_or_b32 exec_lo, exec_lo, s1
	scratch_load_b32 v84, off, off offset:8
	v_cmp_lt_u32_e64 s1, 2, v0
	s_wait_loadcnt 0x0
	ds_store_b32 v1, v84
	s_wait_storecnt_dscnt 0x0
	s_barrier_signal -1
	s_barrier_wait -1
	s_wait_xcnt 0x0
	s_and_saveexec_b32 s0, s1
	s_cbranch_execz .LBB39_366
; %bb.357:
	s_and_not1_b32 vcc_lo, exec_lo, s3
	s_cbranch_vccnz .LBB39_359
; %bb.358:
	scratch_load_b32 v84, v7, off
	ds_load_b32 v85, v1
	s_wait_loadcnt_dscnt 0x0
	v_mul_f32_e32 v84, v84, v85
	s_cbranch_execz .LBB39_360
	s_branch .LBB39_361
.LBB39_359:
                                        ; implicit-def: $vgpr84
.LBB39_360:
	ds_load_b32 v84, v1
.LBB39_361:
	s_and_saveexec_b32 s4, s2
	s_cbranch_execz .LBB39_365
; %bb.362:
	v_add_nc_u32_e32 v85, -3, v0
	s_or_b32 s2, 0, 12
	s_movk_i32 s8, 0xac
	s_mov_b32 s5, 0
.LBB39_363:                             ; =>This Inner Loop Header: Depth=1
	scratch_load_b32 v86, off, s2
	v_dual_mov_b32 v87, s8 :: v_dual_add_nc_u32 v85, -1, v85
	s_add_co_i32 s8, s8, 4
	s_wait_xcnt 0x0
	s_add_co_i32 s2, s2, 4
	ds_load_b32 v87, v87
	v_cmp_eq_u32_e32 vcc_lo, 0, v85
	s_or_b32 s5, vcc_lo, s5
	s_wait_loadcnt_dscnt 0x0
	v_fmac_f32_e32 v84, v86, v87
	s_and_not1_b32 exec_lo, exec_lo, s5
	s_cbranch_execnz .LBB39_363
; %bb.364:
	s_or_b32 exec_lo, exec_lo, s5
.LBB39_365:
	s_delay_alu instid0(SALU_CYCLE_1)
	s_or_b32 exec_lo, exec_lo, s4
	v_mov_b32_e32 v85, 0
	ds_load_b32 v85, v85 offset:8
	s_wait_dscnt 0x0
	v_mul_f32_e32 v84, v84, v85
	scratch_store_b32 off, v84, off offset:8
.LBB39_366:
	s_wait_xcnt 0x0
	s_or_b32 exec_lo, exec_lo, s0
	scratch_load_b32 v84, off, off offset:4
	v_cmp_lt_u32_e64 s0, 1, v0
	s_wait_loadcnt 0x0
	ds_store_b32 v1, v84
	s_wait_storecnt_dscnt 0x0
	s_barrier_signal -1
	s_barrier_wait -1
	s_wait_xcnt 0x0
	s_and_saveexec_b32 s2, s0
	s_cbranch_execz .LBB39_376
; %bb.367:
	s_and_not1_b32 vcc_lo, exec_lo, s3
	s_cbranch_vccnz .LBB39_369
; %bb.368:
	scratch_load_b32 v84, v7, off
	ds_load_b32 v85, v1
	s_wait_loadcnt_dscnt 0x0
	v_mul_f32_e32 v84, v84, v85
	s_cbranch_execz .LBB39_370
	s_branch .LBB39_371
.LBB39_369:
                                        ; implicit-def: $vgpr84
.LBB39_370:
	ds_load_b32 v84, v1
.LBB39_371:
	s_and_saveexec_b32 s4, s1
	s_cbranch_execz .LBB39_375
; %bb.372:
	v_add_nc_u32_e32 v85, -2, v0
	s_or_b32 s1, 0, 8
	s_movk_i32 s8, 0xa8
	s_mov_b32 s5, 0
.LBB39_373:                             ; =>This Inner Loop Header: Depth=1
	scratch_load_b32 v86, off, s1
	v_dual_mov_b32 v87, s8 :: v_dual_add_nc_u32 v85, -1, v85
	s_add_co_i32 s8, s8, 4
	s_wait_xcnt 0x0
	s_add_co_i32 s1, s1, 4
	ds_load_b32 v87, v87
	v_cmp_eq_u32_e32 vcc_lo, 0, v85
	s_or_b32 s5, vcc_lo, s5
	s_wait_loadcnt_dscnt 0x0
	v_fmac_f32_e32 v84, v86, v87
	s_and_not1_b32 exec_lo, exec_lo, s5
	s_cbranch_execnz .LBB39_373
; %bb.374:
	s_or_b32 exec_lo, exec_lo, s5
.LBB39_375:
	s_delay_alu instid0(SALU_CYCLE_1)
	s_or_b32 exec_lo, exec_lo, s4
	v_mov_b32_e32 v85, 0
	ds_load_b32 v85, v85 offset:4
	s_wait_dscnt 0x0
	v_mul_f32_e32 v84, v84, v85
	scratch_store_b32 off, v84, off offset:4
.LBB39_376:
	s_wait_xcnt 0x0
	s_or_b32 exec_lo, exec_lo, s2
	scratch_load_b32 v84, off, off
	s_mov_b32 s1, 0
	s_mov_b32 s2, exec_lo
	s_wait_loadcnt 0x0
	ds_store_b32 v1, v84
	s_wait_storecnt_dscnt 0x0
	s_barrier_signal -1
	s_barrier_wait -1
	s_wait_xcnt 0x0
	v_cmpx_ne_u32_e32 0, v0
	s_cbranch_execz .LBB39_386
; %bb.377:
	s_and_not1_b32 vcc_lo, exec_lo, s3
	s_cbranch_vccnz .LBB39_379
; %bb.378:
	scratch_load_b32 v84, v7, off
	ds_load_b32 v85, v1
	s_wait_loadcnt_dscnt 0x0
	v_mul_f32_e32 v84, v84, v85
	s_cbranch_execz .LBB39_380
	s_branch .LBB39_381
.LBB39_379:
                                        ; implicit-def: $vgpr84
.LBB39_380:
	ds_load_b32 v84, v1
.LBB39_381:
	s_and_saveexec_b32 s4, s0
	s_cbranch_execz .LBB39_385
; %bb.382:
	v_add_nc_u32_e32 v85, -1, v0
	s_or_b32 s0, 0, 4
	s_movk_i32 s8, 0xa4
	s_mov_b32 s5, 0
.LBB39_383:                             ; =>This Inner Loop Header: Depth=1
	scratch_load_b32 v86, off, s0
	v_dual_mov_b32 v87, s8 :: v_dual_add_nc_u32 v85, -1, v85
	s_add_co_i32 s8, s8, 4
	s_wait_xcnt 0x0
	s_add_co_i32 s0, s0, 4
	ds_load_b32 v87, v87
	v_cmp_eq_u32_e32 vcc_lo, 0, v85
	s_or_b32 s5, vcc_lo, s5
	s_wait_loadcnt_dscnt 0x0
	v_fmac_f32_e32 v84, v86, v87
	s_and_not1_b32 exec_lo, exec_lo, s5
	s_cbranch_execnz .LBB39_383
; %bb.384:
	s_or_b32 exec_lo, exec_lo, s5
.LBB39_385:
	s_delay_alu instid0(SALU_CYCLE_1)
	s_or_b32 exec_lo, exec_lo, s4
	v_mov_b32_e32 v85, 0
	ds_load_b32 v85, v85
	s_wait_dscnt 0x0
	v_mul_f32_e32 v84, v84, v85
	scratch_store_b32 off, v84, off
.LBB39_386:
	s_wait_xcnt 0x0
	s_or_b32 exec_lo, exec_lo, s2
.LBB39_387:
	v_lshl_add_u64 v[96:97], v[8:9], 2, s[6:7]
	v_lshl_add_u64 v[98:99], v[10:11], 2, s[6:7]
	;; [unrolled: 1-line block ×38, first 2 shown]
	s_and_b32 vcc_lo, exec_lo, s1
	s_cbranch_vccz .LBB39_769
; %bb.388:
	scratch_load_b32 v68, off, off offset:4
	v_cmp_eq_u32_e64 s0, 0, v0
	s_wait_loadcnt 0x0
	ds_store_b32 v1, v68
	s_wait_storecnt_dscnt 0x0
	s_barrier_signal -1
	s_barrier_wait -1
	s_wait_xcnt 0x0
	s_and_saveexec_b32 s1, s0
	s_cbranch_execz .LBB39_394
; %bb.389:
	s_and_b32 vcc_lo, exec_lo, s3
	s_cbranch_vccz .LBB39_391
; %bb.390:
	scratch_load_b32 v68, v7, off
	ds_load_b32 v69, v1
	s_wait_loadcnt_dscnt 0x0
	v_mul_f32_e32 v68, v68, v69
	s_cbranch_execz .LBB39_392
	s_branch .LBB39_393
.LBB39_391:
                                        ; implicit-def: $vgpr68
.LBB39_392:
	ds_load_b32 v68, v1
.LBB39_393:
	v_mov_b32_e32 v69, 0
	ds_load_b32 v69, v69 offset:4
	s_wait_dscnt 0x0
	v_mul_f32_e32 v68, v68, v69
	scratch_store_b32 off, v68, off offset:4
.LBB39_394:
	s_wait_xcnt 0x0
	s_or_b32 exec_lo, exec_lo, s1
	scratch_load_b32 v69, off, off offset:8
	v_cndmask_b32_e64 v68, 0, 1, s3
	s_mov_b32 s1, exec_lo
	s_wait_loadcnt 0x0
	ds_store_b32 v1, v69
	s_wait_storecnt_dscnt 0x0
	s_barrier_signal -1
	s_barrier_wait -1
	s_wait_xcnt 0x0
	v_cmpx_gt_u32_e32 2, v0
	s_cbranch_execz .LBB39_400
; %bb.395:
	s_and_not1_b32 vcc_lo, exec_lo, s3
	s_cbranch_vccnz .LBB39_397
; %bb.396:
	scratch_load_b32 v69, v7, off
	ds_load_b32 v70, v1
	s_wait_loadcnt_dscnt 0x0
	v_mul_f32_e32 v69, v69, v70
	s_cbranch_execz .LBB39_398
	s_branch .LBB39_399
.LBB39_397:
                                        ; implicit-def: $vgpr69
.LBB39_398:
	ds_load_b32 v69, v1
.LBB39_399:
	scratch_load_b32 v72, off, off offset:4
	v_mov_b32_e32 v70, 0
	ds_load_2addr_b32 v[70:71], v70 offset0:2 offset1:41
	s_wait_loadcnt_dscnt 0x0
	v_fma_f32 v71, v72, v71, v69
	s_delay_alu instid0(VALU_DEP_1) | instskip(NEXT) | instid1(VALU_DEP_1)
	v_cndmask_b32_e64 v69, v69, v71, s0
	v_mul_f32_e32 v69, v69, v70
	scratch_store_b32 off, v69, off offset:8
.LBB39_400:
	s_wait_xcnt 0x0
	s_or_b32 exec_lo, exec_lo, s1
	scratch_load_b32 v69, off, off offset:12
	s_mov_b32 s1, exec_lo
	s_wait_loadcnt 0x0
	ds_store_b32 v1, v69
	s_wait_storecnt_dscnt 0x0
	s_barrier_signal -1
	s_barrier_wait -1
	s_wait_xcnt 0x0
	v_cmpx_gt_u32_e32 3, v0
	s_cbranch_execz .LBB39_408
; %bb.401:
	v_cmp_ne_u32_e32 vcc_lo, 1, v68
	s_cbranch_vccnz .LBB39_403
; %bb.402:
	scratch_load_b32 v69, v7, off
	ds_load_b32 v70, v1
	s_wait_loadcnt_dscnt 0x0
	v_mul_f32_e32 v69, v69, v70
	s_cbranch_execz .LBB39_404
	s_branch .LBB39_405
.LBB39_403:
                                        ; implicit-def: $vgpr69
.LBB39_404:
	ds_load_b32 v69, v1
.LBB39_405:
	s_mov_b32 s2, exec_lo
	v_cmpx_ne_u32_e32 2, v0
	s_cbranch_execz .LBB39_407
; %bb.406:
	scratch_load_b32 v70, v7, off offset:4
	scratch_load_b32 v71, off, off offset:8
	ds_load_b32 v72, v1 offset:4
	v_mov_b32_e32 v73, 0
	ds_load_b32 v73, v73 offset:168
	s_wait_loadcnt_dscnt 0x101
	v_fmac_f32_e32 v69, v70, v72
	s_wait_loadcnt_dscnt 0x0
	s_delay_alu instid0(VALU_DEP_1) | instskip(NEXT) | instid1(VALU_DEP_1)
	v_fma_f32 v70, v71, v73, v69
	v_cndmask_b32_e64 v69, v69, v70, s0
.LBB39_407:
	s_or_b32 exec_lo, exec_lo, s2
	v_mov_b32_e32 v70, 0
	ds_load_b32 v70, v70 offset:12
	s_wait_dscnt 0x0
	v_mul_f32_e32 v69, v69, v70
	scratch_store_b32 off, v69, off offset:12
.LBB39_408:
	s_wait_xcnt 0x0
	s_or_b32 exec_lo, exec_lo, s1
	scratch_load_b32 v69, off, off offset:16
	s_mov_b32 s0, exec_lo
	s_wait_loadcnt 0x0
	ds_store_b32 v1, v69
	s_wait_storecnt_dscnt 0x0
	s_barrier_signal -1
	s_barrier_wait -1
	s_wait_xcnt 0x0
	v_cmpx_gt_u32_e32 4, v0
	s_cbranch_execz .LBB39_418
; %bb.409:
	v_cmp_ne_u32_e32 vcc_lo, 1, v68
	s_cbranch_vccnz .LBB39_411
; %bb.410:
	scratch_load_b32 v69, v7, off
	ds_load_b32 v70, v1
	s_wait_loadcnt_dscnt 0x0
	v_mul_f32_e32 v69, v69, v70
	s_cbranch_execz .LBB39_412
	s_branch .LBB39_413
.LBB39_411:
                                        ; implicit-def: $vgpr69
.LBB39_412:
	ds_load_b32 v69, v1
.LBB39_413:
	s_mov_b32 s1, exec_lo
	v_cmpx_ne_u32_e32 3, v0
	s_cbranch_execz .LBB39_417
; %bb.414:
	v_add_nc_u32_e32 v70, 0xa4, v6
	v_add3_u32 v71, 0, v6, 4
	v_mov_b32_e32 v72, v0
	s_mov_b32 s2, 0
.LBB39_415:                             ; =>This Inner Loop Header: Depth=1
	scratch_load_b32 v73, v71, off
	ds_load_b32 v74, v70
	v_dual_add_nc_u32 v72, 1, v72 :: v_dual_add_nc_u32 v70, 4, v70
	s_wait_xcnt 0x0
	v_add_nc_u32_e32 v71, 4, v71
	s_delay_alu instid0(VALU_DEP_2)
	v_cmp_lt_u32_e32 vcc_lo, 2, v72
	s_or_b32 s2, vcc_lo, s2
	s_wait_loadcnt_dscnt 0x0
	v_fmac_f32_e32 v69, v73, v74
	s_and_not1_b32 exec_lo, exec_lo, s2
	s_cbranch_execnz .LBB39_415
; %bb.416:
	s_or_b32 exec_lo, exec_lo, s2
.LBB39_417:
	s_delay_alu instid0(SALU_CYCLE_1)
	s_or_b32 exec_lo, exec_lo, s1
	v_mov_b32_e32 v70, 0
	ds_load_b32 v70, v70 offset:16
	s_wait_dscnt 0x0
	v_mul_f32_e32 v69, v69, v70
	scratch_store_b32 off, v69, off offset:16
.LBB39_418:
	s_wait_xcnt 0x0
	s_or_b32 exec_lo, exec_lo, s0
	scratch_load_b32 v69, off, off offset:20
	s_mov_b32 s0, exec_lo
	s_wait_loadcnt 0x0
	ds_store_b32 v1, v69
	s_wait_storecnt_dscnt 0x0
	s_barrier_signal -1
	s_barrier_wait -1
	s_wait_xcnt 0x0
	v_cmpx_gt_u32_e32 5, v0
	s_cbranch_execz .LBB39_428
; %bb.419:
	v_cmp_ne_u32_e32 vcc_lo, 1, v68
	s_cbranch_vccnz .LBB39_421
; %bb.420:
	scratch_load_b32 v69, v7, off
	ds_load_b32 v70, v1
	s_wait_loadcnt_dscnt 0x0
	v_mul_f32_e32 v69, v69, v70
	s_cbranch_execz .LBB39_422
	s_branch .LBB39_423
.LBB39_421:
                                        ; implicit-def: $vgpr69
.LBB39_422:
	ds_load_b32 v69, v1
.LBB39_423:
	s_mov_b32 s1, exec_lo
	v_cmpx_ne_u32_e32 4, v0
	s_cbranch_execz .LBB39_427
; %bb.424:
	v_add_nc_u32_e32 v70, 0xa4, v6
	v_add3_u32 v71, 0, v6, 4
	v_mov_b32_e32 v72, v0
	s_mov_b32 s2, 0
.LBB39_425:                             ; =>This Inner Loop Header: Depth=1
	scratch_load_b32 v73, v71, off
	ds_load_b32 v74, v70
	v_dual_add_nc_u32 v72, 1, v72 :: v_dual_add_nc_u32 v70, 4, v70
	s_wait_xcnt 0x0
	v_add_nc_u32_e32 v71, 4, v71
	s_delay_alu instid0(VALU_DEP_2)
	v_cmp_lt_u32_e32 vcc_lo, 3, v72
	s_or_b32 s2, vcc_lo, s2
	s_wait_loadcnt_dscnt 0x0
	v_fmac_f32_e32 v69, v73, v74
	s_and_not1_b32 exec_lo, exec_lo, s2
	s_cbranch_execnz .LBB39_425
; %bb.426:
	s_or_b32 exec_lo, exec_lo, s2
.LBB39_427:
	s_delay_alu instid0(SALU_CYCLE_1)
	s_or_b32 exec_lo, exec_lo, s1
	v_mov_b32_e32 v70, 0
	ds_load_b32 v70, v70 offset:20
	s_wait_dscnt 0x0
	v_mul_f32_e32 v69, v69, v70
	scratch_store_b32 off, v69, off offset:20
.LBB39_428:
	;; [unrolled: 59-line block ×34, first 2 shown]
	s_wait_xcnt 0x0
	s_or_b32 exec_lo, exec_lo, s0
	scratch_load_b32 v69, off, off offset:152
	v_cmp_gt_u32_e64 s0, 38, v0
	s_wait_loadcnt 0x0
	ds_store_b32 v1, v69
	s_wait_storecnt_dscnt 0x0
	s_barrier_signal -1
	s_barrier_wait -1
	s_wait_xcnt 0x0
	s_and_saveexec_b32 s1, s0
	s_cbranch_execz .LBB39_758
; %bb.749:
	v_cmp_ne_u32_e32 vcc_lo, 1, v68
	s_cbranch_vccnz .LBB39_751
; %bb.750:
	scratch_load_b32 v69, v7, off
	ds_load_b32 v70, v1
	s_wait_loadcnt_dscnt 0x0
	v_mul_f32_e32 v69, v69, v70
	s_cbranch_execz .LBB39_752
	s_branch .LBB39_753
.LBB39_751:
                                        ; implicit-def: $vgpr69
.LBB39_752:
	ds_load_b32 v69, v1
.LBB39_753:
	s_mov_b32 s2, exec_lo
	v_cmpx_ne_u32_e32 37, v0
	s_cbranch_execz .LBB39_757
; %bb.754:
	v_add_nc_u32_e32 v70, 0xa4, v6
	v_add3_u32 v71, 0, v6, 4
	v_mov_b32_e32 v72, v0
	s_mov_b32 s3, 0
.LBB39_755:                             ; =>This Inner Loop Header: Depth=1
	scratch_load_b32 v73, v71, off
	ds_load_b32 v74, v70
	v_dual_add_nc_u32 v72, 1, v72 :: v_dual_add_nc_u32 v70, 4, v70
	s_wait_xcnt 0x0
	v_add_nc_u32_e32 v71, 4, v71
	s_delay_alu instid0(VALU_DEP_2)
	v_cmp_lt_u32_e32 vcc_lo, 36, v72
	s_or_b32 s3, vcc_lo, s3
	s_wait_loadcnt_dscnt 0x0
	v_fmac_f32_e32 v69, v73, v74
	s_and_not1_b32 exec_lo, exec_lo, s3
	s_cbranch_execnz .LBB39_755
; %bb.756:
	s_or_b32 exec_lo, exec_lo, s3
.LBB39_757:
	s_delay_alu instid0(SALU_CYCLE_1)
	s_or_b32 exec_lo, exec_lo, s2
	v_mov_b32_e32 v70, 0
	ds_load_b32 v70, v70 offset:152
	s_wait_dscnt 0x0
	v_mul_f32_e32 v69, v69, v70
	scratch_store_b32 off, v69, off offset:152
.LBB39_758:
	s_wait_xcnt 0x0
	s_or_b32 exec_lo, exec_lo, s1
	scratch_load_b32 v69, off, off offset:156
	s_mov_b32 s1, exec_lo
	s_wait_loadcnt 0x0
	ds_store_b32 v1, v69
	s_wait_storecnt_dscnt 0x0
	s_barrier_signal -1
	s_barrier_wait -1
	s_wait_xcnt 0x0
	v_cmpx_ne_u32_e32 39, v0
	s_cbranch_execz .LBB39_768
; %bb.759:
	v_cmp_ne_u32_e32 vcc_lo, 1, v68
	s_cbranch_vccnz .LBB39_761
; %bb.760:
	scratch_load_b32 v7, v7, off
	ds_load_b32 v68, v1
	s_wait_loadcnt_dscnt 0x0
	v_mul_f32_e32 v7, v7, v68
	s_cbranch_execz .LBB39_762
	s_branch .LBB39_763
.LBB39_761:
                                        ; implicit-def: $vgpr7
.LBB39_762:
	ds_load_b32 v7, v1
.LBB39_763:
	s_and_saveexec_b32 s2, s0
	s_cbranch_execz .LBB39_767
; %bb.764:
	v_add_nc_u32_e32 v1, 0xa4, v6
	v_add3_u32 v6, 0, v6, 4
	s_mov_b32 s0, 0
.LBB39_765:                             ; =>This Inner Loop Header: Depth=1
	scratch_load_b32 v68, v6, off
	ds_load_b32 v69, v1
	v_dual_add_nc_u32 v0, 1, v0 :: v_dual_add_nc_u32 v1, 4, v1
	s_wait_xcnt 0x0
	v_add_nc_u32_e32 v6, 4, v6
	s_delay_alu instid0(VALU_DEP_2)
	v_cmp_lt_u32_e32 vcc_lo, 37, v0
	s_or_b32 s0, vcc_lo, s0
	s_wait_loadcnt_dscnt 0x0
	v_fmac_f32_e32 v7, v68, v69
	s_and_not1_b32 exec_lo, exec_lo, s0
	s_cbranch_execnz .LBB39_765
; %bb.766:
	s_or_b32 exec_lo, exec_lo, s0
.LBB39_767:
	s_delay_alu instid0(SALU_CYCLE_1)
	s_or_b32 exec_lo, exec_lo, s2
	v_mov_b32_e32 v0, 0
	ds_load_b32 v0, v0 offset:156
	s_wait_dscnt 0x0
	v_mul_f32_e32 v0, v7, v0
	scratch_store_b32 off, v0, off offset:156
.LBB39_768:
	s_wait_xcnt 0x0
	s_or_b32 exec_lo, exec_lo, s1
.LBB39_769:
	s_clause 0x2
	scratch_load_b128 v[68:71], off, off
	scratch_load_b128 v[72:75], off, off offset:16
	scratch_load_b128 v[76:79], off, off offset:32
	s_wait_loadcnt 0x2
	s_clause 0x1
	global_store_b32 v[2:3], v68, off
	global_store_b32 v[4:5], v69, off
	scratch_load_b128 v[0:3], off, off offset:48
	s_clause 0x1
	global_store_b32 v[96:97], v70, off
	global_store_b32 v[98:99], v71, off
	s_clause 0x1
	scratch_load_b128 v[4:7], off, off offset:64
	scratch_load_b128 v[68:71], off, off offset:80
	s_wait_loadcnt 0x4
	s_clause 0x1
	global_store_b32 v[92:93], v72, off
	global_store_b32 v[94:95], v73, off
	scratch_load_b128 v[80:83], off, off offset:96
	s_clause 0x1
	global_store_b32 v[88:89], v74, off
	global_store_b32 v[90:91], v75, off
	s_clause 0x1
	scratch_load_b128 v[72:75], off, off offset:112
	scratch_load_b128 v[88:91], off, off offset:128
	s_wait_loadcnt 0x6
	s_clause 0x1
	global_store_b32 v[84:85], v76, off
	global_store_b32 v[86:87], v77, off
	scratch_load_b128 v[84:87], off, off offset:144
	s_clause 0x1
	global_store_b32 v[8:9], v78, off
	global_store_b32 v[10:11], v79, off
	s_wait_loadcnt 0x6
	s_clause 0x3
	global_store_b32 v[12:13], v0, off
	global_store_b32 v[14:15], v1, off
	global_store_b32 v[16:17], v2, off
	global_store_b32 v[18:19], v3, off
	s_wait_loadcnt 0x5
	s_clause 0x3
	global_store_b32 v[20:21], v4, off
	global_store_b32 v[22:23], v5, off
	;; [unrolled: 6-line block ×7, first 2 shown]
	global_store_b32 v[64:65], v86, off
	global_store_b32 v[66:67], v87, off
.LBB39_770:
	s_sendmsg sendmsg(MSG_DEALLOC_VGPRS)
	s_endpgm
	.section	.rodata,"a",@progbits
	.p2align	6, 0x0
	.amdhsa_kernel _ZN9rocsolver6v33100L18trti2_kernel_smallILi40EfPfEEv13rocblas_fill_17rocblas_diagonal_T1_iil
		.amdhsa_group_segment_fixed_size 320
		.amdhsa_private_segment_fixed_size 176
		.amdhsa_kernarg_size 32
		.amdhsa_user_sgpr_count 2
		.amdhsa_user_sgpr_dispatch_ptr 0
		.amdhsa_user_sgpr_queue_ptr 0
		.amdhsa_user_sgpr_kernarg_segment_ptr 1
		.amdhsa_user_sgpr_dispatch_id 0
		.amdhsa_user_sgpr_kernarg_preload_length 0
		.amdhsa_user_sgpr_kernarg_preload_offset 0
		.amdhsa_user_sgpr_private_segment_size 0
		.amdhsa_wavefront_size32 1
		.amdhsa_uses_dynamic_stack 0
		.amdhsa_enable_private_segment 1
		.amdhsa_system_sgpr_workgroup_id_x 1
		.amdhsa_system_sgpr_workgroup_id_y 0
		.amdhsa_system_sgpr_workgroup_id_z 0
		.amdhsa_system_sgpr_workgroup_info 0
		.amdhsa_system_vgpr_workitem_id 0
		.amdhsa_next_free_vgpr 100
		.amdhsa_next_free_sgpr 18
		.amdhsa_named_barrier_count 0
		.amdhsa_reserve_vcc 1
		.amdhsa_float_round_mode_32 0
		.amdhsa_float_round_mode_16_64 0
		.amdhsa_float_denorm_mode_32 3
		.amdhsa_float_denorm_mode_16_64 3
		.amdhsa_fp16_overflow 0
		.amdhsa_memory_ordered 1
		.amdhsa_forward_progress 1
		.amdhsa_inst_pref_size 173
		.amdhsa_round_robin_scheduling 0
		.amdhsa_exception_fp_ieee_invalid_op 0
		.amdhsa_exception_fp_denorm_src 0
		.amdhsa_exception_fp_ieee_div_zero 0
		.amdhsa_exception_fp_ieee_overflow 0
		.amdhsa_exception_fp_ieee_underflow 0
		.amdhsa_exception_fp_ieee_inexact 0
		.amdhsa_exception_int_div_zero 0
	.end_amdhsa_kernel
	.section	.text._ZN9rocsolver6v33100L18trti2_kernel_smallILi40EfPfEEv13rocblas_fill_17rocblas_diagonal_T1_iil,"axG",@progbits,_ZN9rocsolver6v33100L18trti2_kernel_smallILi40EfPfEEv13rocblas_fill_17rocblas_diagonal_T1_iil,comdat
.Lfunc_end39:
	.size	_ZN9rocsolver6v33100L18trti2_kernel_smallILi40EfPfEEv13rocblas_fill_17rocblas_diagonal_T1_iil, .Lfunc_end39-_ZN9rocsolver6v33100L18trti2_kernel_smallILi40EfPfEEv13rocblas_fill_17rocblas_diagonal_T1_iil
                                        ; -- End function
	.set _ZN9rocsolver6v33100L18trti2_kernel_smallILi40EfPfEEv13rocblas_fill_17rocblas_diagonal_T1_iil.num_vgpr, 100
	.set _ZN9rocsolver6v33100L18trti2_kernel_smallILi40EfPfEEv13rocblas_fill_17rocblas_diagonal_T1_iil.num_agpr, 0
	.set _ZN9rocsolver6v33100L18trti2_kernel_smallILi40EfPfEEv13rocblas_fill_17rocblas_diagonal_T1_iil.numbered_sgpr, 18
	.set _ZN9rocsolver6v33100L18trti2_kernel_smallILi40EfPfEEv13rocblas_fill_17rocblas_diagonal_T1_iil.num_named_barrier, 0
	.set _ZN9rocsolver6v33100L18trti2_kernel_smallILi40EfPfEEv13rocblas_fill_17rocblas_diagonal_T1_iil.private_seg_size, 176
	.set _ZN9rocsolver6v33100L18trti2_kernel_smallILi40EfPfEEv13rocblas_fill_17rocblas_diagonal_T1_iil.uses_vcc, 1
	.set _ZN9rocsolver6v33100L18trti2_kernel_smallILi40EfPfEEv13rocblas_fill_17rocblas_diagonal_T1_iil.uses_flat_scratch, 1
	.set _ZN9rocsolver6v33100L18trti2_kernel_smallILi40EfPfEEv13rocblas_fill_17rocblas_diagonal_T1_iil.has_dyn_sized_stack, 0
	.set _ZN9rocsolver6v33100L18trti2_kernel_smallILi40EfPfEEv13rocblas_fill_17rocblas_diagonal_T1_iil.has_recursion, 0
	.set _ZN9rocsolver6v33100L18trti2_kernel_smallILi40EfPfEEv13rocblas_fill_17rocblas_diagonal_T1_iil.has_indirect_call, 0
	.section	.AMDGPU.csdata,"",@progbits
; Kernel info:
; codeLenInByte = 22088
; TotalNumSgprs: 20
; NumVgprs: 100
; ScratchSize: 176
; MemoryBound: 0
; FloatMode: 240
; IeeeMode: 1
; LDSByteSize: 320 bytes/workgroup (compile time only)
; SGPRBlocks: 0
; VGPRBlocks: 6
; NumSGPRsForWavesPerEU: 20
; NumVGPRsForWavesPerEU: 100
; NamedBarCnt: 0
; Occupancy: 9
; WaveLimiterHint : 0
; COMPUTE_PGM_RSRC2:SCRATCH_EN: 1
; COMPUTE_PGM_RSRC2:USER_SGPR: 2
; COMPUTE_PGM_RSRC2:TRAP_HANDLER: 0
; COMPUTE_PGM_RSRC2:TGID_X_EN: 1
; COMPUTE_PGM_RSRC2:TGID_Y_EN: 0
; COMPUTE_PGM_RSRC2:TGID_Z_EN: 0
; COMPUTE_PGM_RSRC2:TIDIG_COMP_CNT: 0
	.section	.text._ZN9rocsolver6v33100L18trti2_kernel_smallILi41EfPfEEv13rocblas_fill_17rocblas_diagonal_T1_iil,"axG",@progbits,_ZN9rocsolver6v33100L18trti2_kernel_smallILi41EfPfEEv13rocblas_fill_17rocblas_diagonal_T1_iil,comdat
	.globl	_ZN9rocsolver6v33100L18trti2_kernel_smallILi41EfPfEEv13rocblas_fill_17rocblas_diagonal_T1_iil ; -- Begin function _ZN9rocsolver6v33100L18trti2_kernel_smallILi41EfPfEEv13rocblas_fill_17rocblas_diagonal_T1_iil
	.p2align	8
	.type	_ZN9rocsolver6v33100L18trti2_kernel_smallILi41EfPfEEv13rocblas_fill_17rocblas_diagonal_T1_iil,@function
_ZN9rocsolver6v33100L18trti2_kernel_smallILi41EfPfEEv13rocblas_fill_17rocblas_diagonal_T1_iil: ; @_ZN9rocsolver6v33100L18trti2_kernel_smallILi41EfPfEEv13rocblas_fill_17rocblas_diagonal_T1_iil
; %bb.0:
	s_mov_b32 s2, exec_lo
	v_cmpx_gt_u32_e32 41, v0
	s_cbranch_execz .LBB40_790
; %bb.1:
	s_load_b256 s[4:11], s[0:1], 0x0
	s_wait_xcnt 0x0
	s_bfe_u32 s0, ttmp6, 0x4000c
	s_and_b32 s1, ttmp6, 15
	s_add_co_i32 s0, s0, 1
	s_getreg_b32 s2, hwreg(HW_REG_IB_STS2, 6, 4)
	s_mul_i32 s0, ttmp9, s0
	v_lshlrev_b32_e32 v6, 2, v0
	s_add_co_i32 s0, s1, s0
	v_mov_b32_e32 v7, 0
	s_wait_kmcnt 0x0
	v_add3_u32 v8, s9, s9, v0
	s_ashr_i32 s1, s8, 31
	s_cmp_eq_u32 s2, 0
	s_cselect_b32 s2, ttmp9, s0
	s_delay_alu instid0(VALU_DEP_1)
	v_add_nc_u32_e32 v10, s9, v8
	s_ashr_i32 s3, s2, 31
	s_mov_b32 s0, s8
	s_mul_u64 s[2:3], s[10:11], s[2:3]
	s_lshl_b64 s[0:1], s[0:1], 2
	v_add_nc_u32_e32 v12, s9, v10
	s_lshl_b64 s[2:3], s[2:3], 2
	v_ashrrev_i32_e32 v9, 31, v8
	s_add_nc_u64 s[2:3], s[6:7], s[2:3]
	s_delay_alu instid0(VALU_DEP_2)
	v_add_nc_u32_e32 v14, s9, v12
	s_add_nc_u64 s[6:7], s[2:3], s[0:1]
	s_mov_b32 s0, s9
	v_add_nc_u64_e32 v[2:3], s[6:7], v[6:7]
	s_ashr_i32 s1, s9, 31
	v_add_nc_u32_e32 v16, s9, v14
	s_cmp_lg_u32 s5, 0x84
	v_ashrrev_i32_e32 v11, 31, v10
	s_cselect_b32 s3, -1, 0
	s_cmp_eq_u32 s5, 0x84
	v_add_nc_u32_e32 v18, s9, v16
	v_lshl_add_u64 v[4:5], s[0:1], 2, v[2:3]
	s_delay_alu instid0(VALU_DEP_2)
	v_dual_ashrrev_i32 v17, 31, v16 :: v_dual_ashrrev_i32 v19, 31, v18
	v_add_nc_u32_e32 v20, s9, v18
	s_clause 0x7
	global_load_b32 v70, v0, s[6:7] scale_offset
	global_load_b32 v72, v8, s[6:7] scale_offset
	;; [unrolled: 1-line block ×7, first 2 shown]
	global_load_b32 v71, v[4:5], off
	v_dual_ashrrev_i32 v13, 31, v12 :: v_dual_ashrrev_i32 v15, 31, v14
	v_add_nc_u32_e32 v22, s9, v20
	s_delay_alu instid0(VALU_DEP_1) | instskip(NEXT) | instid1(VALU_DEP_1)
	v_add_nc_u32_e32 v24, s9, v22
	v_dual_add_nc_u32 v26, s9, v24 :: v_dual_ashrrev_i32 v25, 31, v24
	s_delay_alu instid0(VALU_DEP_1) | instskip(SKIP_1) | instid1(VALU_DEP_2)
	v_dual_ashrrev_i32 v27, 31, v26 :: v_dual_add_nc_u32 v28, s9, v26
	v_dual_ashrrev_i32 v21, 31, v20 :: v_dual_ashrrev_i32 v23, 31, v22
	v_add_nc_u32_e32 v30, s9, v28
	s_delay_alu instid0(VALU_DEP_1) | instskip(NEXT) | instid1(VALU_DEP_1)
	v_add_nc_u32_e32 v32, s9, v30
	v_add_nc_u32_e32 v34, s9, v32
	s_delay_alu instid0(VALU_DEP_1) | instskip(NEXT) | instid1(VALU_DEP_1)
	v_dual_add_nc_u32 v36, s9, v34 :: v_dual_ashrrev_i32 v29, 31, v28
	v_dual_ashrrev_i32 v31, 31, v30 :: v_dual_add_nc_u32 v38, s9, v36
	s_delay_alu instid0(VALU_DEP_1)
	v_dual_ashrrev_i32 v37, 31, v36 :: v_dual_ashrrev_i32 v39, 31, v38
	v_add_nc_u32_e32 v40, s9, v38
	s_clause 0x7
	global_load_b32 v78, v20, s[6:7] scale_offset
	global_load_b32 v79, v22, s[6:7] scale_offset
	;; [unrolled: 1-line block ×8, first 2 shown]
	v_dual_ashrrev_i32 v33, 31, v32 :: v_dual_ashrrev_i32 v35, 31, v34
	v_add_nc_u32_e32 v42, s9, v40
	s_delay_alu instid0(VALU_DEP_1) | instskip(NEXT) | instid1(VALU_DEP_1)
	v_add_nc_u32_e32 v44, s9, v42
	v_add_nc_u32_e32 v46, s9, v44
	s_delay_alu instid0(VALU_DEP_1)
	v_add_nc_u32_e32 v48, s9, v46
	s_clause 0x3
	global_load_b32 v86, v36, s[6:7] scale_offset
	global_load_b32 v87, v38, s[6:7] scale_offset
	;; [unrolled: 1-line block ×4, first 2 shown]
	v_dual_ashrrev_i32 v41, 31, v40 :: v_dual_ashrrev_i32 v43, 31, v42
	v_dual_add_nc_u32 v50, s9, v48 :: v_dual_ashrrev_i32 v49, 31, v48
	s_delay_alu instid0(VALU_DEP_1) | instskip(SKIP_1) | instid1(VALU_DEP_2)
	v_dual_ashrrev_i32 v51, 31, v50 :: v_dual_add_nc_u32 v52, s9, v50
	v_dual_ashrrev_i32 v45, 31, v44 :: v_dual_ashrrev_i32 v47, 31, v46
	v_add_nc_u32_e32 v54, s9, v52
	s_delay_alu instid0(VALU_DEP_1) | instskip(NEXT) | instid1(VALU_DEP_1)
	v_add_nc_u32_e32 v56, s9, v54
	v_add_nc_u32_e32 v58, s9, v56
	s_delay_alu instid0(VALU_DEP_1) | instskip(NEXT) | instid1(VALU_DEP_1)
	v_dual_add_nc_u32 v60, s9, v58 :: v_dual_ashrrev_i32 v53, 31, v52
	v_dual_ashrrev_i32 v55, 31, v54 :: v_dual_add_nc_u32 v62, s9, v60
	s_delay_alu instid0(VALU_DEP_1) | instskip(SKIP_1) | instid1(VALU_DEP_1)
	v_dual_ashrrev_i32 v61, 31, v60 :: v_dual_ashrrev_i32 v63, 31, v62
	v_dual_add_nc_u32 v64, s9, v62 :: v_dual_ashrrev_i32 v57, 31, v56
	v_dual_ashrrev_i32 v59, 31, v58 :: v_dual_add_nc_u32 v66, s9, v64
	s_delay_alu instid0(VALU_DEP_1)
	v_add_nc_u32_e32 v68, s9, v66
	s_wait_loadcnt 0xc
	scratch_store_b128 off, v[70:73], off
	s_wait_xcnt 0x0
	v_add_nc_u32_e32 v70, s9, v68
	s_clause 0x3
	global_load_b32 v90, v44, s[6:7] scale_offset
	global_load_b32 v91, v46, s[6:7] scale_offset
	;; [unrolled: 1-line block ×4, first 2 shown]
	scratch_store_b128 off, v[74:77], off offset:16
	s_clause 0x3
	global_load_b32 v94, v52, s[6:7] scale_offset
	global_load_b32 v95, v54, s[6:7] scale_offset
	;; [unrolled: 1-line block ×4, first 2 shown]
	v_dual_add_nc_u32 v72, s9, v70 :: v_dual_ashrrev_i32 v65, 31, v64
	s_wait_xcnt 0x4
	s_delay_alu instid0(VALU_DEP_1) | instskip(NEXT) | instid1(VALU_DEP_1)
	v_dual_ashrrev_i32 v67, 31, v66 :: v_dual_add_nc_u32 v74, s9, v72
	v_dual_ashrrev_i32 v73, 31, v72 :: v_dual_ashrrev_i32 v75, 31, v74
	v_dual_add_nc_u32 v76, s9, v74 :: v_dual_ashrrev_i32 v69, 31, v68
	v_ashrrev_i32_e32 v71, 31, v70
	s_wait_loadcnt 0x10
	scratch_store_b128 off, v[78:81], off offset:32
	s_wait_xcnt 0x0
	v_add_nc_u32_e32 v78, s9, v76
	s_wait_loadcnt 0xc
	scratch_store_b128 off, v[82:85], off offset:48
	s_clause 0x3
	global_load_b32 v98, v60, s[6:7] scale_offset
	global_load_b32 v99, v62, s[6:7] scale_offset
	;; [unrolled: 1-line block ×4, first 2 shown]
	v_add_nc_u32_e32 v80, s9, v78
	s_wait_xcnt 0x4
	s_delay_alu instid0(VALU_DEP_1) | instskip(NEXT) | instid1(VALU_DEP_1)
	v_dual_add_nc_u32 v82, s9, v80 :: v_dual_ashrrev_i32 v81, 31, v80
	v_ashrrev_i32_e32 v83, 31, v82
	s_wait_loadcnt 0xc
	scratch_store_b128 off, v[86:89], off offset:64
	s_clause 0x3
	global_load_b32 v84, v68, s[6:7] scale_offset
	global_load_b32 v85, v70, s[6:7] scale_offset
	;; [unrolled: 1-line block ×4, first 2 shown]
	s_wait_loadcnt 0xc
	scratch_store_b128 off, v[90:93], off offset:80
	s_wait_loadcnt 0x8
	scratch_store_b128 off, v[94:97], off offset:96
	;; [unrolled: 2-line block ×3, first 2 shown]
	s_clause 0x3
	global_load_b32 v88, v76, s[6:7] scale_offset
	global_load_b32 v89, v78, s[6:7] scale_offset
	;; [unrolled: 1-line block ×4, first 2 shown]
	s_wait_loadcnt 0x4
	scratch_store_b128 off, v[84:87], off offset:128
	s_wait_xcnt 0x0
	v_dual_add_nc_u32 v84, s9, v82 :: v_dual_ashrrev_i32 v77, 31, v76
	v_dual_mov_b32 v86, -1.0 :: v_dual_ashrrev_i32 v79, 31, v78
	s_delay_alu instid0(VALU_DEP_2)
	v_ashrrev_i32_e32 v85, 31, v84
	global_load_b32 v1, v84, s[6:7] scale_offset
	s_wait_loadcnt 0x1
	scratch_store_b128 off, v[88:91], off offset:144
	s_wait_loadcnt 0x0
	scratch_store_b32 off, v1, off offset:160
	s_cbranch_scc1 .LBB40_3
; %bb.2:
	scratch_load_b32 v1, v0, off scale_offset
	s_wait_loadcnt 0x0
	v_div_scale_f32 v7, null, v1, v1, 1.0
	s_delay_alu instid0(VALU_DEP_1) | instskip(SKIP_1) | instid1(TRANS32_DEP_1)
	v_rcp_f32_e32 v86, v7
	v_nop
	v_fma_f32 v87, -v7, v86, 1.0
	s_delay_alu instid0(VALU_DEP_1) | instskip(SKIP_1) | instid1(VALU_DEP_1)
	v_fmac_f32_e32 v86, v87, v86
	v_div_scale_f32 v87, vcc_lo, 1.0, v1, 1.0
	v_mul_f32_e32 v88, v87, v86
	s_delay_alu instid0(VALU_DEP_1) | instskip(NEXT) | instid1(VALU_DEP_1)
	v_fma_f32 v89, -v7, v88, v87
	v_fmac_f32_e32 v88, v89, v86
	s_delay_alu instid0(VALU_DEP_1) | instskip(NEXT) | instid1(VALU_DEP_1)
	v_fma_f32 v7, -v7, v88, v87
	v_div_fmas_f32 v7, v7, v86, v88
	s_delay_alu instid0(VALU_DEP_1) | instskip(NEXT) | instid1(VALU_DEP_1)
	v_div_fixup_f32 v1, v7, v1, 1.0
	v_xor_b32_e32 v86, 0x80000000, v1
	scratch_store_b32 v0, v1, off scale_offset
.LBB40_3:
	s_wait_xcnt 0x0
	v_add_nc_u32_e32 v1, 0xb0, v6
	v_mov_b32_e32 v7, v6
	s_cmp_eq_u32 s4, 0x79
	s_mov_b32 s1, -1
	ds_store_b32 v6, v86
	s_cbranch_scc1 .LBB40_397
; %bb.4:
	scratch_load_b32 v86, off, off offset:156
	v_cmp_eq_u32_e64 s0, 40, v0
	s_movk_i32 s1, 0x50
	s_movk_i32 s2, 0x60
	;; [unrolled: 1-line block ×5, first 2 shown]
	s_wait_loadcnt 0x0
	ds_store_b32 v1, v86
	s_wait_storecnt_dscnt 0x0
	s_barrier_signal -1
	s_barrier_wait -1
	s_wait_xcnt 0x0
	s_and_saveexec_b32 s4, s0
	s_cbranch_execz .LBB40_10
; %bb.5:
	s_and_b32 vcc_lo, exec_lo, s3
	s_cbranch_vccz .LBB40_7
; %bb.6:
	scratch_load_b32 v86, v7, off
	ds_load_b32 v87, v1
	s_wait_loadcnt_dscnt 0x0
	v_mul_f32_e32 v86, v86, v87
	s_cbranch_execz .LBB40_8
	s_branch .LBB40_9
.LBB40_7:
                                        ; implicit-def: $vgpr86
.LBB40_8:
	ds_load_b32 v86, v1
.LBB40_9:
	v_mov_b32_e32 v87, 0
	ds_load_b32 v87, v87 offset:156
	s_wait_dscnt 0x0
	v_mul_f32_e32 v86, v86, v87
	scratch_store_b32 off, v86, off offset:156
.LBB40_10:
	s_wait_xcnt 0x0
	s_or_b32 exec_lo, exec_lo, s4
	scratch_load_b32 v86, off, off offset:152
	s_mov_b32 s10, s1
	v_cmp_lt_u32_e64 s1, 38, v0
	s_mov_b32 s4, 16
	s_mov_b32 s5, 32
	;; [unrolled: 1-line block ×5, first 2 shown]
	s_wait_loadcnt 0x0
	ds_store_b32 v1, v86
	s_wait_storecnt_dscnt 0x0
	s_barrier_signal -1
	s_barrier_wait -1
	s_wait_xcnt 0x0
	s_and_saveexec_b32 s2, s1
	s_cbranch_execz .LBB40_16
; %bb.11:
	s_and_not1_b32 vcc_lo, exec_lo, s3
	s_cbranch_vccnz .LBB40_13
; %bb.12:
	scratch_load_b32 v86, v7, off
	ds_load_b32 v87, v1
	s_wait_loadcnt_dscnt 0x0
	v_mul_f32_e32 v86, v86, v87
	s_cbranch_execz .LBB40_14
	s_branch .LBB40_15
.LBB40_13:
                                        ; implicit-def: $vgpr86
.LBB40_14:
	ds_load_b32 v86, v1
.LBB40_15:
	scratch_load_b32 v87, off, off offset:156
	v_mov_b32_e32 v88, 0
	ds_load_2addr_b32 v[88:89], v88 offset0:38 offset1:83
	s_wait_loadcnt_dscnt 0x0
	v_fma_f32 v87, v87, v89, v86
	s_delay_alu instid0(VALU_DEP_1) | instskip(NEXT) | instid1(VALU_DEP_1)
	v_cndmask_b32_e64 v86, v86, v87, s0
	v_mul_f32_e32 v86, v86, v88
	scratch_store_b32 off, v86, off offset:152
.LBB40_16:
	s_wait_xcnt 0x0
	s_or_b32 exec_lo, exec_lo, s2
	scratch_load_b32 v86, off, off offset:148
	v_cmp_lt_u32_e64 s0, 37, v0
	s_wait_loadcnt 0x0
	ds_store_b32 v1, v86
	s_wait_storecnt_dscnt 0x0
	s_barrier_signal -1
	s_barrier_wait -1
	s_wait_xcnt 0x0
	s_and_saveexec_b32 s2, s0
	s_cbranch_execz .LBB40_26
; %bb.17:
	s_and_not1_b32 vcc_lo, exec_lo, s3
	s_cbranch_vccnz .LBB40_19
; %bb.18:
	scratch_load_b32 v86, v7, off
	ds_load_b32 v87, v1
	s_wait_loadcnt_dscnt 0x0
	v_mul_f32_e32 v86, v86, v87
	s_cbranch_execz .LBB40_20
	s_branch .LBB40_21
.LBB40_19:
                                        ; implicit-def: $vgpr86
.LBB40_20:
	ds_load_b32 v86, v1
.LBB40_21:
	s_and_saveexec_b32 s15, s1
	s_cbranch_execz .LBB40_25
; %bb.22:
	v_subrev_nc_u32_e32 v87, 38, v0
	s_movk_i32 s1, 0x98
	s_movk_i32 s17, 0x148
	s_mov_b32 s16, 0
.LBB40_23:                              ; =>This Inner Loop Header: Depth=1
	scratch_load_b32 v88, off, s1
	v_dual_mov_b32 v89, s17 :: v_dual_add_nc_u32 v87, -1, v87
	s_add_co_i32 s17, s17, 4
	s_wait_xcnt 0x0
	s_add_co_i32 s1, s1, 4
	ds_load_b32 v89, v89
	v_cmp_eq_u32_e32 vcc_lo, 0, v87
	s_or_b32 s16, vcc_lo, s16
	s_wait_loadcnt_dscnt 0x0
	v_fmac_f32_e32 v86, v88, v89
	s_and_not1_b32 exec_lo, exec_lo, s16
	s_cbranch_execnz .LBB40_23
; %bb.24:
	s_or_b32 exec_lo, exec_lo, s16
.LBB40_25:
	s_delay_alu instid0(SALU_CYCLE_1)
	s_or_b32 exec_lo, exec_lo, s15
	v_mov_b32_e32 v87, 0
	ds_load_b32 v87, v87 offset:148
	s_wait_dscnt 0x0
	v_mul_f32_e32 v86, v86, v87
	scratch_store_b32 off, v86, off offset:148
.LBB40_26:
	s_wait_xcnt 0x0
	s_or_b32 exec_lo, exec_lo, s2
	scratch_load_b32 v86, off, off offset:144
	v_cmp_lt_u32_e64 s1, 36, v0
	s_wait_loadcnt 0x0
	ds_store_b32 v1, v86
	s_wait_storecnt_dscnt 0x0
	s_barrier_signal -1
	s_barrier_wait -1
	s_wait_xcnt 0x0
	s_and_saveexec_b32 s2, s1
	s_cbranch_execz .LBB40_36
; %bb.27:
	s_and_not1_b32 vcc_lo, exec_lo, s3
	s_cbranch_vccnz .LBB40_29
; %bb.28:
	scratch_load_b32 v86, v7, off
	ds_load_b32 v87, v1
	s_wait_loadcnt_dscnt 0x0
	v_mul_f32_e32 v86, v86, v87
	s_cbranch_execz .LBB40_30
	s_branch .LBB40_31
.LBB40_29:
                                        ; implicit-def: $vgpr86
.LBB40_30:
	ds_load_b32 v86, v1
.LBB40_31:
	s_and_saveexec_b32 s15, s0
	s_cbranch_execz .LBB40_35
; %bb.32:
	v_subrev_nc_u32_e32 v87, 37, v0
	s_movk_i32 s0, 0x94
	s_movk_i32 s17, 0x144
	s_mov_b32 s16, 0
.LBB40_33:                              ; =>This Inner Loop Header: Depth=1
	scratch_load_b32 v88, off, s0
	v_dual_mov_b32 v89, s17 :: v_dual_add_nc_u32 v87, -1, v87
	s_add_co_i32 s17, s17, 4
	s_wait_xcnt 0x0
	s_add_co_i32 s0, s0, 4
	ds_load_b32 v89, v89
	v_cmp_eq_u32_e32 vcc_lo, 0, v87
	s_or_b32 s16, vcc_lo, s16
	s_wait_loadcnt_dscnt 0x0
	v_fmac_f32_e32 v86, v88, v89
	s_and_not1_b32 exec_lo, exec_lo, s16
	s_cbranch_execnz .LBB40_33
; %bb.34:
	s_or_b32 exec_lo, exec_lo, s16
.LBB40_35:
	s_delay_alu instid0(SALU_CYCLE_1)
	s_or_b32 exec_lo, exec_lo, s15
	v_mov_b32_e32 v87, 0
	ds_load_b32 v87, v87 offset:144
	s_wait_dscnt 0x0
	v_mul_f32_e32 v86, v86, v87
	scratch_store_b32 off, v86, off offset:144
.LBB40_36:
	s_wait_xcnt 0x0
	s_or_b32 exec_lo, exec_lo, s2
	scratch_load_b32 v86, off, off offset:140
	v_cmp_lt_u32_e64 s2, 35, v0
	s_wait_loadcnt 0x0
	ds_store_b32 v1, v86
	s_wait_storecnt_dscnt 0x0
	s_barrier_signal -1
	s_barrier_wait -1
	s_wait_xcnt 0x0
	s_and_saveexec_b32 s0, s2
	s_cbranch_execz .LBB40_46
; %bb.37:
	s_and_not1_b32 vcc_lo, exec_lo, s3
	s_cbranch_vccnz .LBB40_39
; %bb.38:
	scratch_load_b32 v86, v7, off
	ds_load_b32 v87, v1
	s_wait_loadcnt_dscnt 0x0
	v_mul_f32_e32 v86, v86, v87
	s_cbranch_execz .LBB40_40
	s_branch .LBB40_41
.LBB40_39:
                                        ; implicit-def: $vgpr86
.LBB40_40:
	ds_load_b32 v86, v1
.LBB40_41:
	s_and_saveexec_b32 s15, s1
	s_cbranch_execz .LBB40_45
; %bb.42:
	v_subrev_nc_u32_e32 v87, 36, v0
	s_movk_i32 s16, 0x140
	s_mov_b32 s1, 0
.LBB40_43:                              ; =>This Inner Loop Header: Depth=1
	scratch_load_b32 v88, off, s14
	v_dual_mov_b32 v89, s16 :: v_dual_add_nc_u32 v87, -1, v87
	s_add_co_i32 s16, s16, 4
	s_wait_xcnt 0x0
	s_add_co_i32 s14, s14, 4
	ds_load_b32 v89, v89
	v_cmp_eq_u32_e32 vcc_lo, 0, v87
	s_or_b32 s1, vcc_lo, s1
	s_wait_loadcnt_dscnt 0x0
	v_fmac_f32_e32 v86, v88, v89
	s_and_not1_b32 exec_lo, exec_lo, s1
	s_cbranch_execnz .LBB40_43
; %bb.44:
	s_or_b32 exec_lo, exec_lo, s1
.LBB40_45:
	s_delay_alu instid0(SALU_CYCLE_1)
	s_or_b32 exec_lo, exec_lo, s15
	v_mov_b32_e32 v87, 0
	ds_load_b32 v87, v87 offset:140
	s_wait_dscnt 0x0
	v_mul_f32_e32 v86, v86, v87
	scratch_store_b32 off, v86, off offset:140
.LBB40_46:
	s_wait_xcnt 0x0
	s_or_b32 exec_lo, exec_lo, s0
	scratch_load_b32 v86, off, off offset:136
	v_cmp_lt_u32_e64 s0, 34, v0
	s_wait_loadcnt 0x0
	ds_store_b32 v1, v86
	s_wait_storecnt_dscnt 0x0
	s_barrier_signal -1
	s_barrier_wait -1
	s_wait_xcnt 0x0
	s_and_saveexec_b32 s1, s0
	s_cbranch_execz .LBB40_56
; %bb.47:
	s_and_not1_b32 vcc_lo, exec_lo, s3
	s_cbranch_vccnz .LBB40_49
; %bb.48:
	scratch_load_b32 v86, v7, off
	ds_load_b32 v87, v1
	s_wait_loadcnt_dscnt 0x0
	v_mul_f32_e32 v86, v86, v87
	s_cbranch_execz .LBB40_50
	s_branch .LBB40_51
.LBB40_49:
                                        ; implicit-def: $vgpr86
.LBB40_50:
	ds_load_b32 v86, v1
.LBB40_51:
	s_and_saveexec_b32 s14, s2
	s_cbranch_execz .LBB40_55
; %bb.52:
	v_subrev_nc_u32_e32 v87, 35, v0
	s_movk_i32 s2, 0x8c
	s_movk_i32 s16, 0x13c
	s_mov_b32 s15, 0
.LBB40_53:                              ; =>This Inner Loop Header: Depth=1
	scratch_load_b32 v88, off, s2
	v_dual_mov_b32 v89, s16 :: v_dual_add_nc_u32 v87, -1, v87
	s_add_co_i32 s16, s16, 4
	s_wait_xcnt 0x0
	s_add_co_i32 s2, s2, 4
	ds_load_b32 v89, v89
	v_cmp_eq_u32_e32 vcc_lo, 0, v87
	s_or_b32 s15, vcc_lo, s15
	s_wait_loadcnt_dscnt 0x0
	v_fmac_f32_e32 v86, v88, v89
	s_and_not1_b32 exec_lo, exec_lo, s15
	s_cbranch_execnz .LBB40_53
; %bb.54:
	s_or_b32 exec_lo, exec_lo, s15
.LBB40_55:
	s_delay_alu instid0(SALU_CYCLE_1)
	s_or_b32 exec_lo, exec_lo, s14
	v_mov_b32_e32 v87, 0
	ds_load_b32 v87, v87 offset:136
	s_wait_dscnt 0x0
	v_mul_f32_e32 v86, v86, v87
	scratch_store_b32 off, v86, off offset:136
.LBB40_56:
	s_wait_xcnt 0x0
	s_or_b32 exec_lo, exec_lo, s1
	scratch_load_b32 v86, off, off offset:132
	v_cmp_lt_u32_e64 s1, 33, v0
	s_wait_loadcnt 0x0
	ds_store_b32 v1, v86
	s_wait_storecnt_dscnt 0x0
	s_barrier_signal -1
	s_barrier_wait -1
	s_wait_xcnt 0x0
	s_and_saveexec_b32 s2, s1
	s_cbranch_execz .LBB40_66
; %bb.57:
	s_and_not1_b32 vcc_lo, exec_lo, s3
	s_cbranch_vccnz .LBB40_59
; %bb.58:
	scratch_load_b32 v86, v7, off
	ds_load_b32 v87, v1
	s_wait_loadcnt_dscnt 0x0
	v_mul_f32_e32 v86, v86, v87
	s_cbranch_execz .LBB40_60
	s_branch .LBB40_61
.LBB40_59:
                                        ; implicit-def: $vgpr86
.LBB40_60:
	ds_load_b32 v86, v1
.LBB40_61:
	s_and_saveexec_b32 s14, s0
	s_cbranch_execz .LBB40_65
; %bb.62:
	v_subrev_nc_u32_e32 v87, 34, v0
	s_movk_i32 s0, 0x88
	s_movk_i32 s16, 0x138
	s_mov_b32 s15, 0
.LBB40_63:                              ; =>This Inner Loop Header: Depth=1
	scratch_load_b32 v88, off, s0
	v_dual_mov_b32 v89, s16 :: v_dual_add_nc_u32 v87, -1, v87
	s_add_co_i32 s16, s16, 4
	s_wait_xcnt 0x0
	s_add_co_i32 s0, s0, 4
	ds_load_b32 v89, v89
	v_cmp_eq_u32_e32 vcc_lo, 0, v87
	s_or_b32 s15, vcc_lo, s15
	s_wait_loadcnt_dscnt 0x0
	v_fmac_f32_e32 v86, v88, v89
	s_and_not1_b32 exec_lo, exec_lo, s15
	s_cbranch_execnz .LBB40_63
; %bb.64:
	s_or_b32 exec_lo, exec_lo, s15
.LBB40_65:
	s_delay_alu instid0(SALU_CYCLE_1)
	s_or_b32 exec_lo, exec_lo, s14
	v_mov_b32_e32 v87, 0
	ds_load_b32 v87, v87 offset:132
	s_wait_dscnt 0x0
	v_mul_f32_e32 v86, v86, v87
	scratch_store_b32 off, v86, off offset:132
.LBB40_66:
	;; [unrolled: 58-line block ×3, first 2 shown]
	s_wait_xcnt 0x0
	s_or_b32 exec_lo, exec_lo, s2
	scratch_load_b32 v86, off, off offset:124
	v_cmp_lt_u32_e64 s1, 31, v0
	s_wait_loadcnt 0x0
	ds_store_b32 v1, v86
	s_wait_storecnt_dscnt 0x0
	s_barrier_signal -1
	s_barrier_wait -1
	s_wait_xcnt 0x0
	s_and_saveexec_b32 s2, s1
	s_cbranch_execz .LBB40_86
; %bb.77:
	s_and_not1_b32 vcc_lo, exec_lo, s3
	s_cbranch_vccnz .LBB40_79
; %bb.78:
	scratch_load_b32 v86, v7, off
	ds_load_b32 v87, v1
	s_wait_loadcnt_dscnt 0x0
	v_mul_f32_e32 v86, v86, v87
	s_cbranch_execz .LBB40_80
	s_branch .LBB40_81
.LBB40_79:
                                        ; implicit-def: $vgpr86
.LBB40_80:
	ds_load_b32 v86, v1
.LBB40_81:
	s_and_saveexec_b32 s14, s0
	s_cbranch_execz .LBB40_85
; %bb.82:
	v_subrev_nc_u32_e32 v87, 32, v0
	s_movk_i32 s15, 0x130
	s_mov_b32 s0, 0
.LBB40_83:                              ; =>This Inner Loop Header: Depth=1
	scratch_load_b32 v88, off, s13
	v_dual_mov_b32 v89, s15 :: v_dual_add_nc_u32 v87, -1, v87
	s_add_co_i32 s15, s15, 4
	s_wait_xcnt 0x0
	s_add_co_i32 s13, s13, 4
	ds_load_b32 v89, v89
	v_cmp_eq_u32_e32 vcc_lo, 0, v87
	s_or_b32 s0, vcc_lo, s0
	s_wait_loadcnt_dscnt 0x0
	v_fmac_f32_e32 v86, v88, v89
	s_and_not1_b32 exec_lo, exec_lo, s0
	s_cbranch_execnz .LBB40_83
; %bb.84:
	s_or_b32 exec_lo, exec_lo, s0
.LBB40_85:
	s_delay_alu instid0(SALU_CYCLE_1)
	s_or_b32 exec_lo, exec_lo, s14
	v_mov_b32_e32 v87, 0
	ds_load_b32 v87, v87 offset:124
	s_wait_dscnt 0x0
	v_mul_f32_e32 v86, v86, v87
	scratch_store_b32 off, v86, off offset:124
.LBB40_86:
	s_wait_xcnt 0x0
	s_or_b32 exec_lo, exec_lo, s2
	scratch_load_b32 v86, off, off offset:120
	v_cmp_lt_u32_e64 s0, 30, v0
	s_wait_loadcnt 0x0
	ds_store_b32 v1, v86
	s_wait_storecnt_dscnt 0x0
	s_barrier_signal -1
	s_barrier_wait -1
	s_wait_xcnt 0x0
	s_and_saveexec_b32 s2, s0
	s_cbranch_execz .LBB40_96
; %bb.87:
	s_and_not1_b32 vcc_lo, exec_lo, s3
	s_cbranch_vccnz .LBB40_89
; %bb.88:
	scratch_load_b32 v86, v7, off
	ds_load_b32 v87, v1
	s_wait_loadcnt_dscnt 0x0
	v_mul_f32_e32 v86, v86, v87
	s_cbranch_execz .LBB40_90
	s_branch .LBB40_91
.LBB40_89:
                                        ; implicit-def: $vgpr86
.LBB40_90:
	ds_load_b32 v86, v1
.LBB40_91:
	s_and_saveexec_b32 s13, s1
	s_cbranch_execz .LBB40_95
; %bb.92:
	v_subrev_nc_u32_e32 v87, 31, v0
	s_movk_i32 s1, 0x7c
	s_movk_i32 s15, 0x12c
	s_mov_b32 s14, 0
.LBB40_93:                              ; =>This Inner Loop Header: Depth=1
	scratch_load_b32 v88, off, s1
	v_dual_mov_b32 v89, s15 :: v_dual_add_nc_u32 v87, -1, v87
	s_add_co_i32 s15, s15, 4
	s_wait_xcnt 0x0
	s_add_co_i32 s1, s1, 4
	ds_load_b32 v89, v89
	v_cmp_eq_u32_e32 vcc_lo, 0, v87
	s_or_b32 s14, vcc_lo, s14
	s_wait_loadcnt_dscnt 0x0
	v_fmac_f32_e32 v86, v88, v89
	s_and_not1_b32 exec_lo, exec_lo, s14
	s_cbranch_execnz .LBB40_93
; %bb.94:
	s_or_b32 exec_lo, exec_lo, s14
.LBB40_95:
	s_delay_alu instid0(SALU_CYCLE_1)
	s_or_b32 exec_lo, exec_lo, s13
	v_mov_b32_e32 v87, 0
	ds_load_b32 v87, v87 offset:120
	s_wait_dscnt 0x0
	v_mul_f32_e32 v86, v86, v87
	scratch_store_b32 off, v86, off offset:120
.LBB40_96:
	s_wait_xcnt 0x0
	s_or_b32 exec_lo, exec_lo, s2
	scratch_load_b32 v86, off, off offset:116
	v_cmp_lt_u32_e64 s1, 29, v0
	s_wait_loadcnt 0x0
	ds_store_b32 v1, v86
	s_wait_storecnt_dscnt 0x0
	s_barrier_signal -1
	s_barrier_wait -1
	s_wait_xcnt 0x0
	s_and_saveexec_b32 s2, s1
	s_cbranch_execz .LBB40_106
; %bb.97:
	s_and_not1_b32 vcc_lo, exec_lo, s3
	s_cbranch_vccnz .LBB40_99
; %bb.98:
	scratch_load_b32 v86, v7, off
	ds_load_b32 v87, v1
	s_wait_loadcnt_dscnt 0x0
	v_mul_f32_e32 v86, v86, v87
	s_cbranch_execz .LBB40_100
	s_branch .LBB40_101
.LBB40_99:
                                        ; implicit-def: $vgpr86
.LBB40_100:
	ds_load_b32 v86, v1
.LBB40_101:
	s_and_saveexec_b32 s13, s0
	s_cbranch_execz .LBB40_105
; %bb.102:
	v_subrev_nc_u32_e32 v87, 30, v0
	s_movk_i32 s0, 0x78
	s_movk_i32 s15, 0x128
	s_mov_b32 s14, 0
.LBB40_103:                             ; =>This Inner Loop Header: Depth=1
	scratch_load_b32 v88, off, s0
	v_dual_mov_b32 v89, s15 :: v_dual_add_nc_u32 v87, -1, v87
	s_add_co_i32 s15, s15, 4
	s_wait_xcnt 0x0
	s_add_co_i32 s0, s0, 4
	ds_load_b32 v89, v89
	v_cmp_eq_u32_e32 vcc_lo, 0, v87
	s_or_b32 s14, vcc_lo, s14
	s_wait_loadcnt_dscnt 0x0
	v_fmac_f32_e32 v86, v88, v89
	s_and_not1_b32 exec_lo, exec_lo, s14
	s_cbranch_execnz .LBB40_103
; %bb.104:
	s_or_b32 exec_lo, exec_lo, s14
.LBB40_105:
	s_delay_alu instid0(SALU_CYCLE_1)
	s_or_b32 exec_lo, exec_lo, s13
	v_mov_b32_e32 v87, 0
	ds_load_b32 v87, v87 offset:116
	s_wait_dscnt 0x0
	v_mul_f32_e32 v86, v86, v87
	scratch_store_b32 off, v86, off offset:116
.LBB40_106:
	s_wait_xcnt 0x0
	s_or_b32 exec_lo, exec_lo, s2
	scratch_load_b32 v86, off, off offset:112
	v_cmp_lt_u32_e64 s0, 28, v0
	s_wait_loadcnt 0x0
	ds_store_b32 v1, v86
	s_wait_storecnt_dscnt 0x0
	s_barrier_signal -1
	s_barrier_wait -1
	s_wait_xcnt 0x0
	s_and_saveexec_b32 s2, s0
	s_cbranch_execz .LBB40_116
; %bb.107:
	s_and_not1_b32 vcc_lo, exec_lo, s3
	s_cbranch_vccnz .LBB40_109
; %bb.108:
	scratch_load_b32 v86, v7, off
	ds_load_b32 v87, v1
	s_wait_loadcnt_dscnt 0x0
	v_mul_f32_e32 v86, v86, v87
	s_cbranch_execz .LBB40_110
	s_branch .LBB40_111
.LBB40_109:
                                        ; implicit-def: $vgpr86
.LBB40_110:
	ds_load_b32 v86, v1
.LBB40_111:
	s_and_saveexec_b32 s13, s1
	s_cbranch_execz .LBB40_115
; %bb.112:
	v_subrev_nc_u32_e32 v87, 29, v0
	s_movk_i32 s1, 0x74
	s_movk_i32 s15, 0x124
	s_mov_b32 s14, 0
.LBB40_113:                             ; =>This Inner Loop Header: Depth=1
	scratch_load_b32 v88, off, s1
	v_dual_mov_b32 v89, s15 :: v_dual_add_nc_u32 v87, -1, v87
	s_add_co_i32 s15, s15, 4
	s_wait_xcnt 0x0
	s_add_co_i32 s1, s1, 4
	ds_load_b32 v89, v89
	v_cmp_eq_u32_e32 vcc_lo, 0, v87
	s_or_b32 s14, vcc_lo, s14
	s_wait_loadcnt_dscnt 0x0
	v_fmac_f32_e32 v86, v88, v89
	s_and_not1_b32 exec_lo, exec_lo, s14
	s_cbranch_execnz .LBB40_113
; %bb.114:
	s_or_b32 exec_lo, exec_lo, s14
.LBB40_115:
	s_delay_alu instid0(SALU_CYCLE_1)
	s_or_b32 exec_lo, exec_lo, s13
	v_mov_b32_e32 v87, 0
	ds_load_b32 v87, v87 offset:112
	s_wait_dscnt 0x0
	v_mul_f32_e32 v86, v86, v87
	scratch_store_b32 off, v86, off offset:112
.LBB40_116:
	s_wait_xcnt 0x0
	s_or_b32 exec_lo, exec_lo, s2
	scratch_load_b32 v86, off, off offset:108
	v_cmp_lt_u32_e64 s1, 27, v0
	s_wait_loadcnt 0x0
	ds_store_b32 v1, v86
	s_wait_storecnt_dscnt 0x0
	s_barrier_signal -1
	s_barrier_wait -1
	s_wait_xcnt 0x0
	s_and_saveexec_b32 s2, s1
	s_cbranch_execz .LBB40_126
; %bb.117:
	s_and_not1_b32 vcc_lo, exec_lo, s3
	s_cbranch_vccnz .LBB40_119
; %bb.118:
	scratch_load_b32 v86, v7, off
	ds_load_b32 v87, v1
	s_wait_loadcnt_dscnt 0x0
	v_mul_f32_e32 v86, v86, v87
	s_cbranch_execz .LBB40_120
	s_branch .LBB40_121
.LBB40_119:
                                        ; implicit-def: $vgpr86
.LBB40_120:
	ds_load_b32 v86, v1
.LBB40_121:
	s_and_saveexec_b32 s13, s0
	s_cbranch_execz .LBB40_125
; %bb.122:
	v_subrev_nc_u32_e32 v87, 28, v0
	s_movk_i32 s14, 0x120
	s_mov_b32 s0, 0
.LBB40_123:                             ; =>This Inner Loop Header: Depth=1
	scratch_load_b32 v88, off, s12
	v_dual_mov_b32 v89, s14 :: v_dual_add_nc_u32 v87, -1, v87
	s_add_co_i32 s14, s14, 4
	s_wait_xcnt 0x0
	s_add_co_i32 s12, s12, 4
	ds_load_b32 v89, v89
	v_cmp_eq_u32_e32 vcc_lo, 0, v87
	s_or_b32 s0, vcc_lo, s0
	s_wait_loadcnt_dscnt 0x0
	v_fmac_f32_e32 v86, v88, v89
	s_and_not1_b32 exec_lo, exec_lo, s0
	s_cbranch_execnz .LBB40_123
; %bb.124:
	s_or_b32 exec_lo, exec_lo, s0
.LBB40_125:
	s_delay_alu instid0(SALU_CYCLE_1)
	s_or_b32 exec_lo, exec_lo, s13
	v_mov_b32_e32 v87, 0
	ds_load_b32 v87, v87 offset:108
	s_wait_dscnt 0x0
	v_mul_f32_e32 v86, v86, v87
	scratch_store_b32 off, v86, off offset:108
.LBB40_126:
	s_wait_xcnt 0x0
	s_or_b32 exec_lo, exec_lo, s2
	scratch_load_b32 v86, off, off offset:104
	v_cmp_lt_u32_e64 s0, 26, v0
	s_wait_loadcnt 0x0
	ds_store_b32 v1, v86
	s_wait_storecnt_dscnt 0x0
	s_barrier_signal -1
	s_barrier_wait -1
	s_wait_xcnt 0x0
	s_and_saveexec_b32 s2, s0
	s_cbranch_execz .LBB40_136
; %bb.127:
	s_and_not1_b32 vcc_lo, exec_lo, s3
	s_cbranch_vccnz .LBB40_129
; %bb.128:
	scratch_load_b32 v86, v7, off
	ds_load_b32 v87, v1
	s_wait_loadcnt_dscnt 0x0
	v_mul_f32_e32 v86, v86, v87
	s_cbranch_execz .LBB40_130
	s_branch .LBB40_131
.LBB40_129:
                                        ; implicit-def: $vgpr86
.LBB40_130:
	ds_load_b32 v86, v1
.LBB40_131:
	s_and_saveexec_b32 s12, s1
	s_cbranch_execz .LBB40_135
; %bb.132:
	v_subrev_nc_u32_e32 v87, 27, v0
	s_movk_i32 s1, 0x6c
	s_movk_i32 s14, 0x11c
	s_mov_b32 s13, 0
.LBB40_133:                             ; =>This Inner Loop Header: Depth=1
	scratch_load_b32 v88, off, s1
	v_dual_mov_b32 v89, s14 :: v_dual_add_nc_u32 v87, -1, v87
	s_add_co_i32 s14, s14, 4
	s_wait_xcnt 0x0
	s_add_co_i32 s1, s1, 4
	ds_load_b32 v89, v89
	v_cmp_eq_u32_e32 vcc_lo, 0, v87
	s_or_b32 s13, vcc_lo, s13
	s_wait_loadcnt_dscnt 0x0
	v_fmac_f32_e32 v86, v88, v89
	s_and_not1_b32 exec_lo, exec_lo, s13
	s_cbranch_execnz .LBB40_133
; %bb.134:
	s_or_b32 exec_lo, exec_lo, s13
.LBB40_135:
	s_delay_alu instid0(SALU_CYCLE_1)
	s_or_b32 exec_lo, exec_lo, s12
	v_mov_b32_e32 v87, 0
	ds_load_b32 v87, v87 offset:104
	s_wait_dscnt 0x0
	v_mul_f32_e32 v86, v86, v87
	scratch_store_b32 off, v86, off offset:104
.LBB40_136:
	s_wait_xcnt 0x0
	s_or_b32 exec_lo, exec_lo, s2
	scratch_load_b32 v86, off, off offset:100
	v_cmp_lt_u32_e64 s1, 25, v0
	s_wait_loadcnt 0x0
	ds_store_b32 v1, v86
	s_wait_storecnt_dscnt 0x0
	s_barrier_signal -1
	s_barrier_wait -1
	s_wait_xcnt 0x0
	s_and_saveexec_b32 s2, s1
	s_cbranch_execz .LBB40_146
; %bb.137:
	s_and_not1_b32 vcc_lo, exec_lo, s3
	s_cbranch_vccnz .LBB40_139
; %bb.138:
	scratch_load_b32 v86, v7, off
	ds_load_b32 v87, v1
	s_wait_loadcnt_dscnt 0x0
	v_mul_f32_e32 v86, v86, v87
	s_cbranch_execz .LBB40_140
	s_branch .LBB40_141
.LBB40_139:
                                        ; implicit-def: $vgpr86
.LBB40_140:
	ds_load_b32 v86, v1
.LBB40_141:
	s_and_saveexec_b32 s12, s0
	s_cbranch_execz .LBB40_145
; %bb.142:
	v_subrev_nc_u32_e32 v87, 26, v0
	s_movk_i32 s0, 0x68
	s_movk_i32 s14, 0x118
	s_mov_b32 s13, 0
.LBB40_143:                             ; =>This Inner Loop Header: Depth=1
	scratch_load_b32 v88, off, s0
	v_dual_mov_b32 v89, s14 :: v_dual_add_nc_u32 v87, -1, v87
	s_add_co_i32 s14, s14, 4
	s_wait_xcnt 0x0
	s_add_co_i32 s0, s0, 4
	ds_load_b32 v89, v89
	v_cmp_eq_u32_e32 vcc_lo, 0, v87
	s_or_b32 s13, vcc_lo, s13
	s_wait_loadcnt_dscnt 0x0
	v_fmac_f32_e32 v86, v88, v89
	s_and_not1_b32 exec_lo, exec_lo, s13
	s_cbranch_execnz .LBB40_143
; %bb.144:
	s_or_b32 exec_lo, exec_lo, s13
.LBB40_145:
	s_delay_alu instid0(SALU_CYCLE_1)
	s_or_b32 exec_lo, exec_lo, s12
	v_mov_b32_e32 v87, 0
	ds_load_b32 v87, v87 offset:100
	s_wait_dscnt 0x0
	v_mul_f32_e32 v86, v86, v87
	scratch_store_b32 off, v86, off offset:100
.LBB40_146:
	;; [unrolled: 58-line block ×3, first 2 shown]
	s_wait_xcnt 0x0
	s_or_b32 exec_lo, exec_lo, s2
	scratch_load_b32 v86, off, off offset:92
	v_cmp_lt_u32_e64 s1, 23, v0
	s_wait_loadcnt 0x0
	ds_store_b32 v1, v86
	s_wait_storecnt_dscnt 0x0
	s_barrier_signal -1
	s_barrier_wait -1
	s_wait_xcnt 0x0
	s_and_saveexec_b32 s2, s1
	s_cbranch_execz .LBB40_166
; %bb.157:
	s_and_not1_b32 vcc_lo, exec_lo, s3
	s_cbranch_vccnz .LBB40_159
; %bb.158:
	scratch_load_b32 v86, v7, off
	ds_load_b32 v87, v1
	s_wait_loadcnt_dscnt 0x0
	v_mul_f32_e32 v86, v86, v87
	s_cbranch_execz .LBB40_160
	s_branch .LBB40_161
.LBB40_159:
                                        ; implicit-def: $vgpr86
.LBB40_160:
	ds_load_b32 v86, v1
.LBB40_161:
	s_and_saveexec_b32 s12, s0
	s_cbranch_execz .LBB40_165
; %bb.162:
	v_subrev_nc_u32_e32 v87, 24, v0
	s_movk_i32 s13, 0x110
	s_mov_b32 s0, 0
.LBB40_163:                             ; =>This Inner Loop Header: Depth=1
	scratch_load_b32 v88, off, s11
	v_dual_mov_b32 v89, s13 :: v_dual_add_nc_u32 v87, -1, v87
	s_add_co_i32 s13, s13, 4
	s_wait_xcnt 0x0
	s_add_co_i32 s11, s11, 4
	ds_load_b32 v89, v89
	v_cmp_eq_u32_e32 vcc_lo, 0, v87
	s_or_b32 s0, vcc_lo, s0
	s_wait_loadcnt_dscnt 0x0
	v_fmac_f32_e32 v86, v88, v89
	s_and_not1_b32 exec_lo, exec_lo, s0
	s_cbranch_execnz .LBB40_163
; %bb.164:
	s_or_b32 exec_lo, exec_lo, s0
.LBB40_165:
	s_delay_alu instid0(SALU_CYCLE_1)
	s_or_b32 exec_lo, exec_lo, s12
	v_mov_b32_e32 v87, 0
	ds_load_b32 v87, v87 offset:92
	s_wait_dscnt 0x0
	v_mul_f32_e32 v86, v86, v87
	scratch_store_b32 off, v86, off offset:92
.LBB40_166:
	s_wait_xcnt 0x0
	s_or_b32 exec_lo, exec_lo, s2
	scratch_load_b32 v86, off, off offset:88
	v_cmp_lt_u32_e64 s0, 22, v0
	s_wait_loadcnt 0x0
	ds_store_b32 v1, v86
	s_wait_storecnt_dscnt 0x0
	s_barrier_signal -1
	s_barrier_wait -1
	s_wait_xcnt 0x0
	s_and_saveexec_b32 s2, s0
	s_cbranch_execz .LBB40_176
; %bb.167:
	s_and_not1_b32 vcc_lo, exec_lo, s3
	s_cbranch_vccnz .LBB40_169
; %bb.168:
	scratch_load_b32 v86, v7, off
	ds_load_b32 v87, v1
	s_wait_loadcnt_dscnt 0x0
	v_mul_f32_e32 v86, v86, v87
	s_cbranch_execz .LBB40_170
	s_branch .LBB40_171
.LBB40_169:
                                        ; implicit-def: $vgpr86
.LBB40_170:
	ds_load_b32 v86, v1
.LBB40_171:
	s_and_saveexec_b32 s11, s1
	s_cbranch_execz .LBB40_175
; %bb.172:
	v_subrev_nc_u32_e32 v87, 23, v0
	s_movk_i32 s1, 0x5c
	s_movk_i32 s13, 0x10c
	s_mov_b32 s12, 0
.LBB40_173:                             ; =>This Inner Loop Header: Depth=1
	scratch_load_b32 v88, off, s1
	v_dual_mov_b32 v89, s13 :: v_dual_add_nc_u32 v87, -1, v87
	s_add_co_i32 s13, s13, 4
	s_wait_xcnt 0x0
	s_add_co_i32 s1, s1, 4
	ds_load_b32 v89, v89
	v_cmp_eq_u32_e32 vcc_lo, 0, v87
	s_or_b32 s12, vcc_lo, s12
	s_wait_loadcnt_dscnt 0x0
	v_fmac_f32_e32 v86, v88, v89
	s_and_not1_b32 exec_lo, exec_lo, s12
	s_cbranch_execnz .LBB40_173
; %bb.174:
	s_or_b32 exec_lo, exec_lo, s12
.LBB40_175:
	s_delay_alu instid0(SALU_CYCLE_1)
	s_or_b32 exec_lo, exec_lo, s11
	v_mov_b32_e32 v87, 0
	ds_load_b32 v87, v87 offset:88
	s_wait_dscnt 0x0
	v_mul_f32_e32 v86, v86, v87
	scratch_store_b32 off, v86, off offset:88
.LBB40_176:
	s_wait_xcnt 0x0
	s_or_b32 exec_lo, exec_lo, s2
	scratch_load_b32 v86, off, off offset:84
	v_cmp_lt_u32_e64 s1, 21, v0
	s_wait_loadcnt 0x0
	ds_store_b32 v1, v86
	s_wait_storecnt_dscnt 0x0
	s_barrier_signal -1
	s_barrier_wait -1
	s_wait_xcnt 0x0
	s_and_saveexec_b32 s2, s1
	s_cbranch_execz .LBB40_186
; %bb.177:
	s_and_not1_b32 vcc_lo, exec_lo, s3
	s_cbranch_vccnz .LBB40_179
; %bb.178:
	scratch_load_b32 v86, v7, off
	ds_load_b32 v87, v1
	s_wait_loadcnt_dscnt 0x0
	v_mul_f32_e32 v86, v86, v87
	s_cbranch_execz .LBB40_180
	s_branch .LBB40_181
.LBB40_179:
                                        ; implicit-def: $vgpr86
.LBB40_180:
	ds_load_b32 v86, v1
.LBB40_181:
	s_and_saveexec_b32 s11, s0
	s_cbranch_execz .LBB40_185
; %bb.182:
	v_subrev_nc_u32_e32 v87, 22, v0
	s_movk_i32 s0, 0x58
	s_movk_i32 s13, 0x108
	s_mov_b32 s12, 0
.LBB40_183:                             ; =>This Inner Loop Header: Depth=1
	scratch_load_b32 v88, off, s0
	v_dual_mov_b32 v89, s13 :: v_dual_add_nc_u32 v87, -1, v87
	s_add_co_i32 s13, s13, 4
	s_wait_xcnt 0x0
	s_add_co_i32 s0, s0, 4
	ds_load_b32 v89, v89
	v_cmp_eq_u32_e32 vcc_lo, 0, v87
	s_or_b32 s12, vcc_lo, s12
	s_wait_loadcnt_dscnt 0x0
	v_fmac_f32_e32 v86, v88, v89
	s_and_not1_b32 exec_lo, exec_lo, s12
	s_cbranch_execnz .LBB40_183
; %bb.184:
	s_or_b32 exec_lo, exec_lo, s12
.LBB40_185:
	s_delay_alu instid0(SALU_CYCLE_1)
	s_or_b32 exec_lo, exec_lo, s11
	v_mov_b32_e32 v87, 0
	ds_load_b32 v87, v87 offset:84
	s_wait_dscnt 0x0
	v_mul_f32_e32 v86, v86, v87
	scratch_store_b32 off, v86, off offset:84
.LBB40_186:
	;; [unrolled: 58-line block ×3, first 2 shown]
	s_wait_xcnt 0x0
	s_or_b32 exec_lo, exec_lo, s2
	scratch_load_b32 v86, off, off offset:76
	v_cmp_lt_u32_e64 s1, 19, v0
	s_wait_loadcnt 0x0
	ds_store_b32 v1, v86
	s_wait_storecnt_dscnt 0x0
	s_barrier_signal -1
	s_barrier_wait -1
	s_wait_xcnt 0x0
	s_and_saveexec_b32 s2, s1
	s_cbranch_execz .LBB40_206
; %bb.197:
	s_and_not1_b32 vcc_lo, exec_lo, s3
	s_cbranch_vccnz .LBB40_199
; %bb.198:
	scratch_load_b32 v86, v7, off
	ds_load_b32 v87, v1
	s_wait_loadcnt_dscnt 0x0
	v_mul_f32_e32 v86, v86, v87
	s_cbranch_execz .LBB40_200
	s_branch .LBB40_201
.LBB40_199:
                                        ; implicit-def: $vgpr86
.LBB40_200:
	ds_load_b32 v86, v1
.LBB40_201:
	s_and_saveexec_b32 s11, s0
	s_cbranch_execz .LBB40_205
; %bb.202:
	v_subrev_nc_u32_e32 v87, 20, v0
	s_movk_i32 s12, 0x100
	s_mov_b32 s0, 0
.LBB40_203:                             ; =>This Inner Loop Header: Depth=1
	scratch_load_b32 v88, off, s10
	v_dual_mov_b32 v89, s12 :: v_dual_add_nc_u32 v87, -1, v87
	s_add_co_i32 s12, s12, 4
	s_wait_xcnt 0x0
	s_add_co_i32 s10, s10, 4
	ds_load_b32 v89, v89
	v_cmp_eq_u32_e32 vcc_lo, 0, v87
	s_or_b32 s0, vcc_lo, s0
	s_wait_loadcnt_dscnt 0x0
	v_fmac_f32_e32 v86, v88, v89
	s_and_not1_b32 exec_lo, exec_lo, s0
	s_cbranch_execnz .LBB40_203
; %bb.204:
	s_or_b32 exec_lo, exec_lo, s0
.LBB40_205:
	s_delay_alu instid0(SALU_CYCLE_1)
	s_or_b32 exec_lo, exec_lo, s11
	v_mov_b32_e32 v87, 0
	ds_load_b32 v87, v87 offset:76
	s_wait_dscnt 0x0
	v_mul_f32_e32 v86, v86, v87
	scratch_store_b32 off, v86, off offset:76
.LBB40_206:
	s_wait_xcnt 0x0
	s_or_b32 exec_lo, exec_lo, s2
	scratch_load_b32 v86, off, off offset:72
	v_cmp_lt_u32_e64 s0, 18, v0
	s_wait_loadcnt 0x0
	ds_store_b32 v1, v86
	s_wait_storecnt_dscnt 0x0
	s_barrier_signal -1
	s_barrier_wait -1
	s_wait_xcnt 0x0
	s_and_saveexec_b32 s2, s0
	s_cbranch_execz .LBB40_216
; %bb.207:
	s_and_not1_b32 vcc_lo, exec_lo, s3
	s_cbranch_vccnz .LBB40_209
; %bb.208:
	scratch_load_b32 v86, v7, off
	ds_load_b32 v87, v1
	s_wait_loadcnt_dscnt 0x0
	v_mul_f32_e32 v86, v86, v87
	s_cbranch_execz .LBB40_210
	s_branch .LBB40_211
.LBB40_209:
                                        ; implicit-def: $vgpr86
.LBB40_210:
	ds_load_b32 v86, v1
.LBB40_211:
	s_and_saveexec_b32 s10, s1
	s_cbranch_execz .LBB40_215
; %bb.212:
	v_subrev_nc_u32_e32 v87, 19, v0
	s_movk_i32 s1, 0x4c
	s_movk_i32 s12, 0xfc
	s_mov_b32 s11, 0
.LBB40_213:                             ; =>This Inner Loop Header: Depth=1
	scratch_load_b32 v88, off, s1
	v_dual_mov_b32 v89, s12 :: v_dual_add_nc_u32 v87, -1, v87
	s_add_co_i32 s12, s12, 4
	s_wait_xcnt 0x0
	s_add_co_i32 s1, s1, 4
	ds_load_b32 v89, v89
	v_cmp_eq_u32_e32 vcc_lo, 0, v87
	s_or_b32 s11, vcc_lo, s11
	s_wait_loadcnt_dscnt 0x0
	v_fmac_f32_e32 v86, v88, v89
	s_and_not1_b32 exec_lo, exec_lo, s11
	s_cbranch_execnz .LBB40_213
; %bb.214:
	s_or_b32 exec_lo, exec_lo, s11
.LBB40_215:
	s_delay_alu instid0(SALU_CYCLE_1)
	s_or_b32 exec_lo, exec_lo, s10
	v_mov_b32_e32 v87, 0
	ds_load_b32 v87, v87 offset:72
	s_wait_dscnt 0x0
	v_mul_f32_e32 v86, v86, v87
	scratch_store_b32 off, v86, off offset:72
.LBB40_216:
	s_wait_xcnt 0x0
	s_or_b32 exec_lo, exec_lo, s2
	scratch_load_b32 v86, off, off offset:68
	v_cmp_lt_u32_e64 s1, 17, v0
	s_wait_loadcnt 0x0
	ds_store_b32 v1, v86
	s_wait_storecnt_dscnt 0x0
	s_barrier_signal -1
	s_barrier_wait -1
	s_wait_xcnt 0x0
	s_and_saveexec_b32 s2, s1
	s_cbranch_execz .LBB40_226
; %bb.217:
	s_and_not1_b32 vcc_lo, exec_lo, s3
	s_cbranch_vccnz .LBB40_219
; %bb.218:
	scratch_load_b32 v86, v7, off
	ds_load_b32 v87, v1
	s_wait_loadcnt_dscnt 0x0
	v_mul_f32_e32 v86, v86, v87
	s_cbranch_execz .LBB40_220
	s_branch .LBB40_221
.LBB40_219:
                                        ; implicit-def: $vgpr86
.LBB40_220:
	ds_load_b32 v86, v1
.LBB40_221:
	s_and_saveexec_b32 s10, s0
	s_cbranch_execz .LBB40_225
; %bb.222:
	v_subrev_nc_u32_e32 v87, 18, v0
	s_movk_i32 s0, 0x48
	s_movk_i32 s12, 0xf8
	s_mov_b32 s11, 0
.LBB40_223:                             ; =>This Inner Loop Header: Depth=1
	scratch_load_b32 v88, off, s0
	v_dual_mov_b32 v89, s12 :: v_dual_add_nc_u32 v87, -1, v87
	s_add_co_i32 s12, s12, 4
	s_wait_xcnt 0x0
	s_add_co_i32 s0, s0, 4
	ds_load_b32 v89, v89
	v_cmp_eq_u32_e32 vcc_lo, 0, v87
	s_or_b32 s11, vcc_lo, s11
	s_wait_loadcnt_dscnt 0x0
	v_fmac_f32_e32 v86, v88, v89
	s_and_not1_b32 exec_lo, exec_lo, s11
	s_cbranch_execnz .LBB40_223
; %bb.224:
	s_or_b32 exec_lo, exec_lo, s11
.LBB40_225:
	s_delay_alu instid0(SALU_CYCLE_1)
	s_or_b32 exec_lo, exec_lo, s10
	v_mov_b32_e32 v87, 0
	ds_load_b32 v87, v87 offset:68
	s_wait_dscnt 0x0
	v_mul_f32_e32 v86, v86, v87
	scratch_store_b32 off, v86, off offset:68
.LBB40_226:
	;; [unrolled: 58-line block ×3, first 2 shown]
	s_wait_xcnt 0x0
	s_or_b32 exec_lo, exec_lo, s2
	scratch_load_b32 v86, off, off offset:60
	v_cmp_lt_u32_e64 s1, 15, v0
	s_wait_loadcnt 0x0
	ds_store_b32 v1, v86
	s_wait_storecnt_dscnt 0x0
	s_barrier_signal -1
	s_barrier_wait -1
	s_wait_xcnt 0x0
	s_and_saveexec_b32 s2, s1
	s_cbranch_execz .LBB40_246
; %bb.237:
	s_and_not1_b32 vcc_lo, exec_lo, s3
	s_cbranch_vccnz .LBB40_239
; %bb.238:
	scratch_load_b32 v86, v7, off
	ds_load_b32 v87, v1
	s_wait_loadcnt_dscnt 0x0
	v_mul_f32_e32 v86, v86, v87
	s_cbranch_execz .LBB40_240
	s_branch .LBB40_241
.LBB40_239:
                                        ; implicit-def: $vgpr86
.LBB40_240:
	ds_load_b32 v86, v1
.LBB40_241:
	s_and_saveexec_b32 s10, s0
	s_cbranch_execz .LBB40_245
; %bb.242:
	v_add_nc_u32_e32 v87, -16, v0
	s_movk_i32 s11, 0xf0
	s_mov_b32 s0, 0
.LBB40_243:                             ; =>This Inner Loop Header: Depth=1
	scratch_load_b32 v88, off, s9
	v_dual_mov_b32 v89, s11 :: v_dual_add_nc_u32 v87, -1, v87
	s_add_co_i32 s11, s11, 4
	s_wait_xcnt 0x0
	s_add_co_i32 s9, s9, 4
	ds_load_b32 v89, v89
	v_cmp_eq_u32_e32 vcc_lo, 0, v87
	s_or_b32 s0, vcc_lo, s0
	s_wait_loadcnt_dscnt 0x0
	v_fmac_f32_e32 v86, v88, v89
	s_and_not1_b32 exec_lo, exec_lo, s0
	s_cbranch_execnz .LBB40_243
; %bb.244:
	s_or_b32 exec_lo, exec_lo, s0
.LBB40_245:
	s_delay_alu instid0(SALU_CYCLE_1)
	s_or_b32 exec_lo, exec_lo, s10
	v_mov_b32_e32 v87, 0
	ds_load_b32 v87, v87 offset:60
	s_wait_dscnt 0x0
	v_mul_f32_e32 v86, v86, v87
	scratch_store_b32 off, v86, off offset:60
.LBB40_246:
	s_wait_xcnt 0x0
	s_or_b32 exec_lo, exec_lo, s2
	scratch_load_b32 v86, off, off offset:56
	v_cmp_lt_u32_e64 s0, 14, v0
	s_wait_loadcnt 0x0
	ds_store_b32 v1, v86
	s_wait_storecnt_dscnt 0x0
	s_barrier_signal -1
	s_barrier_wait -1
	s_wait_xcnt 0x0
	s_and_saveexec_b32 s2, s0
	s_cbranch_execz .LBB40_256
; %bb.247:
	s_and_not1_b32 vcc_lo, exec_lo, s3
	s_cbranch_vccnz .LBB40_249
; %bb.248:
	scratch_load_b32 v86, v7, off
	ds_load_b32 v87, v1
	s_wait_loadcnt_dscnt 0x0
	v_mul_f32_e32 v86, v86, v87
	s_cbranch_execz .LBB40_250
	s_branch .LBB40_251
.LBB40_249:
                                        ; implicit-def: $vgpr86
.LBB40_250:
	ds_load_b32 v86, v1
.LBB40_251:
	s_and_saveexec_b32 s9, s1
	s_cbranch_execz .LBB40_255
; %bb.252:
	v_add_nc_u32_e32 v87, -15, v0
	s_mov_b32 s1, 60
	s_movk_i32 s11, 0xec
	s_mov_b32 s10, 0
.LBB40_253:                             ; =>This Inner Loop Header: Depth=1
	scratch_load_b32 v88, off, s1
	v_dual_mov_b32 v89, s11 :: v_dual_add_nc_u32 v87, -1, v87
	s_add_co_i32 s11, s11, 4
	s_wait_xcnt 0x0
	s_add_co_i32 s1, s1, 4
	ds_load_b32 v89, v89
	v_cmp_eq_u32_e32 vcc_lo, 0, v87
	s_or_b32 s10, vcc_lo, s10
	s_wait_loadcnt_dscnt 0x0
	v_fmac_f32_e32 v86, v88, v89
	s_and_not1_b32 exec_lo, exec_lo, s10
	s_cbranch_execnz .LBB40_253
; %bb.254:
	s_or_b32 exec_lo, exec_lo, s10
.LBB40_255:
	s_delay_alu instid0(SALU_CYCLE_1)
	s_or_b32 exec_lo, exec_lo, s9
	v_mov_b32_e32 v87, 0
	ds_load_b32 v87, v87 offset:56
	s_wait_dscnt 0x0
	v_mul_f32_e32 v86, v86, v87
	scratch_store_b32 off, v86, off offset:56
.LBB40_256:
	s_wait_xcnt 0x0
	s_or_b32 exec_lo, exec_lo, s2
	scratch_load_b32 v86, off, off offset:52
	v_cmp_lt_u32_e64 s1, 13, v0
	s_wait_loadcnt 0x0
	ds_store_b32 v1, v86
	s_wait_storecnt_dscnt 0x0
	s_barrier_signal -1
	s_barrier_wait -1
	s_wait_xcnt 0x0
	s_and_saveexec_b32 s2, s1
	s_cbranch_execz .LBB40_266
; %bb.257:
	s_and_not1_b32 vcc_lo, exec_lo, s3
	s_cbranch_vccnz .LBB40_259
; %bb.258:
	scratch_load_b32 v86, v7, off
	ds_load_b32 v87, v1
	s_wait_loadcnt_dscnt 0x0
	v_mul_f32_e32 v86, v86, v87
	s_cbranch_execz .LBB40_260
	s_branch .LBB40_261
.LBB40_259:
                                        ; implicit-def: $vgpr86
.LBB40_260:
	ds_load_b32 v86, v1
.LBB40_261:
	s_and_saveexec_b32 s9, s0
	s_cbranch_execz .LBB40_265
; %bb.262:
	v_add_nc_u32_e32 v87, -14, v0
	s_mov_b32 s0, 56
	s_movk_i32 s11, 0xe8
	s_mov_b32 s10, 0
.LBB40_263:                             ; =>This Inner Loop Header: Depth=1
	scratch_load_b32 v88, off, s0
	v_dual_mov_b32 v89, s11 :: v_dual_add_nc_u32 v87, -1, v87
	s_add_co_i32 s11, s11, 4
	s_wait_xcnt 0x0
	s_add_co_i32 s0, s0, 4
	ds_load_b32 v89, v89
	v_cmp_eq_u32_e32 vcc_lo, 0, v87
	s_or_b32 s10, vcc_lo, s10
	s_wait_loadcnt_dscnt 0x0
	v_fmac_f32_e32 v86, v88, v89
	s_and_not1_b32 exec_lo, exec_lo, s10
	s_cbranch_execnz .LBB40_263
; %bb.264:
	s_or_b32 exec_lo, exec_lo, s10
.LBB40_265:
	s_delay_alu instid0(SALU_CYCLE_1)
	s_or_b32 exec_lo, exec_lo, s9
	v_mov_b32_e32 v87, 0
	ds_load_b32 v87, v87 offset:52
	s_wait_dscnt 0x0
	v_mul_f32_e32 v86, v86, v87
	scratch_store_b32 off, v86, off offset:52
.LBB40_266:
	;; [unrolled: 58-line block ×3, first 2 shown]
	s_wait_xcnt 0x0
	s_or_b32 exec_lo, exec_lo, s2
	scratch_load_b32 v86, off, off offset:44
	v_cmp_lt_u32_e64 s1, 11, v0
	s_wait_loadcnt 0x0
	ds_store_b32 v1, v86
	s_wait_storecnt_dscnt 0x0
	s_barrier_signal -1
	s_barrier_wait -1
	s_wait_xcnt 0x0
	s_and_saveexec_b32 s2, s1
	s_cbranch_execz .LBB40_286
; %bb.277:
	s_and_not1_b32 vcc_lo, exec_lo, s3
	s_cbranch_vccnz .LBB40_279
; %bb.278:
	scratch_load_b32 v86, v7, off
	ds_load_b32 v87, v1
	s_wait_loadcnt_dscnt 0x0
	v_mul_f32_e32 v86, v86, v87
	s_cbranch_execz .LBB40_280
	s_branch .LBB40_281
.LBB40_279:
                                        ; implicit-def: $vgpr86
.LBB40_280:
	ds_load_b32 v86, v1
.LBB40_281:
	s_and_saveexec_b32 s9, s0
	s_cbranch_execz .LBB40_285
; %bb.282:
	v_add_nc_u32_e32 v87, -12, v0
	s_movk_i32 s10, 0xe0
	s_mov_b32 s0, 0
.LBB40_283:                             ; =>This Inner Loop Header: Depth=1
	scratch_load_b32 v88, off, s8
	v_dual_mov_b32 v89, s10 :: v_dual_add_nc_u32 v87, -1, v87
	s_add_co_i32 s10, s10, 4
	s_wait_xcnt 0x0
	s_add_co_i32 s8, s8, 4
	ds_load_b32 v89, v89
	v_cmp_eq_u32_e32 vcc_lo, 0, v87
	s_or_b32 s0, vcc_lo, s0
	s_wait_loadcnt_dscnt 0x0
	v_fmac_f32_e32 v86, v88, v89
	s_and_not1_b32 exec_lo, exec_lo, s0
	s_cbranch_execnz .LBB40_283
; %bb.284:
	s_or_b32 exec_lo, exec_lo, s0
.LBB40_285:
	s_delay_alu instid0(SALU_CYCLE_1)
	s_or_b32 exec_lo, exec_lo, s9
	v_mov_b32_e32 v87, 0
	ds_load_b32 v87, v87 offset:44
	s_wait_dscnt 0x0
	v_mul_f32_e32 v86, v86, v87
	scratch_store_b32 off, v86, off offset:44
.LBB40_286:
	s_wait_xcnt 0x0
	s_or_b32 exec_lo, exec_lo, s2
	scratch_load_b32 v86, off, off offset:40
	v_cmp_lt_u32_e64 s0, 10, v0
	s_wait_loadcnt 0x0
	ds_store_b32 v1, v86
	s_wait_storecnt_dscnt 0x0
	s_barrier_signal -1
	s_barrier_wait -1
	s_wait_xcnt 0x0
	s_and_saveexec_b32 s2, s0
	s_cbranch_execz .LBB40_296
; %bb.287:
	s_and_not1_b32 vcc_lo, exec_lo, s3
	s_cbranch_vccnz .LBB40_289
; %bb.288:
	scratch_load_b32 v86, v7, off
	ds_load_b32 v87, v1
	s_wait_loadcnt_dscnt 0x0
	v_mul_f32_e32 v86, v86, v87
	s_cbranch_execz .LBB40_290
	s_branch .LBB40_291
.LBB40_289:
                                        ; implicit-def: $vgpr86
.LBB40_290:
	ds_load_b32 v86, v1
.LBB40_291:
	s_and_saveexec_b32 s8, s1
	s_cbranch_execz .LBB40_295
; %bb.292:
	v_add_nc_u32_e32 v87, -11, v0
	s_mov_b32 s1, 44
	s_movk_i32 s10, 0xdc
	s_mov_b32 s9, 0
.LBB40_293:                             ; =>This Inner Loop Header: Depth=1
	scratch_load_b32 v88, off, s1
	v_dual_mov_b32 v89, s10 :: v_dual_add_nc_u32 v87, -1, v87
	s_add_co_i32 s10, s10, 4
	s_wait_xcnt 0x0
	s_add_co_i32 s1, s1, 4
	ds_load_b32 v89, v89
	v_cmp_eq_u32_e32 vcc_lo, 0, v87
	s_or_b32 s9, vcc_lo, s9
	s_wait_loadcnt_dscnt 0x0
	v_fmac_f32_e32 v86, v88, v89
	s_and_not1_b32 exec_lo, exec_lo, s9
	s_cbranch_execnz .LBB40_293
; %bb.294:
	s_or_b32 exec_lo, exec_lo, s9
.LBB40_295:
	s_delay_alu instid0(SALU_CYCLE_1)
	s_or_b32 exec_lo, exec_lo, s8
	v_mov_b32_e32 v87, 0
	ds_load_b32 v87, v87 offset:40
	s_wait_dscnt 0x0
	v_mul_f32_e32 v86, v86, v87
	scratch_store_b32 off, v86, off offset:40
.LBB40_296:
	s_wait_xcnt 0x0
	s_or_b32 exec_lo, exec_lo, s2
	scratch_load_b32 v86, off, off offset:36
	v_cmp_lt_u32_e64 s1, 9, v0
	s_wait_loadcnt 0x0
	ds_store_b32 v1, v86
	s_wait_storecnt_dscnt 0x0
	s_barrier_signal -1
	s_barrier_wait -1
	s_wait_xcnt 0x0
	s_and_saveexec_b32 s2, s1
	s_cbranch_execz .LBB40_306
; %bb.297:
	s_and_not1_b32 vcc_lo, exec_lo, s3
	s_cbranch_vccnz .LBB40_299
; %bb.298:
	scratch_load_b32 v86, v7, off
	ds_load_b32 v87, v1
	s_wait_loadcnt_dscnt 0x0
	v_mul_f32_e32 v86, v86, v87
	s_cbranch_execz .LBB40_300
	s_branch .LBB40_301
.LBB40_299:
                                        ; implicit-def: $vgpr86
.LBB40_300:
	ds_load_b32 v86, v1
.LBB40_301:
	s_and_saveexec_b32 s8, s0
	s_cbranch_execz .LBB40_305
; %bb.302:
	v_add_nc_u32_e32 v87, -10, v0
	s_mov_b32 s0, 40
	s_movk_i32 s10, 0xd8
	s_mov_b32 s9, 0
.LBB40_303:                             ; =>This Inner Loop Header: Depth=1
	scratch_load_b32 v88, off, s0
	v_dual_mov_b32 v89, s10 :: v_dual_add_nc_u32 v87, -1, v87
	s_add_co_i32 s10, s10, 4
	s_wait_xcnt 0x0
	s_add_co_i32 s0, s0, 4
	ds_load_b32 v89, v89
	v_cmp_eq_u32_e32 vcc_lo, 0, v87
	s_or_b32 s9, vcc_lo, s9
	s_wait_loadcnt_dscnt 0x0
	v_fmac_f32_e32 v86, v88, v89
	s_and_not1_b32 exec_lo, exec_lo, s9
	s_cbranch_execnz .LBB40_303
; %bb.304:
	s_or_b32 exec_lo, exec_lo, s9
.LBB40_305:
	s_delay_alu instid0(SALU_CYCLE_1)
	s_or_b32 exec_lo, exec_lo, s8
	v_mov_b32_e32 v87, 0
	ds_load_b32 v87, v87 offset:36
	s_wait_dscnt 0x0
	v_mul_f32_e32 v86, v86, v87
	scratch_store_b32 off, v86, off offset:36
.LBB40_306:
	;; [unrolled: 58-line block ×3, first 2 shown]
	s_wait_xcnt 0x0
	s_or_b32 exec_lo, exec_lo, s2
	scratch_load_b32 v86, off, off offset:28
	v_cmp_lt_u32_e64 s1, 7, v0
	s_wait_loadcnt 0x0
	ds_store_b32 v1, v86
	s_wait_storecnt_dscnt 0x0
	s_barrier_signal -1
	s_barrier_wait -1
	s_wait_xcnt 0x0
	s_and_saveexec_b32 s2, s1
	s_cbranch_execz .LBB40_326
; %bb.317:
	s_and_not1_b32 vcc_lo, exec_lo, s3
	s_cbranch_vccnz .LBB40_319
; %bb.318:
	scratch_load_b32 v86, v7, off
	ds_load_b32 v87, v1
	s_wait_loadcnt_dscnt 0x0
	v_mul_f32_e32 v86, v86, v87
	s_cbranch_execz .LBB40_320
	s_branch .LBB40_321
.LBB40_319:
                                        ; implicit-def: $vgpr86
.LBB40_320:
	ds_load_b32 v86, v1
.LBB40_321:
	s_and_saveexec_b32 s8, s0
	s_cbranch_execz .LBB40_325
; %bb.322:
	v_add_nc_u32_e32 v87, -8, v0
	s_movk_i32 s9, 0xd0
	s_mov_b32 s0, 0
.LBB40_323:                             ; =>This Inner Loop Header: Depth=1
	scratch_load_b32 v88, off, s5
	v_dual_mov_b32 v89, s9 :: v_dual_add_nc_u32 v87, -1, v87
	s_add_co_i32 s9, s9, 4
	s_wait_xcnt 0x0
	s_add_co_i32 s5, s5, 4
	ds_load_b32 v89, v89
	v_cmp_eq_u32_e32 vcc_lo, 0, v87
	s_or_b32 s0, vcc_lo, s0
	s_wait_loadcnt_dscnt 0x0
	v_fmac_f32_e32 v86, v88, v89
	s_and_not1_b32 exec_lo, exec_lo, s0
	s_cbranch_execnz .LBB40_323
; %bb.324:
	s_or_b32 exec_lo, exec_lo, s0
.LBB40_325:
	s_delay_alu instid0(SALU_CYCLE_1)
	s_or_b32 exec_lo, exec_lo, s8
	v_mov_b32_e32 v87, 0
	ds_load_b32 v87, v87 offset:28
	s_wait_dscnt 0x0
	v_mul_f32_e32 v86, v86, v87
	scratch_store_b32 off, v86, off offset:28
.LBB40_326:
	s_wait_xcnt 0x0
	s_or_b32 exec_lo, exec_lo, s2
	scratch_load_b32 v86, off, off offset:24
	v_cmp_lt_u32_e64 s0, 6, v0
	s_wait_loadcnt 0x0
	ds_store_b32 v1, v86
	s_wait_storecnt_dscnt 0x0
	s_barrier_signal -1
	s_barrier_wait -1
	s_wait_xcnt 0x0
	s_and_saveexec_b32 s2, s0
	s_cbranch_execz .LBB40_336
; %bb.327:
	s_and_not1_b32 vcc_lo, exec_lo, s3
	s_cbranch_vccnz .LBB40_329
; %bb.328:
	scratch_load_b32 v86, v7, off
	ds_load_b32 v87, v1
	s_wait_loadcnt_dscnt 0x0
	v_mul_f32_e32 v86, v86, v87
	s_cbranch_execz .LBB40_330
	s_branch .LBB40_331
.LBB40_329:
                                        ; implicit-def: $vgpr86
.LBB40_330:
	ds_load_b32 v86, v1
.LBB40_331:
	s_and_saveexec_b32 s5, s1
	s_cbranch_execz .LBB40_335
; %bb.332:
	v_add_nc_u32_e32 v87, -7, v0
	s_mov_b32 s1, 28
	s_movk_i32 s9, 0xcc
	s_mov_b32 s8, 0
.LBB40_333:                             ; =>This Inner Loop Header: Depth=1
	scratch_load_b32 v88, off, s1
	v_dual_mov_b32 v89, s9 :: v_dual_add_nc_u32 v87, -1, v87
	s_add_co_i32 s9, s9, 4
	s_wait_xcnt 0x0
	s_add_co_i32 s1, s1, 4
	ds_load_b32 v89, v89
	v_cmp_eq_u32_e32 vcc_lo, 0, v87
	s_or_b32 s8, vcc_lo, s8
	s_wait_loadcnt_dscnt 0x0
	v_fmac_f32_e32 v86, v88, v89
	s_and_not1_b32 exec_lo, exec_lo, s8
	s_cbranch_execnz .LBB40_333
; %bb.334:
	s_or_b32 exec_lo, exec_lo, s8
.LBB40_335:
	s_delay_alu instid0(SALU_CYCLE_1)
	s_or_b32 exec_lo, exec_lo, s5
	v_mov_b32_e32 v87, 0
	ds_load_b32 v87, v87 offset:24
	s_wait_dscnt 0x0
	v_mul_f32_e32 v86, v86, v87
	scratch_store_b32 off, v86, off offset:24
.LBB40_336:
	s_wait_xcnt 0x0
	s_or_b32 exec_lo, exec_lo, s2
	scratch_load_b32 v86, off, off offset:20
	v_cmp_lt_u32_e64 s1, 5, v0
	s_wait_loadcnt 0x0
	ds_store_b32 v1, v86
	s_wait_storecnt_dscnt 0x0
	s_barrier_signal -1
	s_barrier_wait -1
	s_wait_xcnt 0x0
	s_and_saveexec_b32 s2, s1
	s_cbranch_execz .LBB40_346
; %bb.337:
	s_and_not1_b32 vcc_lo, exec_lo, s3
	s_cbranch_vccnz .LBB40_339
; %bb.338:
	scratch_load_b32 v86, v7, off
	ds_load_b32 v87, v1
	s_wait_loadcnt_dscnt 0x0
	v_mul_f32_e32 v86, v86, v87
	s_cbranch_execz .LBB40_340
	s_branch .LBB40_341
.LBB40_339:
                                        ; implicit-def: $vgpr86
.LBB40_340:
	ds_load_b32 v86, v1
.LBB40_341:
	s_and_saveexec_b32 s5, s0
	s_cbranch_execz .LBB40_345
; %bb.342:
	v_add_nc_u32_e32 v87, -6, v0
	s_mov_b32 s0, 24
	s_movk_i32 s9, 0xc8
	s_mov_b32 s8, 0
.LBB40_343:                             ; =>This Inner Loop Header: Depth=1
	scratch_load_b32 v88, off, s0
	v_dual_mov_b32 v89, s9 :: v_dual_add_nc_u32 v87, -1, v87
	s_add_co_i32 s9, s9, 4
	s_wait_xcnt 0x0
	s_add_co_i32 s0, s0, 4
	ds_load_b32 v89, v89
	v_cmp_eq_u32_e32 vcc_lo, 0, v87
	s_or_b32 s8, vcc_lo, s8
	s_wait_loadcnt_dscnt 0x0
	v_fmac_f32_e32 v86, v88, v89
	s_and_not1_b32 exec_lo, exec_lo, s8
	s_cbranch_execnz .LBB40_343
; %bb.344:
	s_or_b32 exec_lo, exec_lo, s8
.LBB40_345:
	s_delay_alu instid0(SALU_CYCLE_1)
	s_or_b32 exec_lo, exec_lo, s5
	v_mov_b32_e32 v87, 0
	ds_load_b32 v87, v87 offset:20
	s_wait_dscnt 0x0
	v_mul_f32_e32 v86, v86, v87
	scratch_store_b32 off, v86, off offset:20
.LBB40_346:
	;; [unrolled: 58-line block ×3, first 2 shown]
	s_wait_xcnt 0x0
	s_or_b32 exec_lo, exec_lo, s2
	scratch_load_b32 v86, off, off offset:12
	v_cmp_lt_u32_e64 s2, 3, v0
	s_wait_loadcnt 0x0
	ds_store_b32 v1, v86
	s_wait_storecnt_dscnt 0x0
	s_barrier_signal -1
	s_barrier_wait -1
	s_wait_xcnt 0x0
	s_and_saveexec_b32 s1, s2
	s_cbranch_execz .LBB40_366
; %bb.357:
	s_and_not1_b32 vcc_lo, exec_lo, s3
	s_cbranch_vccnz .LBB40_359
; %bb.358:
	scratch_load_b32 v86, v7, off
	ds_load_b32 v87, v1
	s_wait_loadcnt_dscnt 0x0
	v_mul_f32_e32 v86, v86, v87
	s_cbranch_execz .LBB40_360
	s_branch .LBB40_361
.LBB40_359:
                                        ; implicit-def: $vgpr86
.LBB40_360:
	ds_load_b32 v86, v1
.LBB40_361:
	s_and_saveexec_b32 s5, s0
	s_cbranch_execz .LBB40_365
; %bb.362:
	v_add_nc_u32_e32 v87, -4, v0
	s_movk_i32 s8, 0xc0
	s_mov_b32 s0, 0
.LBB40_363:                             ; =>This Inner Loop Header: Depth=1
	scratch_load_b32 v88, off, s4
	v_dual_mov_b32 v89, s8 :: v_dual_add_nc_u32 v87, -1, v87
	s_add_co_i32 s8, s8, 4
	s_wait_xcnt 0x0
	s_add_co_i32 s4, s4, 4
	ds_load_b32 v89, v89
	v_cmp_eq_u32_e32 vcc_lo, 0, v87
	s_or_b32 s0, vcc_lo, s0
	s_wait_loadcnt_dscnt 0x0
	v_fmac_f32_e32 v86, v88, v89
	s_and_not1_b32 exec_lo, exec_lo, s0
	s_cbranch_execnz .LBB40_363
; %bb.364:
	s_or_b32 exec_lo, exec_lo, s0
.LBB40_365:
	s_delay_alu instid0(SALU_CYCLE_1)
	s_or_b32 exec_lo, exec_lo, s5
	v_mov_b32_e32 v87, 0
	ds_load_b32 v87, v87 offset:12
	s_wait_dscnt 0x0
	v_mul_f32_e32 v86, v86, v87
	scratch_store_b32 off, v86, off offset:12
.LBB40_366:
	s_wait_xcnt 0x0
	s_or_b32 exec_lo, exec_lo, s1
	scratch_load_b32 v86, off, off offset:8
	v_cmp_lt_u32_e64 s1, 2, v0
	s_wait_loadcnt 0x0
	ds_store_b32 v1, v86
	s_wait_storecnt_dscnt 0x0
	s_barrier_signal -1
	s_barrier_wait -1
	s_wait_xcnt 0x0
	s_and_saveexec_b32 s0, s1
	s_cbranch_execz .LBB40_376
; %bb.367:
	s_and_not1_b32 vcc_lo, exec_lo, s3
	s_cbranch_vccnz .LBB40_369
; %bb.368:
	scratch_load_b32 v86, v7, off
	ds_load_b32 v87, v1
	s_wait_loadcnt_dscnt 0x0
	v_mul_f32_e32 v86, v86, v87
	s_cbranch_execz .LBB40_370
	s_branch .LBB40_371
.LBB40_369:
                                        ; implicit-def: $vgpr86
.LBB40_370:
	ds_load_b32 v86, v1
.LBB40_371:
	s_and_saveexec_b32 s4, s2
	s_cbranch_execz .LBB40_375
; %bb.372:
	v_add_nc_u32_e32 v87, -3, v0
	s_or_b32 s2, 0, 12
	s_movk_i32 s8, 0xbc
	s_mov_b32 s5, 0
.LBB40_373:                             ; =>This Inner Loop Header: Depth=1
	scratch_load_b32 v88, off, s2
	v_dual_mov_b32 v89, s8 :: v_dual_add_nc_u32 v87, -1, v87
	s_add_co_i32 s8, s8, 4
	s_wait_xcnt 0x0
	s_add_co_i32 s2, s2, 4
	ds_load_b32 v89, v89
	v_cmp_eq_u32_e32 vcc_lo, 0, v87
	s_or_b32 s5, vcc_lo, s5
	s_wait_loadcnt_dscnt 0x0
	v_fmac_f32_e32 v86, v88, v89
	s_and_not1_b32 exec_lo, exec_lo, s5
	s_cbranch_execnz .LBB40_373
; %bb.374:
	s_or_b32 exec_lo, exec_lo, s5
.LBB40_375:
	s_delay_alu instid0(SALU_CYCLE_1)
	s_or_b32 exec_lo, exec_lo, s4
	v_mov_b32_e32 v87, 0
	ds_load_b32 v87, v87 offset:8
	s_wait_dscnt 0x0
	v_mul_f32_e32 v86, v86, v87
	scratch_store_b32 off, v86, off offset:8
.LBB40_376:
	s_wait_xcnt 0x0
	s_or_b32 exec_lo, exec_lo, s0
	scratch_load_b32 v86, off, off offset:4
	v_cmp_lt_u32_e64 s0, 1, v0
	s_wait_loadcnt 0x0
	ds_store_b32 v1, v86
	s_wait_storecnt_dscnt 0x0
	s_barrier_signal -1
	s_barrier_wait -1
	s_wait_xcnt 0x0
	s_and_saveexec_b32 s2, s0
	s_cbranch_execz .LBB40_386
; %bb.377:
	s_and_not1_b32 vcc_lo, exec_lo, s3
	s_cbranch_vccnz .LBB40_379
; %bb.378:
	scratch_load_b32 v86, v7, off
	ds_load_b32 v87, v1
	s_wait_loadcnt_dscnt 0x0
	v_mul_f32_e32 v86, v86, v87
	s_cbranch_execz .LBB40_380
	s_branch .LBB40_381
.LBB40_379:
                                        ; implicit-def: $vgpr86
.LBB40_380:
	ds_load_b32 v86, v1
.LBB40_381:
	s_and_saveexec_b32 s4, s1
	s_cbranch_execz .LBB40_385
; %bb.382:
	v_add_nc_u32_e32 v87, -2, v0
	s_or_b32 s1, 0, 8
	s_movk_i32 s8, 0xb8
	s_mov_b32 s5, 0
.LBB40_383:                             ; =>This Inner Loop Header: Depth=1
	scratch_load_b32 v88, off, s1
	v_dual_mov_b32 v89, s8 :: v_dual_add_nc_u32 v87, -1, v87
	s_add_co_i32 s8, s8, 4
	s_wait_xcnt 0x0
	s_add_co_i32 s1, s1, 4
	ds_load_b32 v89, v89
	v_cmp_eq_u32_e32 vcc_lo, 0, v87
	s_or_b32 s5, vcc_lo, s5
	s_wait_loadcnt_dscnt 0x0
	v_fmac_f32_e32 v86, v88, v89
	s_and_not1_b32 exec_lo, exec_lo, s5
	s_cbranch_execnz .LBB40_383
; %bb.384:
	s_or_b32 exec_lo, exec_lo, s5
.LBB40_385:
	s_delay_alu instid0(SALU_CYCLE_1)
	s_or_b32 exec_lo, exec_lo, s4
	v_mov_b32_e32 v87, 0
	ds_load_b32 v87, v87 offset:4
	s_wait_dscnt 0x0
	v_mul_f32_e32 v86, v86, v87
	scratch_store_b32 off, v86, off offset:4
.LBB40_386:
	s_wait_xcnt 0x0
	s_or_b32 exec_lo, exec_lo, s2
	scratch_load_b32 v86, off, off
	s_mov_b32 s1, 0
	s_mov_b32 s2, exec_lo
	s_wait_loadcnt 0x0
	ds_store_b32 v1, v86
	s_wait_storecnt_dscnt 0x0
	s_barrier_signal -1
	s_barrier_wait -1
	s_wait_xcnt 0x0
	v_cmpx_ne_u32_e32 0, v0
	s_cbranch_execz .LBB40_396
; %bb.387:
	s_and_not1_b32 vcc_lo, exec_lo, s3
	s_cbranch_vccnz .LBB40_389
; %bb.388:
	scratch_load_b32 v86, v7, off
	ds_load_b32 v87, v1
	s_wait_loadcnt_dscnt 0x0
	v_mul_f32_e32 v86, v86, v87
	s_cbranch_execz .LBB40_390
	s_branch .LBB40_391
.LBB40_389:
                                        ; implicit-def: $vgpr86
.LBB40_390:
	ds_load_b32 v86, v1
.LBB40_391:
	s_and_saveexec_b32 s4, s0
	s_cbranch_execz .LBB40_395
; %bb.392:
	v_add_nc_u32_e32 v87, -1, v0
	s_or_b32 s0, 0, 4
	s_movk_i32 s8, 0xb4
	s_mov_b32 s5, 0
.LBB40_393:                             ; =>This Inner Loop Header: Depth=1
	scratch_load_b32 v88, off, s0
	v_dual_mov_b32 v89, s8 :: v_dual_add_nc_u32 v87, -1, v87
	s_add_co_i32 s8, s8, 4
	s_wait_xcnt 0x0
	s_add_co_i32 s0, s0, 4
	ds_load_b32 v89, v89
	v_cmp_eq_u32_e32 vcc_lo, 0, v87
	s_or_b32 s5, vcc_lo, s5
	s_wait_loadcnt_dscnt 0x0
	v_fmac_f32_e32 v86, v88, v89
	s_and_not1_b32 exec_lo, exec_lo, s5
	s_cbranch_execnz .LBB40_393
; %bb.394:
	s_or_b32 exec_lo, exec_lo, s5
.LBB40_395:
	s_delay_alu instid0(SALU_CYCLE_1)
	s_or_b32 exec_lo, exec_lo, s4
	v_mov_b32_e32 v87, 0
	ds_load_b32 v87, v87
	s_wait_dscnt 0x0
	v_mul_f32_e32 v86, v86, v87
	scratch_store_b32 off, v86, off
.LBB40_396:
	s_wait_xcnt 0x0
	s_or_b32 exec_lo, exec_lo, s2
.LBB40_397:
	v_lshl_add_u64 v[104:105], v[8:9], 2, s[6:7]
	v_lshl_add_u64 v[102:103], v[10:11], 2, s[6:7]
	;; [unrolled: 1-line block ×39, first 2 shown]
	s_and_b32 vcc_lo, exec_lo, s1
	s_cbranch_vccz .LBB40_789
; %bb.398:
	scratch_load_b32 v66, off, off offset:4
	v_cmp_eq_u32_e64 s0, 0, v0
	s_wait_loadcnt 0x0
	ds_store_b32 v1, v66
	s_wait_storecnt_dscnt 0x0
	s_barrier_signal -1
	s_barrier_wait -1
	s_wait_xcnt 0x0
	s_and_saveexec_b32 s1, s0
	s_cbranch_execz .LBB40_404
; %bb.399:
	s_and_b32 vcc_lo, exec_lo, s3
	s_cbranch_vccz .LBB40_401
; %bb.400:
	scratch_load_b32 v66, v7, off
	ds_load_b32 v67, v1
	s_wait_loadcnt_dscnt 0x0
	v_mul_f32_e32 v66, v66, v67
	s_cbranch_execz .LBB40_402
	s_branch .LBB40_403
.LBB40_401:
                                        ; implicit-def: $vgpr66
.LBB40_402:
	ds_load_b32 v66, v1
.LBB40_403:
	v_mov_b32_e32 v67, 0
	ds_load_b32 v67, v67 offset:4
	s_wait_dscnt 0x0
	v_mul_f32_e32 v66, v66, v67
	scratch_store_b32 off, v66, off offset:4
.LBB40_404:
	s_wait_xcnt 0x0
	s_or_b32 exec_lo, exec_lo, s1
	scratch_load_b32 v67, off, off offset:8
	v_cndmask_b32_e64 v66, 0, 1, s3
	s_mov_b32 s1, exec_lo
	s_wait_loadcnt 0x0
	ds_store_b32 v1, v67
	s_wait_storecnt_dscnt 0x0
	s_barrier_signal -1
	s_barrier_wait -1
	s_wait_xcnt 0x0
	v_cmpx_gt_u32_e32 2, v0
	s_cbranch_execz .LBB40_410
; %bb.405:
	s_and_not1_b32 vcc_lo, exec_lo, s3
	s_cbranch_vccnz .LBB40_407
; %bb.406:
	scratch_load_b32 v67, v7, off
	ds_load_b32 v68, v1
	s_wait_loadcnt_dscnt 0x0
	v_mul_f32_e32 v67, v67, v68
	s_cbranch_execz .LBB40_408
	s_branch .LBB40_409
.LBB40_407:
                                        ; implicit-def: $vgpr67
.LBB40_408:
	ds_load_b32 v67, v1
.LBB40_409:
	scratch_load_b32 v70, off, off offset:4
	v_mov_b32_e32 v68, 0
	ds_load_2addr_b32 v[68:69], v68 offset0:2 offset1:45
	s_wait_loadcnt_dscnt 0x0
	v_fma_f32 v69, v70, v69, v67
	s_delay_alu instid0(VALU_DEP_1) | instskip(NEXT) | instid1(VALU_DEP_1)
	v_cndmask_b32_e64 v67, v67, v69, s0
	v_mul_f32_e32 v67, v67, v68
	scratch_store_b32 off, v67, off offset:8
.LBB40_410:
	s_wait_xcnt 0x0
	s_or_b32 exec_lo, exec_lo, s1
	scratch_load_b32 v67, off, off offset:12
	s_mov_b32 s1, exec_lo
	s_wait_loadcnt 0x0
	ds_store_b32 v1, v67
	s_wait_storecnt_dscnt 0x0
	s_barrier_signal -1
	s_barrier_wait -1
	s_wait_xcnt 0x0
	v_cmpx_gt_u32_e32 3, v0
	s_cbranch_execz .LBB40_418
; %bb.411:
	v_cmp_ne_u32_e32 vcc_lo, 1, v66
	s_cbranch_vccnz .LBB40_413
; %bb.412:
	scratch_load_b32 v67, v7, off
	ds_load_b32 v68, v1
	s_wait_loadcnt_dscnt 0x0
	v_mul_f32_e32 v67, v67, v68
	s_cbranch_execz .LBB40_414
	s_branch .LBB40_415
.LBB40_413:
                                        ; implicit-def: $vgpr67
.LBB40_414:
	ds_load_b32 v67, v1
.LBB40_415:
	s_mov_b32 s2, exec_lo
	v_cmpx_ne_u32_e32 2, v0
	s_cbranch_execz .LBB40_417
; %bb.416:
	scratch_load_b32 v68, v7, off offset:4
	scratch_load_b32 v69, off, off offset:8
	ds_load_b32 v70, v1 offset:4
	v_mov_b32_e32 v71, 0
	ds_load_b32 v71, v71 offset:184
	s_wait_loadcnt_dscnt 0x101
	v_fmac_f32_e32 v67, v68, v70
	s_wait_loadcnt_dscnt 0x0
	s_delay_alu instid0(VALU_DEP_1) | instskip(NEXT) | instid1(VALU_DEP_1)
	v_fma_f32 v68, v69, v71, v67
	v_cndmask_b32_e64 v67, v67, v68, s0
.LBB40_417:
	s_or_b32 exec_lo, exec_lo, s2
	v_mov_b32_e32 v68, 0
	ds_load_b32 v68, v68 offset:12
	s_wait_dscnt 0x0
	v_mul_f32_e32 v67, v67, v68
	scratch_store_b32 off, v67, off offset:12
.LBB40_418:
	s_wait_xcnt 0x0
	s_or_b32 exec_lo, exec_lo, s1
	scratch_load_b32 v67, off, off offset:16
	s_mov_b32 s0, exec_lo
	s_wait_loadcnt 0x0
	ds_store_b32 v1, v67
	s_wait_storecnt_dscnt 0x0
	s_barrier_signal -1
	s_barrier_wait -1
	s_wait_xcnt 0x0
	v_cmpx_gt_u32_e32 4, v0
	s_cbranch_execz .LBB40_428
; %bb.419:
	v_cmp_ne_u32_e32 vcc_lo, 1, v66
	s_cbranch_vccnz .LBB40_421
; %bb.420:
	scratch_load_b32 v67, v7, off
	ds_load_b32 v68, v1
	s_wait_loadcnt_dscnt 0x0
	v_mul_f32_e32 v67, v67, v68
	s_cbranch_execz .LBB40_422
	s_branch .LBB40_423
.LBB40_421:
                                        ; implicit-def: $vgpr67
.LBB40_422:
	ds_load_b32 v67, v1
.LBB40_423:
	s_mov_b32 s1, exec_lo
	v_cmpx_ne_u32_e32 3, v0
	s_cbranch_execz .LBB40_427
; %bb.424:
	v_add_nc_u32_e32 v68, 0xb4, v6
	v_add3_u32 v69, 0, v6, 4
	v_mov_b32_e32 v70, v0
	s_mov_b32 s2, 0
.LBB40_425:                             ; =>This Inner Loop Header: Depth=1
	scratch_load_b32 v71, v69, off
	ds_load_b32 v72, v68
	v_dual_add_nc_u32 v70, 1, v70 :: v_dual_add_nc_u32 v68, 4, v68
	s_wait_xcnt 0x0
	v_add_nc_u32_e32 v69, 4, v69
	s_delay_alu instid0(VALU_DEP_2)
	v_cmp_lt_u32_e32 vcc_lo, 2, v70
	s_or_b32 s2, vcc_lo, s2
	s_wait_loadcnt_dscnt 0x0
	v_fmac_f32_e32 v67, v71, v72
	s_and_not1_b32 exec_lo, exec_lo, s2
	s_cbranch_execnz .LBB40_425
; %bb.426:
	s_or_b32 exec_lo, exec_lo, s2
.LBB40_427:
	s_delay_alu instid0(SALU_CYCLE_1)
	s_or_b32 exec_lo, exec_lo, s1
	v_mov_b32_e32 v68, 0
	ds_load_b32 v68, v68 offset:16
	s_wait_dscnt 0x0
	v_mul_f32_e32 v67, v67, v68
	scratch_store_b32 off, v67, off offset:16
.LBB40_428:
	s_wait_xcnt 0x0
	s_or_b32 exec_lo, exec_lo, s0
	scratch_load_b32 v67, off, off offset:20
	s_mov_b32 s0, exec_lo
	s_wait_loadcnt 0x0
	ds_store_b32 v1, v67
	s_wait_storecnt_dscnt 0x0
	s_barrier_signal -1
	s_barrier_wait -1
	s_wait_xcnt 0x0
	v_cmpx_gt_u32_e32 5, v0
	s_cbranch_execz .LBB40_438
; %bb.429:
	v_cmp_ne_u32_e32 vcc_lo, 1, v66
	s_cbranch_vccnz .LBB40_431
; %bb.430:
	scratch_load_b32 v67, v7, off
	ds_load_b32 v68, v1
	s_wait_loadcnt_dscnt 0x0
	v_mul_f32_e32 v67, v67, v68
	s_cbranch_execz .LBB40_432
	s_branch .LBB40_433
.LBB40_431:
                                        ; implicit-def: $vgpr67
.LBB40_432:
	ds_load_b32 v67, v1
.LBB40_433:
	s_mov_b32 s1, exec_lo
	v_cmpx_ne_u32_e32 4, v0
	s_cbranch_execz .LBB40_437
; %bb.434:
	v_add_nc_u32_e32 v68, 0xb4, v6
	v_add3_u32 v69, 0, v6, 4
	v_mov_b32_e32 v70, v0
	s_mov_b32 s2, 0
.LBB40_435:                             ; =>This Inner Loop Header: Depth=1
	scratch_load_b32 v71, v69, off
	ds_load_b32 v72, v68
	v_dual_add_nc_u32 v70, 1, v70 :: v_dual_add_nc_u32 v68, 4, v68
	s_wait_xcnt 0x0
	v_add_nc_u32_e32 v69, 4, v69
	s_delay_alu instid0(VALU_DEP_2)
	v_cmp_lt_u32_e32 vcc_lo, 3, v70
	s_or_b32 s2, vcc_lo, s2
	s_wait_loadcnt_dscnt 0x0
	v_fmac_f32_e32 v67, v71, v72
	s_and_not1_b32 exec_lo, exec_lo, s2
	s_cbranch_execnz .LBB40_435
; %bb.436:
	s_or_b32 exec_lo, exec_lo, s2
.LBB40_437:
	s_delay_alu instid0(SALU_CYCLE_1)
	s_or_b32 exec_lo, exec_lo, s1
	v_mov_b32_e32 v68, 0
	ds_load_b32 v68, v68 offset:20
	s_wait_dscnt 0x0
	v_mul_f32_e32 v67, v67, v68
	scratch_store_b32 off, v67, off offset:20
.LBB40_438:
	;; [unrolled: 59-line block ×35, first 2 shown]
	s_wait_xcnt 0x0
	s_or_b32 exec_lo, exec_lo, s0
	scratch_load_b32 v67, off, off offset:156
	v_cmp_gt_u32_e64 s0, 39, v0
	s_wait_loadcnt 0x0
	ds_store_b32 v1, v67
	s_wait_storecnt_dscnt 0x0
	s_barrier_signal -1
	s_barrier_wait -1
	s_wait_xcnt 0x0
	s_and_saveexec_b32 s1, s0
	s_cbranch_execz .LBB40_778
; %bb.769:
	v_cmp_ne_u32_e32 vcc_lo, 1, v66
	s_cbranch_vccnz .LBB40_771
; %bb.770:
	scratch_load_b32 v67, v7, off
	ds_load_b32 v68, v1
	s_wait_loadcnt_dscnt 0x0
	v_mul_f32_e32 v67, v67, v68
	s_cbranch_execz .LBB40_772
	s_branch .LBB40_773
.LBB40_771:
                                        ; implicit-def: $vgpr67
.LBB40_772:
	ds_load_b32 v67, v1
.LBB40_773:
	s_mov_b32 s2, exec_lo
	v_cmpx_ne_u32_e32 38, v0
	s_cbranch_execz .LBB40_777
; %bb.774:
	v_add_nc_u32_e32 v68, 0xb4, v6
	v_add3_u32 v69, 0, v6, 4
	v_mov_b32_e32 v70, v0
	s_mov_b32 s3, 0
.LBB40_775:                             ; =>This Inner Loop Header: Depth=1
	scratch_load_b32 v71, v69, off
	ds_load_b32 v72, v68
	v_dual_add_nc_u32 v70, 1, v70 :: v_dual_add_nc_u32 v68, 4, v68
	s_wait_xcnt 0x0
	v_add_nc_u32_e32 v69, 4, v69
	s_delay_alu instid0(VALU_DEP_2)
	v_cmp_lt_u32_e32 vcc_lo, 37, v70
	s_or_b32 s3, vcc_lo, s3
	s_wait_loadcnt_dscnt 0x0
	v_fmac_f32_e32 v67, v71, v72
	s_and_not1_b32 exec_lo, exec_lo, s3
	s_cbranch_execnz .LBB40_775
; %bb.776:
	s_or_b32 exec_lo, exec_lo, s3
.LBB40_777:
	s_delay_alu instid0(SALU_CYCLE_1)
	s_or_b32 exec_lo, exec_lo, s2
	v_mov_b32_e32 v68, 0
	ds_load_b32 v68, v68 offset:156
	s_wait_dscnt 0x0
	v_mul_f32_e32 v67, v67, v68
	scratch_store_b32 off, v67, off offset:156
.LBB40_778:
	s_wait_xcnt 0x0
	s_or_b32 exec_lo, exec_lo, s1
	scratch_load_b32 v67, off, off offset:160
	s_mov_b32 s1, exec_lo
	s_wait_loadcnt 0x0
	ds_store_b32 v1, v67
	s_wait_storecnt_dscnt 0x0
	s_barrier_signal -1
	s_barrier_wait -1
	s_wait_xcnt 0x0
	v_cmpx_ne_u32_e32 40, v0
	s_cbranch_execz .LBB40_788
; %bb.779:
	v_cmp_ne_u32_e32 vcc_lo, 1, v66
	s_cbranch_vccnz .LBB40_781
; %bb.780:
	scratch_load_b32 v7, v7, off
	ds_load_b32 v66, v1
	s_wait_loadcnt_dscnt 0x0
	v_mul_f32_e32 v7, v7, v66
	s_cbranch_execz .LBB40_782
	s_branch .LBB40_783
.LBB40_781:
                                        ; implicit-def: $vgpr7
.LBB40_782:
	ds_load_b32 v7, v1
.LBB40_783:
	s_and_saveexec_b32 s2, s0
	s_cbranch_execz .LBB40_787
; %bb.784:
	v_add_nc_u32_e32 v1, 0xb4, v6
	v_add3_u32 v6, 0, v6, 4
	s_mov_b32 s0, 0
.LBB40_785:                             ; =>This Inner Loop Header: Depth=1
	scratch_load_b32 v66, v6, off
	ds_load_b32 v67, v1
	v_dual_add_nc_u32 v0, 1, v0 :: v_dual_add_nc_u32 v1, 4, v1
	s_wait_xcnt 0x0
	v_add_nc_u32_e32 v6, 4, v6
	s_delay_alu instid0(VALU_DEP_2)
	v_cmp_lt_u32_e32 vcc_lo, 38, v0
	s_or_b32 s0, vcc_lo, s0
	s_wait_loadcnt_dscnt 0x0
	v_fmac_f32_e32 v7, v66, v67
	s_and_not1_b32 exec_lo, exec_lo, s0
	s_cbranch_execnz .LBB40_785
; %bb.786:
	s_or_b32 exec_lo, exec_lo, s0
.LBB40_787:
	s_delay_alu instid0(SALU_CYCLE_1)
	s_or_b32 exec_lo, exec_lo, s2
	v_mov_b32_e32 v0, 0
	ds_load_b32 v0, v0 offset:160
	s_wait_dscnt 0x0
	v_mul_f32_e32 v0, v7, v0
	scratch_store_b32 off, v0, off offset:160
.LBB40_788:
	s_wait_xcnt 0x0
	s_or_b32 exec_lo, exec_lo, s1
.LBB40_789:
	s_clause 0x1
	scratch_load_b128 v[66:69], off, off
	scratch_load_b128 v[70:73], off, off offset:16
	s_wait_loadcnt 0x1
	global_store_b32 v[2:3], v66, off
	scratch_load_b128 v[0:3], off, off offset:32
	s_clause 0x1
	global_store_b32 v[4:5], v67, off
	global_store_b32 v[104:105], v68, off
	scratch_load_b128 v[4:7], off, off offset:48
	global_store_b32 v[102:103], v69, off
	s_clause 0x1
	scratch_load_b128 v[66:69], off, off offset:64
	scratch_load_b128 v[74:77], off, off offset:80
	s_wait_loadcnt 0x4
	s_clause 0x2
	global_store_b32 v[100:101], v70, off
	global_store_b32 v[96:97], v71, off
	;; [unrolled: 1-line block ×3, first 2 shown]
	scratch_load_b128 v[78:81], off, off offset:96
	global_store_b32 v[94:95], v73, off
	s_clause 0x1
	scratch_load_b128 v[70:73], off, off offset:112
	scratch_load_b128 v[82:85], off, off offset:128
	s_wait_loadcnt 0x6
	s_clause 0x2
	global_store_b32 v[92:93], v0, off
	global_store_b32 v[88:89], v1, off
	;; [unrolled: 1-line block ×3, first 2 shown]
	s_clause 0x1
	scratch_load_b128 v[88:91], off, off offset:144
	scratch_load_b32 v0, off, off offset:160
	global_store_b32 v[86:87], v3, off
	s_wait_loadcnt 0x7
	s_clause 0x3
	global_store_b32 v[8:9], v4, off
	global_store_b32 v[10:11], v5, off
	global_store_b32 v[12:13], v6, off
	global_store_b32 v[14:15], v7, off
	s_wait_loadcnt 0x6
	s_clause 0x3
	global_store_b32 v[16:17], v66, off
	global_store_b32 v[18:19], v67, off
	global_store_b32 v[20:21], v68, off
	global_store_b32 v[22:23], v69, off
	s_wait_loadcnt 0x5
	s_clause 0x3
	global_store_b32 v[24:25], v74, off
	global_store_b32 v[26:27], v75, off
	global_store_b32 v[28:29], v76, off
	global_store_b32 v[30:31], v77, off
	s_wait_loadcnt 0x4
	s_clause 0x3
	global_store_b32 v[32:33], v78, off
	global_store_b32 v[34:35], v79, off
	global_store_b32 v[36:37], v80, off
	global_store_b32 v[38:39], v81, off
	s_wait_loadcnt 0x3
	s_clause 0x3
	global_store_b32 v[40:41], v70, off
	global_store_b32 v[42:43], v71, off
	global_store_b32 v[44:45], v72, off
	global_store_b32 v[46:47], v73, off
	s_wait_loadcnt 0x2
	s_clause 0x3
	global_store_b32 v[48:49], v82, off
	global_store_b32 v[50:51], v83, off
	global_store_b32 v[52:53], v84, off
	global_store_b32 v[54:55], v85, off
	s_wait_loadcnt 0x1
	s_clause 0x3
	global_store_b32 v[56:57], v88, off
	global_store_b32 v[58:59], v89, off
	global_store_b32 v[60:61], v90, off
	global_store_b32 v[62:63], v91, off
	s_wait_loadcnt 0x0
	global_store_b32 v[64:65], v0, off
.LBB40_790:
	s_sendmsg sendmsg(MSG_DEALLOC_VGPRS)
	s_endpgm
	.section	.rodata,"a",@progbits
	.p2align	6, 0x0
	.amdhsa_kernel _ZN9rocsolver6v33100L18trti2_kernel_smallILi41EfPfEEv13rocblas_fill_17rocblas_diagonal_T1_iil
		.amdhsa_group_segment_fixed_size 340
		.amdhsa_private_segment_fixed_size 176
		.amdhsa_kernarg_size 32
		.amdhsa_user_sgpr_count 2
		.amdhsa_user_sgpr_dispatch_ptr 0
		.amdhsa_user_sgpr_queue_ptr 0
		.amdhsa_user_sgpr_kernarg_segment_ptr 1
		.amdhsa_user_sgpr_dispatch_id 0
		.amdhsa_user_sgpr_kernarg_preload_length 0
		.amdhsa_user_sgpr_kernarg_preload_offset 0
		.amdhsa_user_sgpr_private_segment_size 0
		.amdhsa_wavefront_size32 1
		.amdhsa_uses_dynamic_stack 0
		.amdhsa_enable_private_segment 1
		.amdhsa_system_sgpr_workgroup_id_x 1
		.amdhsa_system_sgpr_workgroup_id_y 0
		.amdhsa_system_sgpr_workgroup_id_z 0
		.amdhsa_system_sgpr_workgroup_info 0
		.amdhsa_system_vgpr_workitem_id 0
		.amdhsa_next_free_vgpr 106
		.amdhsa_next_free_sgpr 18
		.amdhsa_named_barrier_count 0
		.amdhsa_reserve_vcc 1
		.amdhsa_float_round_mode_32 0
		.amdhsa_float_round_mode_16_64 0
		.amdhsa_float_denorm_mode_32 3
		.amdhsa_float_denorm_mode_16_64 3
		.amdhsa_fp16_overflow 0
		.amdhsa_memory_ordered 1
		.amdhsa_forward_progress 1
		.amdhsa_inst_pref_size 178
		.amdhsa_round_robin_scheduling 0
		.amdhsa_exception_fp_ieee_invalid_op 0
		.amdhsa_exception_fp_denorm_src 0
		.amdhsa_exception_fp_ieee_div_zero 0
		.amdhsa_exception_fp_ieee_overflow 0
		.amdhsa_exception_fp_ieee_underflow 0
		.amdhsa_exception_fp_ieee_inexact 0
		.amdhsa_exception_int_div_zero 0
	.end_amdhsa_kernel
	.section	.text._ZN9rocsolver6v33100L18trti2_kernel_smallILi41EfPfEEv13rocblas_fill_17rocblas_diagonal_T1_iil,"axG",@progbits,_ZN9rocsolver6v33100L18trti2_kernel_smallILi41EfPfEEv13rocblas_fill_17rocblas_diagonal_T1_iil,comdat
.Lfunc_end40:
	.size	_ZN9rocsolver6v33100L18trti2_kernel_smallILi41EfPfEEv13rocblas_fill_17rocblas_diagonal_T1_iil, .Lfunc_end40-_ZN9rocsolver6v33100L18trti2_kernel_smallILi41EfPfEEv13rocblas_fill_17rocblas_diagonal_T1_iil
                                        ; -- End function
	.set _ZN9rocsolver6v33100L18trti2_kernel_smallILi41EfPfEEv13rocblas_fill_17rocblas_diagonal_T1_iil.num_vgpr, 106
	.set _ZN9rocsolver6v33100L18trti2_kernel_smallILi41EfPfEEv13rocblas_fill_17rocblas_diagonal_T1_iil.num_agpr, 0
	.set _ZN9rocsolver6v33100L18trti2_kernel_smallILi41EfPfEEv13rocblas_fill_17rocblas_diagonal_T1_iil.numbered_sgpr, 18
	.set _ZN9rocsolver6v33100L18trti2_kernel_smallILi41EfPfEEv13rocblas_fill_17rocblas_diagonal_T1_iil.num_named_barrier, 0
	.set _ZN9rocsolver6v33100L18trti2_kernel_smallILi41EfPfEEv13rocblas_fill_17rocblas_diagonal_T1_iil.private_seg_size, 176
	.set _ZN9rocsolver6v33100L18trti2_kernel_smallILi41EfPfEEv13rocblas_fill_17rocblas_diagonal_T1_iil.uses_vcc, 1
	.set _ZN9rocsolver6v33100L18trti2_kernel_smallILi41EfPfEEv13rocblas_fill_17rocblas_diagonal_T1_iil.uses_flat_scratch, 1
	.set _ZN9rocsolver6v33100L18trti2_kernel_smallILi41EfPfEEv13rocblas_fill_17rocblas_diagonal_T1_iil.has_dyn_sized_stack, 0
	.set _ZN9rocsolver6v33100L18trti2_kernel_smallILi41EfPfEEv13rocblas_fill_17rocblas_diagonal_T1_iil.has_recursion, 0
	.set _ZN9rocsolver6v33100L18trti2_kernel_smallILi41EfPfEEv13rocblas_fill_17rocblas_diagonal_T1_iil.has_indirect_call, 0
	.section	.AMDGPU.csdata,"",@progbits
; Kernel info:
; codeLenInByte = 22672
; TotalNumSgprs: 20
; NumVgprs: 106
; ScratchSize: 176
; MemoryBound: 0
; FloatMode: 240
; IeeeMode: 1
; LDSByteSize: 340 bytes/workgroup (compile time only)
; SGPRBlocks: 0
; VGPRBlocks: 6
; NumSGPRsForWavesPerEU: 20
; NumVGPRsForWavesPerEU: 106
; NamedBarCnt: 0
; Occupancy: 9
; WaveLimiterHint : 0
; COMPUTE_PGM_RSRC2:SCRATCH_EN: 1
; COMPUTE_PGM_RSRC2:USER_SGPR: 2
; COMPUTE_PGM_RSRC2:TRAP_HANDLER: 0
; COMPUTE_PGM_RSRC2:TGID_X_EN: 1
; COMPUTE_PGM_RSRC2:TGID_Y_EN: 0
; COMPUTE_PGM_RSRC2:TGID_Z_EN: 0
; COMPUTE_PGM_RSRC2:TIDIG_COMP_CNT: 0
	.section	.text._ZN9rocsolver6v33100L18trti2_kernel_smallILi42EfPfEEv13rocblas_fill_17rocblas_diagonal_T1_iil,"axG",@progbits,_ZN9rocsolver6v33100L18trti2_kernel_smallILi42EfPfEEv13rocblas_fill_17rocblas_diagonal_T1_iil,comdat
	.globl	_ZN9rocsolver6v33100L18trti2_kernel_smallILi42EfPfEEv13rocblas_fill_17rocblas_diagonal_T1_iil ; -- Begin function _ZN9rocsolver6v33100L18trti2_kernel_smallILi42EfPfEEv13rocblas_fill_17rocblas_diagonal_T1_iil
	.p2align	8
	.type	_ZN9rocsolver6v33100L18trti2_kernel_smallILi42EfPfEEv13rocblas_fill_17rocblas_diagonal_T1_iil,@function
_ZN9rocsolver6v33100L18trti2_kernel_smallILi42EfPfEEv13rocblas_fill_17rocblas_diagonal_T1_iil: ; @_ZN9rocsolver6v33100L18trti2_kernel_smallILi42EfPfEEv13rocblas_fill_17rocblas_diagonal_T1_iil
; %bb.0:
	s_mov_b32 s2, exec_lo
	v_cmpx_gt_u32_e32 42, v0
	s_cbranch_execz .LBB41_810
; %bb.1:
	s_load_b256 s[4:11], s[0:1], 0x0
	s_wait_xcnt 0x0
	s_bfe_u32 s0, ttmp6, 0x4000c
	s_and_b32 s1, ttmp6, 15
	s_add_co_i32 s0, s0, 1
	s_getreg_b32 s2, hwreg(HW_REG_IB_STS2, 6, 4)
	s_mul_i32 s0, ttmp9, s0
	v_dual_mov_b32 v7, 0 :: v_dual_lshlrev_b32 v6, 2, v0
	s_add_co_i32 s0, s1, s0
	s_wait_kmcnt 0x0
	v_add3_u32 v8, s9, s9, v0
	s_ashr_i32 s1, s8, 31
	s_cmp_eq_u32 s2, 0
	s_cselect_b32 s2, ttmp9, s0
	s_delay_alu instid0(VALU_DEP_1)
	v_add_nc_u32_e32 v10, s9, v8
	s_ashr_i32 s3, s2, 31
	s_mov_b32 s0, s8
	s_mul_u64 s[2:3], s[10:11], s[2:3]
	s_lshl_b64 s[0:1], s[0:1], 2
	v_add_nc_u32_e32 v12, s9, v10
	s_lshl_b64 s[2:3], s[2:3], 2
	v_ashrrev_i32_e32 v9, 31, v8
	s_add_nc_u64 s[2:3], s[6:7], s[2:3]
	s_delay_alu instid0(VALU_DEP_2)
	v_add_nc_u32_e32 v14, s9, v12
	s_add_nc_u64 s[6:7], s[2:3], s[0:1]
	s_mov_b32 s0, s9
	v_add_nc_u64_e32 v[2:3], s[6:7], v[6:7]
	s_ashr_i32 s1, s9, 31
	v_add_nc_u32_e32 v16, s9, v14
	v_ashrrev_i32_e32 v11, 31, v10
	s_cmp_lg_u32 s5, 0x84
	s_cselect_b32 s3, -1, 0
	s_delay_alu instid0(VALU_DEP_2) | instskip(SKIP_3) | instid1(VALU_DEP_3)
	v_add_nc_u32_e32 v18, s9, v16
	v_lshl_add_u64 v[4:5], s[0:1], 2, v[2:3]
	v_ashrrev_i32_e32 v13, 31, v12
	s_cmp_eq_u32 s5, 0x84
	v_add_nc_u32_e32 v20, s9, v18
	s_clause 0x7
	global_load_b32 v66, v0, s[6:7] scale_offset
	global_load_b32 v68, v8, s[6:7] scale_offset
	;; [unrolled: 1-line block ×7, first 2 shown]
	global_load_b32 v67, v[4:5], off
	v_ashrrev_i32_e32 v19, 31, v18
	v_dual_ashrrev_i32 v15, 31, v14 :: v_dual_add_nc_u32 v22, s9, v20
	s_delay_alu instid0(VALU_DEP_1) | instskip(NEXT) | instid1(VALU_DEP_1)
	v_add_nc_u32_e32 v24, s9, v22
	v_add_nc_u32_e32 v26, s9, v24
	s_delay_alu instid0(VALU_DEP_1) | instskip(NEXT) | instid1(VALU_DEP_1)
	v_dual_add_nc_u32 v28, s9, v26 :: v_dual_ashrrev_i32 v17, 31, v16
	v_dual_ashrrev_i32 v23, 31, v22 :: v_dual_add_nc_u32 v30, s9, v28
	s_delay_alu instid0(VALU_DEP_1)
	v_dual_ashrrev_i32 v25, 31, v24 :: v_dual_ashrrev_i32 v31, 31, v30
	v_add_nc_u32_e32 v32, s9, v30
	s_clause 0x3
	global_load_b32 v74, v20, s[6:7] scale_offset
	global_load_b32 v75, v22, s[6:7] scale_offset
	;; [unrolled: 1-line block ×4, first 2 shown]
	v_dual_ashrrev_i32 v21, 31, v20 :: v_dual_ashrrev_i32 v27, 31, v26
	v_add_nc_u32_e32 v34, s9, v32
	s_delay_alu instid0(VALU_DEP_1) | instskip(NEXT) | instid1(VALU_DEP_1)
	v_add_nc_u32_e32 v36, s9, v34
	v_add_nc_u32_e32 v38, s9, v36
	s_delay_alu instid0(VALU_DEP_1)
	v_add_nc_u32_e32 v40, s9, v38
	s_clause 0x3
	global_load_b32 v78, v28, s[6:7] scale_offset
	global_load_b32 v79, v30, s[6:7] scale_offset
	;; [unrolled: 1-line block ×4, first 2 shown]
	v_dual_ashrrev_i32 v29, 31, v28 :: v_dual_ashrrev_i32 v35, 31, v34
	v_add_nc_u32_e32 v42, s9, v40
	s_delay_alu instid0(VALU_DEP_1)
	v_dual_ashrrev_i32 v37, 31, v36 :: v_dual_ashrrev_i32 v43, 31, v42
	v_add_nc_u32_e32 v44, s9, v42
	s_clause 0x3
	global_load_b32 v82, v36, s[6:7] scale_offset
	global_load_b32 v83, v38, s[6:7] scale_offset
	global_load_b32 v84, v40, s[6:7] scale_offset
	global_load_b32 v85, v42, s[6:7] scale_offset
	v_dual_ashrrev_i32 v33, 31, v32 :: v_dual_ashrrev_i32 v39, 31, v38
	v_add_nc_u32_e32 v46, s9, v44
	s_delay_alu instid0(VALU_DEP_1) | instskip(NEXT) | instid1(VALU_DEP_1)
	v_add_nc_u32_e32 v48, s9, v46
	v_add_nc_u32_e32 v50, s9, v48
	s_delay_alu instid0(VALU_DEP_1) | instskip(NEXT) | instid1(VALU_DEP_1)
	v_dual_add_nc_u32 v52, s9, v50 :: v_dual_ashrrev_i32 v41, 31, v40
	v_dual_ashrrev_i32 v47, 31, v46 :: v_dual_add_nc_u32 v54, s9, v52
	s_delay_alu instid0(VALU_DEP_1)
	v_dual_ashrrev_i32 v49, 31, v48 :: v_dual_ashrrev_i32 v55, 31, v54
	v_add_nc_u32_e32 v56, s9, v54
	s_clause 0x3
	global_load_b32 v86, v44, s[6:7] scale_offset
	global_load_b32 v87, v46, s[6:7] scale_offset
	;; [unrolled: 1-line block ×4, first 2 shown]
	v_dual_ashrrev_i32 v45, 31, v44 :: v_dual_ashrrev_i32 v51, 31, v50
	v_add_nc_u32_e32 v58, s9, v56
	s_delay_alu instid0(VALU_DEP_1) | instskip(NEXT) | instid1(VALU_DEP_1)
	v_add_nc_u32_e32 v60, s9, v58
	v_add_nc_u32_e32 v62, s9, v60
	s_delay_alu instid0(VALU_DEP_1)
	v_dual_add_nc_u32 v64, s9, v62 :: v_dual_ashrrev_i32 v53, 31, v52
	v_ashrrev_i32_e32 v59, 31, v58
	s_wait_loadcnt 0x10
	scratch_store_b128 off, v[66:69], off
	s_clause 0x3
	global_load_b32 v90, v52, s[6:7] scale_offset
	global_load_b32 v91, v54, s[6:7] scale_offset
	;; [unrolled: 1-line block ×4, first 2 shown]
	s_wait_xcnt 0x4
	v_add_nc_u32_e32 v66, s9, v64
	scratch_store_b128 off, v[70:73], off offset:16
	v_dual_ashrrev_i32 v61, 31, v60 :: v_dual_ashrrev_i32 v67, 31, v66
	v_add_nc_u32_e32 v68, s9, v66
	s_clause 0x3
	global_load_b32 v94, v60, s[6:7] scale_offset
	global_load_b32 v95, v62, s[6:7] scale_offset
	;; [unrolled: 1-line block ×4, first 2 shown]
	v_dual_ashrrev_i32 v57, 31, v56 :: v_dual_ashrrev_i32 v63, 31, v62
	s_wait_xcnt 0x4
	v_add_nc_u32_e32 v70, s9, v68
	s_delay_alu instid0(VALU_DEP_1) | instskip(SKIP_4) | instid1(VALU_DEP_1)
	v_add_nc_u32_e32 v72, s9, v70
	s_wait_loadcnt 0x14
	scratch_store_b128 off, v[74:77], off offset:32
	s_wait_xcnt 0x0
	v_add_nc_u32_e32 v74, s9, v72
	v_dual_add_nc_u32 v76, s9, v74 :: v_dual_ashrrev_i32 v65, 31, v64
	v_ashrrev_i32_e32 v71, 31, v70
	s_wait_loadcnt 0x10
	scratch_store_b128 off, v[78:81], off offset:48
	s_wait_xcnt 0x0
	v_add_nc_u32_e32 v78, s9, v76
	s_delay_alu instid0(VALU_DEP_1)
	v_dual_ashrrev_i32 v73, 31, v72 :: v_dual_ashrrev_i32 v79, 31, v78
	v_dual_add_nc_u32 v80, s9, v78 :: v_dual_ashrrev_i32 v69, 31, v68
	v_ashrrev_i32_e32 v75, 31, v74
	s_wait_loadcnt 0xc
	scratch_store_b128 off, v[82:85], off offset:64
	s_wait_xcnt 0x0
	v_add_nc_u32_e32 v82, s9, v80
	s_delay_alu instid0(VALU_DEP_1)
	v_dual_ashrrev_i32 v77, 31, v76 :: v_dual_ashrrev_i32 v83, 31, v82
	s_wait_loadcnt 0x8
	scratch_store_b128 off, v[86:89], off offset:80
	s_wait_loadcnt 0x4
	scratch_store_b128 off, v[90:93], off offset:96
	s_clause 0x3
	global_load_b32 v84, v68, s[6:7] scale_offset
	global_load_b32 v85, v70, s[6:7] scale_offset
	;; [unrolled: 1-line block ×4, first 2 shown]
	s_wait_loadcnt 0x4
	scratch_store_b128 off, v[94:97], off offset:112
	s_clause 0x3
	global_load_b32 v88, v76, s[6:7] scale_offset
	global_load_b32 v89, v78, s[6:7] scale_offset
	;; [unrolled: 1-line block ×4, first 2 shown]
	s_wait_loadcnt 0x4
	scratch_store_b128 off, v[84:87], off offset:128
	s_wait_xcnt 0x0
	v_add_nc_u32_e32 v84, s9, v82
	s_delay_alu instid0(VALU_DEP_1)
	v_add_nc_u32_e32 v86, s9, v84
	v_ashrrev_i32_e32 v81, 31, v80
	s_wait_loadcnt 0x0
	scratch_store_b128 off, v[88:91], off offset:144
	s_clause 0x1
	global_load_b32 v90, v84, s[6:7] scale_offset
	global_load_b32 v91, v86, s[6:7] scale_offset
	v_dual_mov_b32 v88, -1.0 :: v_dual_ashrrev_i32 v85, 31, v84
	v_ashrrev_i32_e32 v87, 31, v86
	s_wait_loadcnt 0x0
	scratch_store_b64 off, v[90:91], off offset:160
	s_cbranch_scc1 .LBB41_3
; %bb.2:
	scratch_load_b32 v1, v0, off scale_offset
	s_wait_loadcnt 0x0
	v_div_scale_f32 v7, null, v1, v1, 1.0
	s_delay_alu instid0(VALU_DEP_1) | instskip(SKIP_1) | instid1(TRANS32_DEP_1)
	v_rcp_f32_e32 v88, v7
	v_nop
	v_fma_f32 v89, -v7, v88, 1.0
	s_delay_alu instid0(VALU_DEP_1) | instskip(SKIP_2) | instid1(VALU_DEP_1)
	v_fmac_f32_e32 v88, v89, v88
	v_div_scale_f32 v89, vcc_lo, 1.0, v1, 1.0
	s_wait_xcnt 0x1
	v_mul_f32_e32 v90, v89, v88
	s_delay_alu instid0(VALU_DEP_1) | instskip(NEXT) | instid1(VALU_DEP_1)
	v_fma_f32 v91, -v7, v90, v89
	v_fmac_f32_e32 v90, v91, v88
	s_delay_alu instid0(VALU_DEP_1) | instskip(NEXT) | instid1(VALU_DEP_1)
	v_fma_f32 v7, -v7, v90, v89
	v_div_fmas_f32 v7, v7, v88, v90
	s_delay_alu instid0(VALU_DEP_1) | instskip(NEXT) | instid1(VALU_DEP_1)
	v_div_fixup_f32 v1, v7, v1, 1.0
	v_xor_b32_e32 v88, 0x80000000, v1
	scratch_store_b32 v0, v1, off scale_offset
.LBB41_3:
	s_wait_xcnt 0x0
	v_add_nc_u32_e32 v1, 0xb0, v6
	v_mov_b32_e32 v7, v6
	s_cmp_eq_u32 s4, 0x79
	s_mov_b32 s1, -1
	ds_store_b32 v6, v88
	s_cbranch_scc1 .LBB41_407
; %bb.4:
	scratch_load_b32 v88, off, off offset:160
	v_cmp_eq_u32_e64 s0, 41, v0
	s_movk_i32 s1, 0x50
	s_movk_i32 s10, 0x60
	;; [unrolled: 1-line block ×5, first 2 shown]
	s_wait_loadcnt 0x0
	ds_store_b32 v1, v88
	s_wait_storecnt_dscnt 0x0
	s_barrier_signal -1
	s_barrier_wait -1
	s_wait_xcnt 0x0
	s_and_saveexec_b32 s2, s0
	s_cbranch_execz .LBB41_10
; %bb.5:
	s_and_b32 vcc_lo, exec_lo, s3
	s_cbranch_vccz .LBB41_7
; %bb.6:
	scratch_load_b32 v88, v7, off
	ds_load_b32 v89, v1
	s_wait_loadcnt_dscnt 0x0
	v_mul_f32_e32 v88, v88, v89
	s_cbranch_execz .LBB41_8
	s_branch .LBB41_9
.LBB41_7:
                                        ; implicit-def: $vgpr88
.LBB41_8:
	ds_load_b32 v88, v1
.LBB41_9:
	v_mov_b32_e32 v89, 0
	ds_load_b32 v89, v89 offset:160
	s_wait_dscnt 0x0
	v_mul_f32_e32 v88, v88, v89
	scratch_store_b32 off, v88, off offset:160
.LBB41_10:
	s_wait_xcnt 0x0
	s_or_b32 exec_lo, exec_lo, s2
	scratch_load_b32 v88, off, off offset:156
	s_mov_b32 s9, s1
	v_cmp_lt_u32_e64 s1, 39, v0
	s_mov_b32 s4, 16
	s_mov_b32 s2, 32
	;; [unrolled: 1-line block ×4, first 2 shown]
	s_wait_loadcnt 0x0
	ds_store_b32 v1, v88
	s_wait_storecnt_dscnt 0x0
	s_barrier_signal -1
	s_barrier_wait -1
	s_wait_xcnt 0x0
	s_and_saveexec_b32 s14, s1
	s_cbranch_execz .LBB41_16
; %bb.11:
	s_and_not1_b32 vcc_lo, exec_lo, s3
	s_cbranch_vccnz .LBB41_13
; %bb.12:
	scratch_load_b32 v88, v7, off
	ds_load_b32 v89, v1
	s_wait_loadcnt_dscnt 0x0
	v_mul_f32_e32 v88, v88, v89
	s_cbranch_execz .LBB41_14
	s_branch .LBB41_15
.LBB41_13:
                                        ; implicit-def: $vgpr88
.LBB41_14:
	ds_load_b32 v88, v1
.LBB41_15:
	scratch_load_b32 v89, off, off offset:160
	v_mov_b32_e32 v90, 0
	ds_load_2addr_b32 v[90:91], v90 offset0:39 offset1:84
	s_wait_loadcnt_dscnt 0x0
	v_fma_f32 v89, v89, v91, v88
	s_delay_alu instid0(VALU_DEP_1) | instskip(NEXT) | instid1(VALU_DEP_1)
	v_cndmask_b32_e64 v88, v88, v89, s0
	v_mul_f32_e32 v88, v88, v90
	scratch_store_b32 off, v88, off offset:156
.LBB41_16:
	s_wait_xcnt 0x0
	s_or_b32 exec_lo, exec_lo, s14
	scratch_load_b32 v88, off, off offset:152
	v_cmp_lt_u32_e64 s0, 38, v0
	s_wait_loadcnt 0x0
	ds_store_b32 v1, v88
	s_wait_storecnt_dscnt 0x0
	s_barrier_signal -1
	s_barrier_wait -1
	s_wait_xcnt 0x0
	s_and_saveexec_b32 s14, s0
	s_cbranch_execz .LBB41_26
; %bb.17:
	s_and_not1_b32 vcc_lo, exec_lo, s3
	s_cbranch_vccnz .LBB41_19
; %bb.18:
	scratch_load_b32 v88, v7, off
	ds_load_b32 v89, v1
	s_wait_loadcnt_dscnt 0x0
	v_mul_f32_e32 v88, v88, v89
	s_cbranch_execz .LBB41_20
	s_branch .LBB41_21
.LBB41_19:
                                        ; implicit-def: $vgpr88
.LBB41_20:
	ds_load_b32 v88, v1
.LBB41_21:
	s_and_saveexec_b32 s15, s1
	s_cbranch_execz .LBB41_25
; %bb.22:
	v_subrev_nc_u32_e32 v89, 39, v0
	s_movk_i32 s1, 0x9c
	s_movk_i32 s17, 0x14c
	s_mov_b32 s16, 0
.LBB41_23:                              ; =>This Inner Loop Header: Depth=1
	scratch_load_b32 v90, off, s1
	v_dual_mov_b32 v91, s17 :: v_dual_add_nc_u32 v89, -1, v89
	s_add_co_i32 s17, s17, 4
	s_wait_xcnt 0x0
	s_add_co_i32 s1, s1, 4
	ds_load_b32 v91, v91
	v_cmp_eq_u32_e32 vcc_lo, 0, v89
	s_or_b32 s16, vcc_lo, s16
	s_wait_loadcnt_dscnt 0x0
	v_fmac_f32_e32 v88, v90, v91
	s_and_not1_b32 exec_lo, exec_lo, s16
	s_cbranch_execnz .LBB41_23
; %bb.24:
	s_or_b32 exec_lo, exec_lo, s16
.LBB41_25:
	s_delay_alu instid0(SALU_CYCLE_1)
	s_or_b32 exec_lo, exec_lo, s15
	v_mov_b32_e32 v89, 0
	ds_load_b32 v89, v89 offset:152
	s_wait_dscnt 0x0
	v_mul_f32_e32 v88, v88, v89
	scratch_store_b32 off, v88, off offset:152
.LBB41_26:
	s_wait_xcnt 0x0
	s_or_b32 exec_lo, exec_lo, s14
	scratch_load_b32 v88, off, off offset:148
	v_cmp_lt_u32_e64 s1, 37, v0
	s_wait_loadcnt 0x0
	ds_store_b32 v1, v88
	s_wait_storecnt_dscnt 0x0
	s_barrier_signal -1
	s_barrier_wait -1
	s_wait_xcnt 0x0
	s_and_saveexec_b32 s14, s1
	s_cbranch_execz .LBB41_36
; %bb.27:
	s_and_not1_b32 vcc_lo, exec_lo, s3
	s_cbranch_vccnz .LBB41_29
; %bb.28:
	scratch_load_b32 v88, v7, off
	ds_load_b32 v89, v1
	s_wait_loadcnt_dscnt 0x0
	v_mul_f32_e32 v88, v88, v89
	s_cbranch_execz .LBB41_30
	s_branch .LBB41_31
.LBB41_29:
                                        ; implicit-def: $vgpr88
.LBB41_30:
	ds_load_b32 v88, v1
.LBB41_31:
	s_and_saveexec_b32 s15, s0
	s_cbranch_execz .LBB41_35
; %bb.32:
	v_subrev_nc_u32_e32 v89, 38, v0
	s_movk_i32 s0, 0x98
	s_movk_i32 s17, 0x148
	s_mov_b32 s16, 0
.LBB41_33:                              ; =>This Inner Loop Header: Depth=1
	scratch_load_b32 v90, off, s0
	v_dual_mov_b32 v91, s17 :: v_dual_add_nc_u32 v89, -1, v89
	s_add_co_i32 s17, s17, 4
	s_wait_xcnt 0x0
	s_add_co_i32 s0, s0, 4
	ds_load_b32 v91, v91
	v_cmp_eq_u32_e32 vcc_lo, 0, v89
	s_or_b32 s16, vcc_lo, s16
	s_wait_loadcnt_dscnt 0x0
	v_fmac_f32_e32 v88, v90, v91
	s_and_not1_b32 exec_lo, exec_lo, s16
	s_cbranch_execnz .LBB41_33
; %bb.34:
	s_or_b32 exec_lo, exec_lo, s16
.LBB41_35:
	s_delay_alu instid0(SALU_CYCLE_1)
	s_or_b32 exec_lo, exec_lo, s15
	v_mov_b32_e32 v89, 0
	ds_load_b32 v89, v89 offset:148
	s_wait_dscnt 0x0
	v_mul_f32_e32 v88, v88, v89
	scratch_store_b32 off, v88, off offset:148
.LBB41_36:
	;; [unrolled: 58-line block ×3, first 2 shown]
	s_wait_xcnt 0x0
	s_or_b32 exec_lo, exec_lo, s14
	scratch_load_b32 v88, off, off offset:140
	v_cmp_lt_u32_e64 s1, 35, v0
	s_wait_loadcnt 0x0
	ds_store_b32 v1, v88
	s_wait_storecnt_dscnt 0x0
	s_barrier_signal -1
	s_barrier_wait -1
	s_wait_xcnt 0x0
	s_and_saveexec_b32 s14, s1
	s_cbranch_execz .LBB41_56
; %bb.47:
	s_and_not1_b32 vcc_lo, exec_lo, s3
	s_cbranch_vccnz .LBB41_49
; %bb.48:
	scratch_load_b32 v88, v7, off
	ds_load_b32 v89, v1
	s_wait_loadcnt_dscnt 0x0
	v_mul_f32_e32 v88, v88, v89
	s_cbranch_execz .LBB41_50
	s_branch .LBB41_51
.LBB41_49:
                                        ; implicit-def: $vgpr88
.LBB41_50:
	ds_load_b32 v88, v1
.LBB41_51:
	s_and_saveexec_b32 s15, s0
	s_cbranch_execz .LBB41_55
; %bb.52:
	v_subrev_nc_u32_e32 v89, 36, v0
	s_movk_i32 s16, 0x140
	s_mov_b32 s0, 0
.LBB41_53:                              ; =>This Inner Loop Header: Depth=1
	scratch_load_b32 v90, off, s13
	v_dual_mov_b32 v91, s16 :: v_dual_add_nc_u32 v89, -1, v89
	s_add_co_i32 s16, s16, 4
	s_wait_xcnt 0x0
	s_add_co_i32 s13, s13, 4
	ds_load_b32 v91, v91
	v_cmp_eq_u32_e32 vcc_lo, 0, v89
	s_or_b32 s0, vcc_lo, s0
	s_wait_loadcnt_dscnt 0x0
	v_fmac_f32_e32 v88, v90, v91
	s_and_not1_b32 exec_lo, exec_lo, s0
	s_cbranch_execnz .LBB41_53
; %bb.54:
	s_or_b32 exec_lo, exec_lo, s0
.LBB41_55:
	s_delay_alu instid0(SALU_CYCLE_1)
	s_or_b32 exec_lo, exec_lo, s15
	v_mov_b32_e32 v89, 0
	ds_load_b32 v89, v89 offset:140
	s_wait_dscnt 0x0
	v_mul_f32_e32 v88, v88, v89
	scratch_store_b32 off, v88, off offset:140
.LBB41_56:
	s_wait_xcnt 0x0
	s_or_b32 exec_lo, exec_lo, s14
	scratch_load_b32 v88, off, off offset:136
	v_cmp_lt_u32_e64 s0, 34, v0
	s_wait_loadcnt 0x0
	ds_store_b32 v1, v88
	s_wait_storecnt_dscnt 0x0
	s_barrier_signal -1
	s_barrier_wait -1
	s_wait_xcnt 0x0
	s_and_saveexec_b32 s13, s0
	s_cbranch_execz .LBB41_66
; %bb.57:
	s_and_not1_b32 vcc_lo, exec_lo, s3
	s_cbranch_vccnz .LBB41_59
; %bb.58:
	scratch_load_b32 v88, v7, off
	ds_load_b32 v89, v1
	s_wait_loadcnt_dscnt 0x0
	v_mul_f32_e32 v88, v88, v89
	s_cbranch_execz .LBB41_60
	s_branch .LBB41_61
.LBB41_59:
                                        ; implicit-def: $vgpr88
.LBB41_60:
	ds_load_b32 v88, v1
.LBB41_61:
	s_and_saveexec_b32 s14, s1
	s_cbranch_execz .LBB41_65
; %bb.62:
	v_subrev_nc_u32_e32 v89, 35, v0
	s_movk_i32 s1, 0x8c
	s_movk_i32 s16, 0x13c
	s_mov_b32 s15, 0
.LBB41_63:                              ; =>This Inner Loop Header: Depth=1
	scratch_load_b32 v90, off, s1
	v_dual_mov_b32 v91, s16 :: v_dual_add_nc_u32 v89, -1, v89
	s_add_co_i32 s16, s16, 4
	s_wait_xcnt 0x0
	s_add_co_i32 s1, s1, 4
	ds_load_b32 v91, v91
	v_cmp_eq_u32_e32 vcc_lo, 0, v89
	s_or_b32 s15, vcc_lo, s15
	s_wait_loadcnt_dscnt 0x0
	v_fmac_f32_e32 v88, v90, v91
	s_and_not1_b32 exec_lo, exec_lo, s15
	s_cbranch_execnz .LBB41_63
; %bb.64:
	s_or_b32 exec_lo, exec_lo, s15
.LBB41_65:
	s_delay_alu instid0(SALU_CYCLE_1)
	s_or_b32 exec_lo, exec_lo, s14
	v_mov_b32_e32 v89, 0
	ds_load_b32 v89, v89 offset:136
	s_wait_dscnt 0x0
	v_mul_f32_e32 v88, v88, v89
	scratch_store_b32 off, v88, off offset:136
.LBB41_66:
	s_wait_xcnt 0x0
	s_or_b32 exec_lo, exec_lo, s13
	scratch_load_b32 v88, off, off offset:132
	v_cmp_lt_u32_e64 s1, 33, v0
	s_wait_loadcnt 0x0
	ds_store_b32 v1, v88
	s_wait_storecnt_dscnt 0x0
	s_barrier_signal -1
	s_barrier_wait -1
	s_wait_xcnt 0x0
	s_and_saveexec_b32 s13, s1
	s_cbranch_execz .LBB41_76
; %bb.67:
	s_and_not1_b32 vcc_lo, exec_lo, s3
	s_cbranch_vccnz .LBB41_69
; %bb.68:
	scratch_load_b32 v88, v7, off
	ds_load_b32 v89, v1
	s_wait_loadcnt_dscnt 0x0
	v_mul_f32_e32 v88, v88, v89
	s_cbranch_execz .LBB41_70
	s_branch .LBB41_71
.LBB41_69:
                                        ; implicit-def: $vgpr88
.LBB41_70:
	ds_load_b32 v88, v1
.LBB41_71:
	s_and_saveexec_b32 s14, s0
	s_cbranch_execz .LBB41_75
; %bb.72:
	v_subrev_nc_u32_e32 v89, 34, v0
	s_movk_i32 s0, 0x88
	s_movk_i32 s16, 0x138
	s_mov_b32 s15, 0
.LBB41_73:                              ; =>This Inner Loop Header: Depth=1
	scratch_load_b32 v90, off, s0
	v_dual_mov_b32 v91, s16 :: v_dual_add_nc_u32 v89, -1, v89
	s_add_co_i32 s16, s16, 4
	s_wait_xcnt 0x0
	s_add_co_i32 s0, s0, 4
	ds_load_b32 v91, v91
	v_cmp_eq_u32_e32 vcc_lo, 0, v89
	s_or_b32 s15, vcc_lo, s15
	s_wait_loadcnt_dscnt 0x0
	v_fmac_f32_e32 v88, v90, v91
	s_and_not1_b32 exec_lo, exec_lo, s15
	s_cbranch_execnz .LBB41_73
; %bb.74:
	s_or_b32 exec_lo, exec_lo, s15
.LBB41_75:
	s_delay_alu instid0(SALU_CYCLE_1)
	s_or_b32 exec_lo, exec_lo, s14
	v_mov_b32_e32 v89, 0
	ds_load_b32 v89, v89 offset:132
	s_wait_dscnt 0x0
	v_mul_f32_e32 v88, v88, v89
	scratch_store_b32 off, v88, off offset:132
.LBB41_76:
	;; [unrolled: 58-line block ×3, first 2 shown]
	s_wait_xcnt 0x0
	s_or_b32 exec_lo, exec_lo, s13
	scratch_load_b32 v88, off, off offset:124
	v_cmp_lt_u32_e64 s1, 31, v0
	s_wait_loadcnt 0x0
	ds_store_b32 v1, v88
	s_wait_storecnt_dscnt 0x0
	s_barrier_signal -1
	s_barrier_wait -1
	s_wait_xcnt 0x0
	s_and_saveexec_b32 s13, s1
	s_cbranch_execz .LBB41_96
; %bb.87:
	s_and_not1_b32 vcc_lo, exec_lo, s3
	s_cbranch_vccnz .LBB41_89
; %bb.88:
	scratch_load_b32 v88, v7, off
	ds_load_b32 v89, v1
	s_wait_loadcnt_dscnt 0x0
	v_mul_f32_e32 v88, v88, v89
	s_cbranch_execz .LBB41_90
	s_branch .LBB41_91
.LBB41_89:
                                        ; implicit-def: $vgpr88
.LBB41_90:
	ds_load_b32 v88, v1
.LBB41_91:
	s_and_saveexec_b32 s14, s0
	s_cbranch_execz .LBB41_95
; %bb.92:
	v_subrev_nc_u32_e32 v89, 32, v0
	s_movk_i32 s15, 0x130
	s_mov_b32 s0, 0
.LBB41_93:                              ; =>This Inner Loop Header: Depth=1
	scratch_load_b32 v90, off, s12
	v_dual_mov_b32 v91, s15 :: v_dual_add_nc_u32 v89, -1, v89
	s_add_co_i32 s15, s15, 4
	s_wait_xcnt 0x0
	s_add_co_i32 s12, s12, 4
	ds_load_b32 v91, v91
	v_cmp_eq_u32_e32 vcc_lo, 0, v89
	s_or_b32 s0, vcc_lo, s0
	s_wait_loadcnt_dscnt 0x0
	v_fmac_f32_e32 v88, v90, v91
	s_and_not1_b32 exec_lo, exec_lo, s0
	s_cbranch_execnz .LBB41_93
; %bb.94:
	s_or_b32 exec_lo, exec_lo, s0
.LBB41_95:
	s_delay_alu instid0(SALU_CYCLE_1)
	s_or_b32 exec_lo, exec_lo, s14
	v_mov_b32_e32 v89, 0
	ds_load_b32 v89, v89 offset:124
	s_wait_dscnt 0x0
	v_mul_f32_e32 v88, v88, v89
	scratch_store_b32 off, v88, off offset:124
.LBB41_96:
	s_wait_xcnt 0x0
	s_or_b32 exec_lo, exec_lo, s13
	scratch_load_b32 v88, off, off offset:120
	v_cmp_lt_u32_e64 s0, 30, v0
	s_wait_loadcnt 0x0
	ds_store_b32 v1, v88
	s_wait_storecnt_dscnt 0x0
	s_barrier_signal -1
	s_barrier_wait -1
	s_wait_xcnt 0x0
	s_and_saveexec_b32 s12, s0
	s_cbranch_execz .LBB41_106
; %bb.97:
	s_and_not1_b32 vcc_lo, exec_lo, s3
	s_cbranch_vccnz .LBB41_99
; %bb.98:
	scratch_load_b32 v88, v7, off
	ds_load_b32 v89, v1
	s_wait_loadcnt_dscnt 0x0
	v_mul_f32_e32 v88, v88, v89
	s_cbranch_execz .LBB41_100
	s_branch .LBB41_101
.LBB41_99:
                                        ; implicit-def: $vgpr88
.LBB41_100:
	ds_load_b32 v88, v1
.LBB41_101:
	s_and_saveexec_b32 s13, s1
	s_cbranch_execz .LBB41_105
; %bb.102:
	v_subrev_nc_u32_e32 v89, 31, v0
	s_movk_i32 s1, 0x7c
	s_movk_i32 s15, 0x12c
	s_mov_b32 s14, 0
.LBB41_103:                             ; =>This Inner Loop Header: Depth=1
	scratch_load_b32 v90, off, s1
	v_dual_mov_b32 v91, s15 :: v_dual_add_nc_u32 v89, -1, v89
	s_add_co_i32 s15, s15, 4
	s_wait_xcnt 0x0
	s_add_co_i32 s1, s1, 4
	ds_load_b32 v91, v91
	v_cmp_eq_u32_e32 vcc_lo, 0, v89
	s_or_b32 s14, vcc_lo, s14
	s_wait_loadcnt_dscnt 0x0
	v_fmac_f32_e32 v88, v90, v91
	s_and_not1_b32 exec_lo, exec_lo, s14
	s_cbranch_execnz .LBB41_103
; %bb.104:
	s_or_b32 exec_lo, exec_lo, s14
.LBB41_105:
	s_delay_alu instid0(SALU_CYCLE_1)
	s_or_b32 exec_lo, exec_lo, s13
	v_mov_b32_e32 v89, 0
	ds_load_b32 v89, v89 offset:120
	s_wait_dscnt 0x0
	v_mul_f32_e32 v88, v88, v89
	scratch_store_b32 off, v88, off offset:120
.LBB41_106:
	s_wait_xcnt 0x0
	s_or_b32 exec_lo, exec_lo, s12
	scratch_load_b32 v88, off, off offset:116
	v_cmp_lt_u32_e64 s1, 29, v0
	s_wait_loadcnt 0x0
	ds_store_b32 v1, v88
	s_wait_storecnt_dscnt 0x0
	s_barrier_signal -1
	s_barrier_wait -1
	s_wait_xcnt 0x0
	s_and_saveexec_b32 s12, s1
	s_cbranch_execz .LBB41_116
; %bb.107:
	s_and_not1_b32 vcc_lo, exec_lo, s3
	s_cbranch_vccnz .LBB41_109
; %bb.108:
	scratch_load_b32 v88, v7, off
	ds_load_b32 v89, v1
	s_wait_loadcnt_dscnt 0x0
	v_mul_f32_e32 v88, v88, v89
	s_cbranch_execz .LBB41_110
	s_branch .LBB41_111
.LBB41_109:
                                        ; implicit-def: $vgpr88
.LBB41_110:
	ds_load_b32 v88, v1
.LBB41_111:
	s_and_saveexec_b32 s13, s0
	s_cbranch_execz .LBB41_115
; %bb.112:
	v_subrev_nc_u32_e32 v89, 30, v0
	s_movk_i32 s0, 0x78
	s_movk_i32 s15, 0x128
	s_mov_b32 s14, 0
.LBB41_113:                             ; =>This Inner Loop Header: Depth=1
	scratch_load_b32 v90, off, s0
	v_dual_mov_b32 v91, s15 :: v_dual_add_nc_u32 v89, -1, v89
	s_add_co_i32 s15, s15, 4
	s_wait_xcnt 0x0
	s_add_co_i32 s0, s0, 4
	ds_load_b32 v91, v91
	v_cmp_eq_u32_e32 vcc_lo, 0, v89
	s_or_b32 s14, vcc_lo, s14
	s_wait_loadcnt_dscnt 0x0
	v_fmac_f32_e32 v88, v90, v91
	s_and_not1_b32 exec_lo, exec_lo, s14
	s_cbranch_execnz .LBB41_113
; %bb.114:
	s_or_b32 exec_lo, exec_lo, s14
.LBB41_115:
	s_delay_alu instid0(SALU_CYCLE_1)
	s_or_b32 exec_lo, exec_lo, s13
	v_mov_b32_e32 v89, 0
	ds_load_b32 v89, v89 offset:116
	s_wait_dscnt 0x0
	v_mul_f32_e32 v88, v88, v89
	scratch_store_b32 off, v88, off offset:116
.LBB41_116:
	;; [unrolled: 58-line block ×3, first 2 shown]
	s_wait_xcnt 0x0
	s_or_b32 exec_lo, exec_lo, s12
	scratch_load_b32 v88, off, off offset:108
	v_cmp_lt_u32_e64 s1, 27, v0
	s_wait_loadcnt 0x0
	ds_store_b32 v1, v88
	s_wait_storecnt_dscnt 0x0
	s_barrier_signal -1
	s_barrier_wait -1
	s_wait_xcnt 0x0
	s_and_saveexec_b32 s12, s1
	s_cbranch_execz .LBB41_136
; %bb.127:
	s_and_not1_b32 vcc_lo, exec_lo, s3
	s_cbranch_vccnz .LBB41_129
; %bb.128:
	scratch_load_b32 v88, v7, off
	ds_load_b32 v89, v1
	s_wait_loadcnt_dscnt 0x0
	v_mul_f32_e32 v88, v88, v89
	s_cbranch_execz .LBB41_130
	s_branch .LBB41_131
.LBB41_129:
                                        ; implicit-def: $vgpr88
.LBB41_130:
	ds_load_b32 v88, v1
.LBB41_131:
	s_and_saveexec_b32 s13, s0
	s_cbranch_execz .LBB41_135
; %bb.132:
	v_subrev_nc_u32_e32 v89, 28, v0
	s_movk_i32 s14, 0x120
	s_mov_b32 s0, 0
.LBB41_133:                             ; =>This Inner Loop Header: Depth=1
	scratch_load_b32 v90, off, s11
	v_dual_mov_b32 v91, s14 :: v_dual_add_nc_u32 v89, -1, v89
	s_add_co_i32 s14, s14, 4
	s_wait_xcnt 0x0
	s_add_co_i32 s11, s11, 4
	ds_load_b32 v91, v91
	v_cmp_eq_u32_e32 vcc_lo, 0, v89
	s_or_b32 s0, vcc_lo, s0
	s_wait_loadcnt_dscnt 0x0
	v_fmac_f32_e32 v88, v90, v91
	s_and_not1_b32 exec_lo, exec_lo, s0
	s_cbranch_execnz .LBB41_133
; %bb.134:
	s_or_b32 exec_lo, exec_lo, s0
.LBB41_135:
	s_delay_alu instid0(SALU_CYCLE_1)
	s_or_b32 exec_lo, exec_lo, s13
	v_mov_b32_e32 v89, 0
	ds_load_b32 v89, v89 offset:108
	s_wait_dscnt 0x0
	v_mul_f32_e32 v88, v88, v89
	scratch_store_b32 off, v88, off offset:108
.LBB41_136:
	s_wait_xcnt 0x0
	s_or_b32 exec_lo, exec_lo, s12
	scratch_load_b32 v88, off, off offset:104
	v_cmp_lt_u32_e64 s0, 26, v0
	s_wait_loadcnt 0x0
	ds_store_b32 v1, v88
	s_wait_storecnt_dscnt 0x0
	s_barrier_signal -1
	s_barrier_wait -1
	s_wait_xcnt 0x0
	s_and_saveexec_b32 s11, s0
	s_cbranch_execz .LBB41_146
; %bb.137:
	s_and_not1_b32 vcc_lo, exec_lo, s3
	s_cbranch_vccnz .LBB41_139
; %bb.138:
	scratch_load_b32 v88, v7, off
	ds_load_b32 v89, v1
	s_wait_loadcnt_dscnt 0x0
	v_mul_f32_e32 v88, v88, v89
	s_cbranch_execz .LBB41_140
	s_branch .LBB41_141
.LBB41_139:
                                        ; implicit-def: $vgpr88
.LBB41_140:
	ds_load_b32 v88, v1
.LBB41_141:
	s_and_saveexec_b32 s12, s1
	s_cbranch_execz .LBB41_145
; %bb.142:
	v_subrev_nc_u32_e32 v89, 27, v0
	s_movk_i32 s1, 0x6c
	s_movk_i32 s14, 0x11c
	s_mov_b32 s13, 0
.LBB41_143:                             ; =>This Inner Loop Header: Depth=1
	scratch_load_b32 v90, off, s1
	v_dual_mov_b32 v91, s14 :: v_dual_add_nc_u32 v89, -1, v89
	s_add_co_i32 s14, s14, 4
	s_wait_xcnt 0x0
	s_add_co_i32 s1, s1, 4
	ds_load_b32 v91, v91
	v_cmp_eq_u32_e32 vcc_lo, 0, v89
	s_or_b32 s13, vcc_lo, s13
	s_wait_loadcnt_dscnt 0x0
	v_fmac_f32_e32 v88, v90, v91
	s_and_not1_b32 exec_lo, exec_lo, s13
	s_cbranch_execnz .LBB41_143
; %bb.144:
	s_or_b32 exec_lo, exec_lo, s13
.LBB41_145:
	s_delay_alu instid0(SALU_CYCLE_1)
	s_or_b32 exec_lo, exec_lo, s12
	v_mov_b32_e32 v89, 0
	ds_load_b32 v89, v89 offset:104
	s_wait_dscnt 0x0
	v_mul_f32_e32 v88, v88, v89
	scratch_store_b32 off, v88, off offset:104
.LBB41_146:
	s_wait_xcnt 0x0
	s_or_b32 exec_lo, exec_lo, s11
	scratch_load_b32 v88, off, off offset:100
	v_cmp_lt_u32_e64 s1, 25, v0
	s_wait_loadcnt 0x0
	ds_store_b32 v1, v88
	s_wait_storecnt_dscnt 0x0
	s_barrier_signal -1
	s_barrier_wait -1
	s_wait_xcnt 0x0
	s_and_saveexec_b32 s11, s1
	s_cbranch_execz .LBB41_156
; %bb.147:
	s_and_not1_b32 vcc_lo, exec_lo, s3
	s_cbranch_vccnz .LBB41_149
; %bb.148:
	scratch_load_b32 v88, v7, off
	ds_load_b32 v89, v1
	s_wait_loadcnt_dscnt 0x0
	v_mul_f32_e32 v88, v88, v89
	s_cbranch_execz .LBB41_150
	s_branch .LBB41_151
.LBB41_149:
                                        ; implicit-def: $vgpr88
.LBB41_150:
	ds_load_b32 v88, v1
.LBB41_151:
	s_and_saveexec_b32 s12, s0
	s_cbranch_execz .LBB41_155
; %bb.152:
	v_subrev_nc_u32_e32 v89, 26, v0
	s_movk_i32 s0, 0x68
	s_movk_i32 s14, 0x118
	s_mov_b32 s13, 0
.LBB41_153:                             ; =>This Inner Loop Header: Depth=1
	scratch_load_b32 v90, off, s0
	v_dual_mov_b32 v91, s14 :: v_dual_add_nc_u32 v89, -1, v89
	s_add_co_i32 s14, s14, 4
	s_wait_xcnt 0x0
	s_add_co_i32 s0, s0, 4
	ds_load_b32 v91, v91
	v_cmp_eq_u32_e32 vcc_lo, 0, v89
	s_or_b32 s13, vcc_lo, s13
	s_wait_loadcnt_dscnt 0x0
	v_fmac_f32_e32 v88, v90, v91
	s_and_not1_b32 exec_lo, exec_lo, s13
	s_cbranch_execnz .LBB41_153
; %bb.154:
	s_or_b32 exec_lo, exec_lo, s13
.LBB41_155:
	s_delay_alu instid0(SALU_CYCLE_1)
	s_or_b32 exec_lo, exec_lo, s12
	v_mov_b32_e32 v89, 0
	ds_load_b32 v89, v89 offset:100
	s_wait_dscnt 0x0
	v_mul_f32_e32 v88, v88, v89
	scratch_store_b32 off, v88, off offset:100
.LBB41_156:
	;; [unrolled: 58-line block ×3, first 2 shown]
	s_wait_xcnt 0x0
	s_or_b32 exec_lo, exec_lo, s11
	scratch_load_b32 v88, off, off offset:92
	v_cmp_lt_u32_e64 s1, 23, v0
	s_wait_loadcnt 0x0
	ds_store_b32 v1, v88
	s_wait_storecnt_dscnt 0x0
	s_barrier_signal -1
	s_barrier_wait -1
	s_wait_xcnt 0x0
	s_and_saveexec_b32 s11, s1
	s_cbranch_execz .LBB41_176
; %bb.167:
	s_and_not1_b32 vcc_lo, exec_lo, s3
	s_cbranch_vccnz .LBB41_169
; %bb.168:
	scratch_load_b32 v88, v7, off
	ds_load_b32 v89, v1
	s_wait_loadcnt_dscnt 0x0
	v_mul_f32_e32 v88, v88, v89
	s_cbranch_execz .LBB41_170
	s_branch .LBB41_171
.LBB41_169:
                                        ; implicit-def: $vgpr88
.LBB41_170:
	ds_load_b32 v88, v1
.LBB41_171:
	s_and_saveexec_b32 s12, s0
	s_cbranch_execz .LBB41_175
; %bb.172:
	v_subrev_nc_u32_e32 v89, 24, v0
	s_movk_i32 s13, 0x110
	s_mov_b32 s0, 0
.LBB41_173:                             ; =>This Inner Loop Header: Depth=1
	scratch_load_b32 v90, off, s10
	v_dual_mov_b32 v91, s13 :: v_dual_add_nc_u32 v89, -1, v89
	s_add_co_i32 s13, s13, 4
	s_wait_xcnt 0x0
	s_add_co_i32 s10, s10, 4
	ds_load_b32 v91, v91
	v_cmp_eq_u32_e32 vcc_lo, 0, v89
	s_or_b32 s0, vcc_lo, s0
	s_wait_loadcnt_dscnt 0x0
	v_fmac_f32_e32 v88, v90, v91
	s_and_not1_b32 exec_lo, exec_lo, s0
	s_cbranch_execnz .LBB41_173
; %bb.174:
	s_or_b32 exec_lo, exec_lo, s0
.LBB41_175:
	s_delay_alu instid0(SALU_CYCLE_1)
	s_or_b32 exec_lo, exec_lo, s12
	v_mov_b32_e32 v89, 0
	ds_load_b32 v89, v89 offset:92
	s_wait_dscnt 0x0
	v_mul_f32_e32 v88, v88, v89
	scratch_store_b32 off, v88, off offset:92
.LBB41_176:
	s_wait_xcnt 0x0
	s_or_b32 exec_lo, exec_lo, s11
	scratch_load_b32 v88, off, off offset:88
	v_cmp_lt_u32_e64 s0, 22, v0
	s_wait_loadcnt 0x0
	ds_store_b32 v1, v88
	s_wait_storecnt_dscnt 0x0
	s_barrier_signal -1
	s_barrier_wait -1
	s_wait_xcnt 0x0
	s_and_saveexec_b32 s10, s0
	s_cbranch_execz .LBB41_186
; %bb.177:
	s_and_not1_b32 vcc_lo, exec_lo, s3
	s_cbranch_vccnz .LBB41_179
; %bb.178:
	scratch_load_b32 v88, v7, off
	ds_load_b32 v89, v1
	s_wait_loadcnt_dscnt 0x0
	v_mul_f32_e32 v88, v88, v89
	s_cbranch_execz .LBB41_180
	s_branch .LBB41_181
.LBB41_179:
                                        ; implicit-def: $vgpr88
.LBB41_180:
	ds_load_b32 v88, v1
.LBB41_181:
	s_and_saveexec_b32 s11, s1
	s_cbranch_execz .LBB41_185
; %bb.182:
	v_subrev_nc_u32_e32 v89, 23, v0
	s_movk_i32 s1, 0x5c
	s_movk_i32 s13, 0x10c
	s_mov_b32 s12, 0
.LBB41_183:                             ; =>This Inner Loop Header: Depth=1
	scratch_load_b32 v90, off, s1
	v_dual_mov_b32 v91, s13 :: v_dual_add_nc_u32 v89, -1, v89
	s_add_co_i32 s13, s13, 4
	s_wait_xcnt 0x0
	s_add_co_i32 s1, s1, 4
	ds_load_b32 v91, v91
	v_cmp_eq_u32_e32 vcc_lo, 0, v89
	s_or_b32 s12, vcc_lo, s12
	s_wait_loadcnt_dscnt 0x0
	v_fmac_f32_e32 v88, v90, v91
	s_and_not1_b32 exec_lo, exec_lo, s12
	s_cbranch_execnz .LBB41_183
; %bb.184:
	s_or_b32 exec_lo, exec_lo, s12
.LBB41_185:
	s_delay_alu instid0(SALU_CYCLE_1)
	s_or_b32 exec_lo, exec_lo, s11
	v_mov_b32_e32 v89, 0
	ds_load_b32 v89, v89 offset:88
	s_wait_dscnt 0x0
	v_mul_f32_e32 v88, v88, v89
	scratch_store_b32 off, v88, off offset:88
.LBB41_186:
	s_wait_xcnt 0x0
	s_or_b32 exec_lo, exec_lo, s10
	scratch_load_b32 v88, off, off offset:84
	v_cmp_lt_u32_e64 s1, 21, v0
	s_wait_loadcnt 0x0
	ds_store_b32 v1, v88
	s_wait_storecnt_dscnt 0x0
	s_barrier_signal -1
	s_barrier_wait -1
	s_wait_xcnt 0x0
	s_and_saveexec_b32 s10, s1
	s_cbranch_execz .LBB41_196
; %bb.187:
	s_and_not1_b32 vcc_lo, exec_lo, s3
	s_cbranch_vccnz .LBB41_189
; %bb.188:
	scratch_load_b32 v88, v7, off
	ds_load_b32 v89, v1
	s_wait_loadcnt_dscnt 0x0
	v_mul_f32_e32 v88, v88, v89
	s_cbranch_execz .LBB41_190
	s_branch .LBB41_191
.LBB41_189:
                                        ; implicit-def: $vgpr88
.LBB41_190:
	ds_load_b32 v88, v1
.LBB41_191:
	s_and_saveexec_b32 s11, s0
	s_cbranch_execz .LBB41_195
; %bb.192:
	v_subrev_nc_u32_e32 v89, 22, v0
	s_movk_i32 s0, 0x58
	s_movk_i32 s13, 0x108
	s_mov_b32 s12, 0
.LBB41_193:                             ; =>This Inner Loop Header: Depth=1
	scratch_load_b32 v90, off, s0
	v_dual_mov_b32 v91, s13 :: v_dual_add_nc_u32 v89, -1, v89
	s_add_co_i32 s13, s13, 4
	s_wait_xcnt 0x0
	s_add_co_i32 s0, s0, 4
	ds_load_b32 v91, v91
	v_cmp_eq_u32_e32 vcc_lo, 0, v89
	s_or_b32 s12, vcc_lo, s12
	s_wait_loadcnt_dscnt 0x0
	v_fmac_f32_e32 v88, v90, v91
	s_and_not1_b32 exec_lo, exec_lo, s12
	s_cbranch_execnz .LBB41_193
; %bb.194:
	s_or_b32 exec_lo, exec_lo, s12
.LBB41_195:
	s_delay_alu instid0(SALU_CYCLE_1)
	s_or_b32 exec_lo, exec_lo, s11
	v_mov_b32_e32 v89, 0
	ds_load_b32 v89, v89 offset:84
	s_wait_dscnt 0x0
	v_mul_f32_e32 v88, v88, v89
	scratch_store_b32 off, v88, off offset:84
.LBB41_196:
	;; [unrolled: 58-line block ×3, first 2 shown]
	s_wait_xcnt 0x0
	s_or_b32 exec_lo, exec_lo, s10
	scratch_load_b32 v88, off, off offset:76
	v_cmp_lt_u32_e64 s1, 19, v0
	s_wait_loadcnt 0x0
	ds_store_b32 v1, v88
	s_wait_storecnt_dscnt 0x0
	s_barrier_signal -1
	s_barrier_wait -1
	s_wait_xcnt 0x0
	s_and_saveexec_b32 s10, s1
	s_cbranch_execz .LBB41_216
; %bb.207:
	s_and_not1_b32 vcc_lo, exec_lo, s3
	s_cbranch_vccnz .LBB41_209
; %bb.208:
	scratch_load_b32 v88, v7, off
	ds_load_b32 v89, v1
	s_wait_loadcnt_dscnt 0x0
	v_mul_f32_e32 v88, v88, v89
	s_cbranch_execz .LBB41_210
	s_branch .LBB41_211
.LBB41_209:
                                        ; implicit-def: $vgpr88
.LBB41_210:
	ds_load_b32 v88, v1
.LBB41_211:
	s_and_saveexec_b32 s11, s0
	s_cbranch_execz .LBB41_215
; %bb.212:
	v_subrev_nc_u32_e32 v89, 20, v0
	s_movk_i32 s12, 0x100
	s_mov_b32 s0, 0
.LBB41_213:                             ; =>This Inner Loop Header: Depth=1
	scratch_load_b32 v90, off, s9
	v_dual_mov_b32 v91, s12 :: v_dual_add_nc_u32 v89, -1, v89
	s_add_co_i32 s12, s12, 4
	s_wait_xcnt 0x0
	s_add_co_i32 s9, s9, 4
	ds_load_b32 v91, v91
	v_cmp_eq_u32_e32 vcc_lo, 0, v89
	s_or_b32 s0, vcc_lo, s0
	s_wait_loadcnt_dscnt 0x0
	v_fmac_f32_e32 v88, v90, v91
	s_and_not1_b32 exec_lo, exec_lo, s0
	s_cbranch_execnz .LBB41_213
; %bb.214:
	s_or_b32 exec_lo, exec_lo, s0
.LBB41_215:
	s_delay_alu instid0(SALU_CYCLE_1)
	s_or_b32 exec_lo, exec_lo, s11
	v_mov_b32_e32 v89, 0
	ds_load_b32 v89, v89 offset:76
	s_wait_dscnt 0x0
	v_mul_f32_e32 v88, v88, v89
	scratch_store_b32 off, v88, off offset:76
.LBB41_216:
	s_wait_xcnt 0x0
	s_or_b32 exec_lo, exec_lo, s10
	scratch_load_b32 v88, off, off offset:72
	v_cmp_lt_u32_e64 s0, 18, v0
	s_wait_loadcnt 0x0
	ds_store_b32 v1, v88
	s_wait_storecnt_dscnt 0x0
	s_barrier_signal -1
	s_barrier_wait -1
	s_wait_xcnt 0x0
	s_and_saveexec_b32 s9, s0
	s_cbranch_execz .LBB41_226
; %bb.217:
	s_and_not1_b32 vcc_lo, exec_lo, s3
	s_cbranch_vccnz .LBB41_219
; %bb.218:
	scratch_load_b32 v88, v7, off
	ds_load_b32 v89, v1
	s_wait_loadcnt_dscnt 0x0
	v_mul_f32_e32 v88, v88, v89
	s_cbranch_execz .LBB41_220
	s_branch .LBB41_221
.LBB41_219:
                                        ; implicit-def: $vgpr88
.LBB41_220:
	ds_load_b32 v88, v1
.LBB41_221:
	s_and_saveexec_b32 s10, s1
	s_cbranch_execz .LBB41_225
; %bb.222:
	v_subrev_nc_u32_e32 v89, 19, v0
	s_movk_i32 s1, 0x4c
	s_movk_i32 s12, 0xfc
	s_mov_b32 s11, 0
.LBB41_223:                             ; =>This Inner Loop Header: Depth=1
	scratch_load_b32 v90, off, s1
	v_dual_mov_b32 v91, s12 :: v_dual_add_nc_u32 v89, -1, v89
	s_add_co_i32 s12, s12, 4
	s_wait_xcnt 0x0
	s_add_co_i32 s1, s1, 4
	ds_load_b32 v91, v91
	v_cmp_eq_u32_e32 vcc_lo, 0, v89
	s_or_b32 s11, vcc_lo, s11
	s_wait_loadcnt_dscnt 0x0
	v_fmac_f32_e32 v88, v90, v91
	s_and_not1_b32 exec_lo, exec_lo, s11
	s_cbranch_execnz .LBB41_223
; %bb.224:
	s_or_b32 exec_lo, exec_lo, s11
.LBB41_225:
	s_delay_alu instid0(SALU_CYCLE_1)
	s_or_b32 exec_lo, exec_lo, s10
	v_mov_b32_e32 v89, 0
	ds_load_b32 v89, v89 offset:72
	s_wait_dscnt 0x0
	v_mul_f32_e32 v88, v88, v89
	scratch_store_b32 off, v88, off offset:72
.LBB41_226:
	s_wait_xcnt 0x0
	s_or_b32 exec_lo, exec_lo, s9
	scratch_load_b32 v88, off, off offset:68
	v_cmp_lt_u32_e64 s1, 17, v0
	s_wait_loadcnt 0x0
	ds_store_b32 v1, v88
	s_wait_storecnt_dscnt 0x0
	s_barrier_signal -1
	s_barrier_wait -1
	s_wait_xcnt 0x0
	s_and_saveexec_b32 s9, s1
	s_cbranch_execz .LBB41_236
; %bb.227:
	s_and_not1_b32 vcc_lo, exec_lo, s3
	s_cbranch_vccnz .LBB41_229
; %bb.228:
	scratch_load_b32 v88, v7, off
	ds_load_b32 v89, v1
	s_wait_loadcnt_dscnt 0x0
	v_mul_f32_e32 v88, v88, v89
	s_cbranch_execz .LBB41_230
	s_branch .LBB41_231
.LBB41_229:
                                        ; implicit-def: $vgpr88
.LBB41_230:
	ds_load_b32 v88, v1
.LBB41_231:
	s_and_saveexec_b32 s10, s0
	s_cbranch_execz .LBB41_235
; %bb.232:
	v_subrev_nc_u32_e32 v89, 18, v0
	s_movk_i32 s0, 0x48
	s_movk_i32 s12, 0xf8
	s_mov_b32 s11, 0
.LBB41_233:                             ; =>This Inner Loop Header: Depth=1
	scratch_load_b32 v90, off, s0
	v_dual_mov_b32 v91, s12 :: v_dual_add_nc_u32 v89, -1, v89
	s_add_co_i32 s12, s12, 4
	s_wait_xcnt 0x0
	s_add_co_i32 s0, s0, 4
	ds_load_b32 v91, v91
	v_cmp_eq_u32_e32 vcc_lo, 0, v89
	s_or_b32 s11, vcc_lo, s11
	s_wait_loadcnt_dscnt 0x0
	v_fmac_f32_e32 v88, v90, v91
	s_and_not1_b32 exec_lo, exec_lo, s11
	s_cbranch_execnz .LBB41_233
; %bb.234:
	s_or_b32 exec_lo, exec_lo, s11
.LBB41_235:
	s_delay_alu instid0(SALU_CYCLE_1)
	s_or_b32 exec_lo, exec_lo, s10
	v_mov_b32_e32 v89, 0
	ds_load_b32 v89, v89 offset:68
	s_wait_dscnt 0x0
	v_mul_f32_e32 v88, v88, v89
	scratch_store_b32 off, v88, off offset:68
.LBB41_236:
	;; [unrolled: 58-line block ×3, first 2 shown]
	s_wait_xcnt 0x0
	s_or_b32 exec_lo, exec_lo, s9
	scratch_load_b32 v88, off, off offset:60
	v_cmp_lt_u32_e64 s1, 15, v0
	s_wait_loadcnt 0x0
	ds_store_b32 v1, v88
	s_wait_storecnt_dscnt 0x0
	s_barrier_signal -1
	s_barrier_wait -1
	s_wait_xcnt 0x0
	s_and_saveexec_b32 s9, s1
	s_cbranch_execz .LBB41_256
; %bb.247:
	s_and_not1_b32 vcc_lo, exec_lo, s3
	s_cbranch_vccnz .LBB41_249
; %bb.248:
	scratch_load_b32 v88, v7, off
	ds_load_b32 v89, v1
	s_wait_loadcnt_dscnt 0x0
	v_mul_f32_e32 v88, v88, v89
	s_cbranch_execz .LBB41_250
	s_branch .LBB41_251
.LBB41_249:
                                        ; implicit-def: $vgpr88
.LBB41_250:
	ds_load_b32 v88, v1
.LBB41_251:
	s_and_saveexec_b32 s10, s0
	s_cbranch_execz .LBB41_255
; %bb.252:
	v_add_nc_u32_e32 v89, -16, v0
	s_movk_i32 s11, 0xf0
	s_mov_b32 s0, 0
.LBB41_253:                             ; =>This Inner Loop Header: Depth=1
	scratch_load_b32 v90, off, s8
	v_dual_mov_b32 v91, s11 :: v_dual_add_nc_u32 v89, -1, v89
	s_add_co_i32 s11, s11, 4
	s_wait_xcnt 0x0
	s_add_co_i32 s8, s8, 4
	ds_load_b32 v91, v91
	v_cmp_eq_u32_e32 vcc_lo, 0, v89
	s_or_b32 s0, vcc_lo, s0
	s_wait_loadcnt_dscnt 0x0
	v_fmac_f32_e32 v88, v90, v91
	s_and_not1_b32 exec_lo, exec_lo, s0
	s_cbranch_execnz .LBB41_253
; %bb.254:
	s_or_b32 exec_lo, exec_lo, s0
.LBB41_255:
	s_delay_alu instid0(SALU_CYCLE_1)
	s_or_b32 exec_lo, exec_lo, s10
	v_mov_b32_e32 v89, 0
	ds_load_b32 v89, v89 offset:60
	s_wait_dscnt 0x0
	v_mul_f32_e32 v88, v88, v89
	scratch_store_b32 off, v88, off offset:60
.LBB41_256:
	s_wait_xcnt 0x0
	s_or_b32 exec_lo, exec_lo, s9
	scratch_load_b32 v88, off, off offset:56
	v_cmp_lt_u32_e64 s0, 14, v0
	s_wait_loadcnt 0x0
	ds_store_b32 v1, v88
	s_wait_storecnt_dscnt 0x0
	s_barrier_signal -1
	s_barrier_wait -1
	s_wait_xcnt 0x0
	s_and_saveexec_b32 s8, s0
	s_cbranch_execz .LBB41_266
; %bb.257:
	s_and_not1_b32 vcc_lo, exec_lo, s3
	s_cbranch_vccnz .LBB41_259
; %bb.258:
	scratch_load_b32 v88, v7, off
	ds_load_b32 v89, v1
	s_wait_loadcnt_dscnt 0x0
	v_mul_f32_e32 v88, v88, v89
	s_cbranch_execz .LBB41_260
	s_branch .LBB41_261
.LBB41_259:
                                        ; implicit-def: $vgpr88
.LBB41_260:
	ds_load_b32 v88, v1
.LBB41_261:
	s_and_saveexec_b32 s9, s1
	s_cbranch_execz .LBB41_265
; %bb.262:
	v_add_nc_u32_e32 v89, -15, v0
	s_mov_b32 s1, 60
	s_movk_i32 s11, 0xec
	s_mov_b32 s10, 0
.LBB41_263:                             ; =>This Inner Loop Header: Depth=1
	scratch_load_b32 v90, off, s1
	v_dual_mov_b32 v91, s11 :: v_dual_add_nc_u32 v89, -1, v89
	s_add_co_i32 s11, s11, 4
	s_wait_xcnt 0x0
	s_add_co_i32 s1, s1, 4
	ds_load_b32 v91, v91
	v_cmp_eq_u32_e32 vcc_lo, 0, v89
	s_or_b32 s10, vcc_lo, s10
	s_wait_loadcnt_dscnt 0x0
	v_fmac_f32_e32 v88, v90, v91
	s_and_not1_b32 exec_lo, exec_lo, s10
	s_cbranch_execnz .LBB41_263
; %bb.264:
	s_or_b32 exec_lo, exec_lo, s10
.LBB41_265:
	s_delay_alu instid0(SALU_CYCLE_1)
	s_or_b32 exec_lo, exec_lo, s9
	v_mov_b32_e32 v89, 0
	ds_load_b32 v89, v89 offset:56
	s_wait_dscnt 0x0
	v_mul_f32_e32 v88, v88, v89
	scratch_store_b32 off, v88, off offset:56
.LBB41_266:
	s_wait_xcnt 0x0
	s_or_b32 exec_lo, exec_lo, s8
	scratch_load_b32 v88, off, off offset:52
	v_cmp_lt_u32_e64 s1, 13, v0
	s_wait_loadcnt 0x0
	ds_store_b32 v1, v88
	s_wait_storecnt_dscnt 0x0
	s_barrier_signal -1
	s_barrier_wait -1
	s_wait_xcnt 0x0
	s_and_saveexec_b32 s8, s1
	s_cbranch_execz .LBB41_276
; %bb.267:
	s_and_not1_b32 vcc_lo, exec_lo, s3
	s_cbranch_vccnz .LBB41_269
; %bb.268:
	scratch_load_b32 v88, v7, off
	ds_load_b32 v89, v1
	s_wait_loadcnt_dscnt 0x0
	v_mul_f32_e32 v88, v88, v89
	s_cbranch_execz .LBB41_270
	s_branch .LBB41_271
.LBB41_269:
                                        ; implicit-def: $vgpr88
.LBB41_270:
	ds_load_b32 v88, v1
.LBB41_271:
	s_and_saveexec_b32 s9, s0
	s_cbranch_execz .LBB41_275
; %bb.272:
	v_add_nc_u32_e32 v89, -14, v0
	s_mov_b32 s0, 56
	s_movk_i32 s11, 0xe8
	s_mov_b32 s10, 0
.LBB41_273:                             ; =>This Inner Loop Header: Depth=1
	scratch_load_b32 v90, off, s0
	v_dual_mov_b32 v91, s11 :: v_dual_add_nc_u32 v89, -1, v89
	s_add_co_i32 s11, s11, 4
	s_wait_xcnt 0x0
	s_add_co_i32 s0, s0, 4
	ds_load_b32 v91, v91
	v_cmp_eq_u32_e32 vcc_lo, 0, v89
	s_or_b32 s10, vcc_lo, s10
	s_wait_loadcnt_dscnt 0x0
	v_fmac_f32_e32 v88, v90, v91
	s_and_not1_b32 exec_lo, exec_lo, s10
	s_cbranch_execnz .LBB41_273
; %bb.274:
	s_or_b32 exec_lo, exec_lo, s10
.LBB41_275:
	s_delay_alu instid0(SALU_CYCLE_1)
	s_or_b32 exec_lo, exec_lo, s9
	v_mov_b32_e32 v89, 0
	ds_load_b32 v89, v89 offset:52
	s_wait_dscnt 0x0
	v_mul_f32_e32 v88, v88, v89
	scratch_store_b32 off, v88, off offset:52
.LBB41_276:
	;; [unrolled: 58-line block ×3, first 2 shown]
	s_wait_xcnt 0x0
	s_or_b32 exec_lo, exec_lo, s8
	scratch_load_b32 v88, off, off offset:44
	v_cmp_lt_u32_e64 s1, 11, v0
	s_wait_loadcnt 0x0
	ds_store_b32 v1, v88
	s_wait_storecnt_dscnt 0x0
	s_barrier_signal -1
	s_barrier_wait -1
	s_wait_xcnt 0x0
	s_and_saveexec_b32 s8, s1
	s_cbranch_execz .LBB41_296
; %bb.287:
	s_and_not1_b32 vcc_lo, exec_lo, s3
	s_cbranch_vccnz .LBB41_289
; %bb.288:
	scratch_load_b32 v88, v7, off
	ds_load_b32 v89, v1
	s_wait_loadcnt_dscnt 0x0
	v_mul_f32_e32 v88, v88, v89
	s_cbranch_execz .LBB41_290
	s_branch .LBB41_291
.LBB41_289:
                                        ; implicit-def: $vgpr88
.LBB41_290:
	ds_load_b32 v88, v1
.LBB41_291:
	s_and_saveexec_b32 s9, s0
	s_cbranch_execz .LBB41_295
; %bb.292:
	v_add_nc_u32_e32 v89, -12, v0
	s_movk_i32 s10, 0xe0
	s_mov_b32 s0, 0
.LBB41_293:                             ; =>This Inner Loop Header: Depth=1
	scratch_load_b32 v90, off, s5
	v_dual_mov_b32 v91, s10 :: v_dual_add_nc_u32 v89, -1, v89
	s_add_co_i32 s10, s10, 4
	s_wait_xcnt 0x0
	s_add_co_i32 s5, s5, 4
	ds_load_b32 v91, v91
	v_cmp_eq_u32_e32 vcc_lo, 0, v89
	s_or_b32 s0, vcc_lo, s0
	s_wait_loadcnt_dscnt 0x0
	v_fmac_f32_e32 v88, v90, v91
	s_and_not1_b32 exec_lo, exec_lo, s0
	s_cbranch_execnz .LBB41_293
; %bb.294:
	s_or_b32 exec_lo, exec_lo, s0
.LBB41_295:
	s_delay_alu instid0(SALU_CYCLE_1)
	s_or_b32 exec_lo, exec_lo, s9
	v_mov_b32_e32 v89, 0
	ds_load_b32 v89, v89 offset:44
	s_wait_dscnt 0x0
	v_mul_f32_e32 v88, v88, v89
	scratch_store_b32 off, v88, off offset:44
.LBB41_296:
	s_wait_xcnt 0x0
	s_or_b32 exec_lo, exec_lo, s8
	scratch_load_b32 v88, off, off offset:40
	v_cmp_lt_u32_e64 s0, 10, v0
	s_wait_loadcnt 0x0
	ds_store_b32 v1, v88
	s_wait_storecnt_dscnt 0x0
	s_barrier_signal -1
	s_barrier_wait -1
	s_wait_xcnt 0x0
	s_and_saveexec_b32 s5, s0
	s_cbranch_execz .LBB41_306
; %bb.297:
	s_and_not1_b32 vcc_lo, exec_lo, s3
	s_cbranch_vccnz .LBB41_299
; %bb.298:
	scratch_load_b32 v88, v7, off
	ds_load_b32 v89, v1
	s_wait_loadcnt_dscnt 0x0
	v_mul_f32_e32 v88, v88, v89
	s_cbranch_execz .LBB41_300
	s_branch .LBB41_301
.LBB41_299:
                                        ; implicit-def: $vgpr88
.LBB41_300:
	ds_load_b32 v88, v1
.LBB41_301:
	s_and_saveexec_b32 s8, s1
	s_cbranch_execz .LBB41_305
; %bb.302:
	v_add_nc_u32_e32 v89, -11, v0
	s_mov_b32 s1, 44
	s_movk_i32 s10, 0xdc
	s_mov_b32 s9, 0
.LBB41_303:                             ; =>This Inner Loop Header: Depth=1
	scratch_load_b32 v90, off, s1
	v_dual_mov_b32 v91, s10 :: v_dual_add_nc_u32 v89, -1, v89
	s_add_co_i32 s10, s10, 4
	s_wait_xcnt 0x0
	s_add_co_i32 s1, s1, 4
	ds_load_b32 v91, v91
	v_cmp_eq_u32_e32 vcc_lo, 0, v89
	s_or_b32 s9, vcc_lo, s9
	s_wait_loadcnt_dscnt 0x0
	v_fmac_f32_e32 v88, v90, v91
	s_and_not1_b32 exec_lo, exec_lo, s9
	s_cbranch_execnz .LBB41_303
; %bb.304:
	s_or_b32 exec_lo, exec_lo, s9
.LBB41_305:
	s_delay_alu instid0(SALU_CYCLE_1)
	s_or_b32 exec_lo, exec_lo, s8
	v_mov_b32_e32 v89, 0
	ds_load_b32 v89, v89 offset:40
	s_wait_dscnt 0x0
	v_mul_f32_e32 v88, v88, v89
	scratch_store_b32 off, v88, off offset:40
.LBB41_306:
	s_wait_xcnt 0x0
	s_or_b32 exec_lo, exec_lo, s5
	scratch_load_b32 v88, off, off offset:36
	v_cmp_lt_u32_e64 s1, 9, v0
	s_wait_loadcnt 0x0
	ds_store_b32 v1, v88
	s_wait_storecnt_dscnt 0x0
	s_barrier_signal -1
	s_barrier_wait -1
	s_wait_xcnt 0x0
	s_and_saveexec_b32 s5, s1
	s_cbranch_execz .LBB41_316
; %bb.307:
	s_and_not1_b32 vcc_lo, exec_lo, s3
	s_cbranch_vccnz .LBB41_309
; %bb.308:
	scratch_load_b32 v88, v7, off
	ds_load_b32 v89, v1
	s_wait_loadcnt_dscnt 0x0
	v_mul_f32_e32 v88, v88, v89
	s_cbranch_execz .LBB41_310
	s_branch .LBB41_311
.LBB41_309:
                                        ; implicit-def: $vgpr88
.LBB41_310:
	ds_load_b32 v88, v1
.LBB41_311:
	s_and_saveexec_b32 s8, s0
	s_cbranch_execz .LBB41_315
; %bb.312:
	v_add_nc_u32_e32 v89, -10, v0
	s_mov_b32 s0, 40
	s_movk_i32 s10, 0xd8
	s_mov_b32 s9, 0
.LBB41_313:                             ; =>This Inner Loop Header: Depth=1
	scratch_load_b32 v90, off, s0
	v_dual_mov_b32 v91, s10 :: v_dual_add_nc_u32 v89, -1, v89
	s_add_co_i32 s10, s10, 4
	s_wait_xcnt 0x0
	s_add_co_i32 s0, s0, 4
	ds_load_b32 v91, v91
	v_cmp_eq_u32_e32 vcc_lo, 0, v89
	s_or_b32 s9, vcc_lo, s9
	s_wait_loadcnt_dscnt 0x0
	v_fmac_f32_e32 v88, v90, v91
	s_and_not1_b32 exec_lo, exec_lo, s9
	s_cbranch_execnz .LBB41_313
; %bb.314:
	s_or_b32 exec_lo, exec_lo, s9
.LBB41_315:
	s_delay_alu instid0(SALU_CYCLE_1)
	s_or_b32 exec_lo, exec_lo, s8
	v_mov_b32_e32 v89, 0
	ds_load_b32 v89, v89 offset:36
	s_wait_dscnt 0x0
	v_mul_f32_e32 v88, v88, v89
	scratch_store_b32 off, v88, off offset:36
.LBB41_316:
	;; [unrolled: 58-line block ×3, first 2 shown]
	s_wait_xcnt 0x0
	s_or_b32 exec_lo, exec_lo, s5
	scratch_load_b32 v88, off, off offset:28
	v_cmp_lt_u32_e64 s1, 7, v0
	s_wait_loadcnt 0x0
	ds_store_b32 v1, v88
	s_wait_storecnt_dscnt 0x0
	s_barrier_signal -1
	s_barrier_wait -1
	s_wait_xcnt 0x0
	s_and_saveexec_b32 s5, s1
	s_cbranch_execz .LBB41_336
; %bb.327:
	s_and_not1_b32 vcc_lo, exec_lo, s3
	s_cbranch_vccnz .LBB41_329
; %bb.328:
	scratch_load_b32 v88, v7, off
	ds_load_b32 v89, v1
	s_wait_loadcnt_dscnt 0x0
	v_mul_f32_e32 v88, v88, v89
	s_cbranch_execz .LBB41_330
	s_branch .LBB41_331
.LBB41_329:
                                        ; implicit-def: $vgpr88
.LBB41_330:
	ds_load_b32 v88, v1
.LBB41_331:
	s_and_saveexec_b32 s8, s0
	s_cbranch_execz .LBB41_335
; %bb.332:
	v_add_nc_u32_e32 v89, -8, v0
	s_movk_i32 s9, 0xd0
	s_mov_b32 s0, 0
.LBB41_333:                             ; =>This Inner Loop Header: Depth=1
	scratch_load_b32 v90, off, s2
	v_dual_mov_b32 v91, s9 :: v_dual_add_nc_u32 v89, -1, v89
	s_add_co_i32 s9, s9, 4
	s_wait_xcnt 0x0
	s_add_co_i32 s2, s2, 4
	ds_load_b32 v91, v91
	v_cmp_eq_u32_e32 vcc_lo, 0, v89
	s_or_b32 s0, vcc_lo, s0
	s_wait_loadcnt_dscnt 0x0
	v_fmac_f32_e32 v88, v90, v91
	s_and_not1_b32 exec_lo, exec_lo, s0
	s_cbranch_execnz .LBB41_333
; %bb.334:
	s_or_b32 exec_lo, exec_lo, s0
.LBB41_335:
	s_delay_alu instid0(SALU_CYCLE_1)
	s_or_b32 exec_lo, exec_lo, s8
	v_mov_b32_e32 v89, 0
	ds_load_b32 v89, v89 offset:28
	s_wait_dscnt 0x0
	v_mul_f32_e32 v88, v88, v89
	scratch_store_b32 off, v88, off offset:28
.LBB41_336:
	s_wait_xcnt 0x0
	s_or_b32 exec_lo, exec_lo, s5
	scratch_load_b32 v88, off, off offset:24
	v_cmp_lt_u32_e64 s0, 6, v0
	s_wait_loadcnt 0x0
	ds_store_b32 v1, v88
	s_wait_storecnt_dscnt 0x0
	s_barrier_signal -1
	s_barrier_wait -1
	s_wait_xcnt 0x0
	s_and_saveexec_b32 s2, s0
	s_cbranch_execz .LBB41_346
; %bb.337:
	s_and_not1_b32 vcc_lo, exec_lo, s3
	s_cbranch_vccnz .LBB41_339
; %bb.338:
	scratch_load_b32 v88, v7, off
	ds_load_b32 v89, v1
	s_wait_loadcnt_dscnt 0x0
	v_mul_f32_e32 v88, v88, v89
	s_cbranch_execz .LBB41_340
	s_branch .LBB41_341
.LBB41_339:
                                        ; implicit-def: $vgpr88
.LBB41_340:
	ds_load_b32 v88, v1
.LBB41_341:
	s_and_saveexec_b32 s5, s1
	s_cbranch_execz .LBB41_345
; %bb.342:
	v_add_nc_u32_e32 v89, -7, v0
	s_mov_b32 s1, 28
	s_movk_i32 s9, 0xcc
	s_mov_b32 s8, 0
.LBB41_343:                             ; =>This Inner Loop Header: Depth=1
	scratch_load_b32 v90, off, s1
	v_dual_mov_b32 v91, s9 :: v_dual_add_nc_u32 v89, -1, v89
	s_add_co_i32 s9, s9, 4
	s_wait_xcnt 0x0
	s_add_co_i32 s1, s1, 4
	ds_load_b32 v91, v91
	v_cmp_eq_u32_e32 vcc_lo, 0, v89
	s_or_b32 s8, vcc_lo, s8
	s_wait_loadcnt_dscnt 0x0
	v_fmac_f32_e32 v88, v90, v91
	s_and_not1_b32 exec_lo, exec_lo, s8
	s_cbranch_execnz .LBB41_343
; %bb.344:
	s_or_b32 exec_lo, exec_lo, s8
.LBB41_345:
	s_delay_alu instid0(SALU_CYCLE_1)
	s_or_b32 exec_lo, exec_lo, s5
	v_mov_b32_e32 v89, 0
	ds_load_b32 v89, v89 offset:24
	s_wait_dscnt 0x0
	v_mul_f32_e32 v88, v88, v89
	scratch_store_b32 off, v88, off offset:24
.LBB41_346:
	s_wait_xcnt 0x0
	s_or_b32 exec_lo, exec_lo, s2
	scratch_load_b32 v88, off, off offset:20
	v_cmp_lt_u32_e64 s1, 5, v0
	s_wait_loadcnt 0x0
	ds_store_b32 v1, v88
	s_wait_storecnt_dscnt 0x0
	s_barrier_signal -1
	s_barrier_wait -1
	s_wait_xcnt 0x0
	s_and_saveexec_b32 s2, s1
	s_cbranch_execz .LBB41_356
; %bb.347:
	s_and_not1_b32 vcc_lo, exec_lo, s3
	s_cbranch_vccnz .LBB41_349
; %bb.348:
	scratch_load_b32 v88, v7, off
	ds_load_b32 v89, v1
	s_wait_loadcnt_dscnt 0x0
	v_mul_f32_e32 v88, v88, v89
	s_cbranch_execz .LBB41_350
	s_branch .LBB41_351
.LBB41_349:
                                        ; implicit-def: $vgpr88
.LBB41_350:
	ds_load_b32 v88, v1
.LBB41_351:
	s_and_saveexec_b32 s5, s0
	s_cbranch_execz .LBB41_355
; %bb.352:
	v_add_nc_u32_e32 v89, -6, v0
	s_mov_b32 s0, 24
	s_movk_i32 s9, 0xc8
	s_mov_b32 s8, 0
.LBB41_353:                             ; =>This Inner Loop Header: Depth=1
	scratch_load_b32 v90, off, s0
	v_dual_mov_b32 v91, s9 :: v_dual_add_nc_u32 v89, -1, v89
	s_add_co_i32 s9, s9, 4
	s_wait_xcnt 0x0
	s_add_co_i32 s0, s0, 4
	ds_load_b32 v91, v91
	v_cmp_eq_u32_e32 vcc_lo, 0, v89
	s_or_b32 s8, vcc_lo, s8
	s_wait_loadcnt_dscnt 0x0
	v_fmac_f32_e32 v88, v90, v91
	s_and_not1_b32 exec_lo, exec_lo, s8
	s_cbranch_execnz .LBB41_353
; %bb.354:
	s_or_b32 exec_lo, exec_lo, s8
.LBB41_355:
	s_delay_alu instid0(SALU_CYCLE_1)
	s_or_b32 exec_lo, exec_lo, s5
	v_mov_b32_e32 v89, 0
	ds_load_b32 v89, v89 offset:20
	s_wait_dscnt 0x0
	v_mul_f32_e32 v88, v88, v89
	scratch_store_b32 off, v88, off offset:20
.LBB41_356:
	;; [unrolled: 58-line block ×3, first 2 shown]
	s_wait_xcnt 0x0
	s_or_b32 exec_lo, exec_lo, s2
	scratch_load_b32 v88, off, off offset:12
	v_cmp_lt_u32_e64 s2, 3, v0
	s_wait_loadcnt 0x0
	ds_store_b32 v1, v88
	s_wait_storecnt_dscnt 0x0
	s_barrier_signal -1
	s_barrier_wait -1
	s_wait_xcnt 0x0
	s_and_saveexec_b32 s1, s2
	s_cbranch_execz .LBB41_376
; %bb.367:
	s_and_not1_b32 vcc_lo, exec_lo, s3
	s_cbranch_vccnz .LBB41_369
; %bb.368:
	scratch_load_b32 v88, v7, off
	ds_load_b32 v89, v1
	s_wait_loadcnt_dscnt 0x0
	v_mul_f32_e32 v88, v88, v89
	s_cbranch_execz .LBB41_370
	s_branch .LBB41_371
.LBB41_369:
                                        ; implicit-def: $vgpr88
.LBB41_370:
	ds_load_b32 v88, v1
.LBB41_371:
	s_and_saveexec_b32 s5, s0
	s_cbranch_execz .LBB41_375
; %bb.372:
	v_add_nc_u32_e32 v89, -4, v0
	s_movk_i32 s8, 0xc0
	s_mov_b32 s0, 0
.LBB41_373:                             ; =>This Inner Loop Header: Depth=1
	scratch_load_b32 v90, off, s4
	v_dual_mov_b32 v91, s8 :: v_dual_add_nc_u32 v89, -1, v89
	s_add_co_i32 s8, s8, 4
	s_wait_xcnt 0x0
	s_add_co_i32 s4, s4, 4
	ds_load_b32 v91, v91
	v_cmp_eq_u32_e32 vcc_lo, 0, v89
	s_or_b32 s0, vcc_lo, s0
	s_wait_loadcnt_dscnt 0x0
	v_fmac_f32_e32 v88, v90, v91
	s_and_not1_b32 exec_lo, exec_lo, s0
	s_cbranch_execnz .LBB41_373
; %bb.374:
	s_or_b32 exec_lo, exec_lo, s0
.LBB41_375:
	s_delay_alu instid0(SALU_CYCLE_1)
	s_or_b32 exec_lo, exec_lo, s5
	v_mov_b32_e32 v89, 0
	ds_load_b32 v89, v89 offset:12
	s_wait_dscnt 0x0
	v_mul_f32_e32 v88, v88, v89
	scratch_store_b32 off, v88, off offset:12
.LBB41_376:
	s_wait_xcnt 0x0
	s_or_b32 exec_lo, exec_lo, s1
	scratch_load_b32 v88, off, off offset:8
	v_cmp_lt_u32_e64 s1, 2, v0
	s_wait_loadcnt 0x0
	ds_store_b32 v1, v88
	s_wait_storecnt_dscnt 0x0
	s_barrier_signal -1
	s_barrier_wait -1
	s_wait_xcnt 0x0
	s_and_saveexec_b32 s0, s1
	s_cbranch_execz .LBB41_386
; %bb.377:
	s_and_not1_b32 vcc_lo, exec_lo, s3
	s_cbranch_vccnz .LBB41_379
; %bb.378:
	scratch_load_b32 v88, v7, off
	ds_load_b32 v89, v1
	s_wait_loadcnt_dscnt 0x0
	v_mul_f32_e32 v88, v88, v89
	s_cbranch_execz .LBB41_380
	s_branch .LBB41_381
.LBB41_379:
                                        ; implicit-def: $vgpr88
.LBB41_380:
	ds_load_b32 v88, v1
.LBB41_381:
	s_and_saveexec_b32 s4, s2
	s_cbranch_execz .LBB41_385
; %bb.382:
	v_add_nc_u32_e32 v89, -3, v0
	s_or_b32 s2, 0, 12
	s_movk_i32 s8, 0xbc
	s_mov_b32 s5, 0
.LBB41_383:                             ; =>This Inner Loop Header: Depth=1
	scratch_load_b32 v90, off, s2
	v_dual_mov_b32 v91, s8 :: v_dual_add_nc_u32 v89, -1, v89
	s_add_co_i32 s8, s8, 4
	s_wait_xcnt 0x0
	s_add_co_i32 s2, s2, 4
	ds_load_b32 v91, v91
	v_cmp_eq_u32_e32 vcc_lo, 0, v89
	s_or_b32 s5, vcc_lo, s5
	s_wait_loadcnt_dscnt 0x0
	v_fmac_f32_e32 v88, v90, v91
	s_and_not1_b32 exec_lo, exec_lo, s5
	s_cbranch_execnz .LBB41_383
; %bb.384:
	s_or_b32 exec_lo, exec_lo, s5
.LBB41_385:
	s_delay_alu instid0(SALU_CYCLE_1)
	s_or_b32 exec_lo, exec_lo, s4
	v_mov_b32_e32 v89, 0
	ds_load_b32 v89, v89 offset:8
	s_wait_dscnt 0x0
	v_mul_f32_e32 v88, v88, v89
	scratch_store_b32 off, v88, off offset:8
.LBB41_386:
	s_wait_xcnt 0x0
	s_or_b32 exec_lo, exec_lo, s0
	scratch_load_b32 v88, off, off offset:4
	v_cmp_lt_u32_e64 s0, 1, v0
	s_wait_loadcnt 0x0
	ds_store_b32 v1, v88
	s_wait_storecnt_dscnt 0x0
	s_barrier_signal -1
	s_barrier_wait -1
	s_wait_xcnt 0x0
	s_and_saveexec_b32 s2, s0
	s_cbranch_execz .LBB41_396
; %bb.387:
	s_and_not1_b32 vcc_lo, exec_lo, s3
	s_cbranch_vccnz .LBB41_389
; %bb.388:
	scratch_load_b32 v88, v7, off
	ds_load_b32 v89, v1
	s_wait_loadcnt_dscnt 0x0
	v_mul_f32_e32 v88, v88, v89
	s_cbranch_execz .LBB41_390
	s_branch .LBB41_391
.LBB41_389:
                                        ; implicit-def: $vgpr88
.LBB41_390:
	ds_load_b32 v88, v1
.LBB41_391:
	s_and_saveexec_b32 s4, s1
	s_cbranch_execz .LBB41_395
; %bb.392:
	v_add_nc_u32_e32 v89, -2, v0
	s_or_b32 s1, 0, 8
	s_movk_i32 s8, 0xb8
	s_mov_b32 s5, 0
.LBB41_393:                             ; =>This Inner Loop Header: Depth=1
	scratch_load_b32 v90, off, s1
	v_dual_mov_b32 v91, s8 :: v_dual_add_nc_u32 v89, -1, v89
	s_add_co_i32 s8, s8, 4
	s_wait_xcnt 0x0
	s_add_co_i32 s1, s1, 4
	ds_load_b32 v91, v91
	v_cmp_eq_u32_e32 vcc_lo, 0, v89
	s_or_b32 s5, vcc_lo, s5
	s_wait_loadcnt_dscnt 0x0
	v_fmac_f32_e32 v88, v90, v91
	s_and_not1_b32 exec_lo, exec_lo, s5
	s_cbranch_execnz .LBB41_393
; %bb.394:
	s_or_b32 exec_lo, exec_lo, s5
.LBB41_395:
	s_delay_alu instid0(SALU_CYCLE_1)
	s_or_b32 exec_lo, exec_lo, s4
	v_mov_b32_e32 v89, 0
	ds_load_b32 v89, v89 offset:4
	s_wait_dscnt 0x0
	v_mul_f32_e32 v88, v88, v89
	scratch_store_b32 off, v88, off offset:4
.LBB41_396:
	s_wait_xcnt 0x0
	s_or_b32 exec_lo, exec_lo, s2
	scratch_load_b32 v88, off, off
	s_mov_b32 s1, 0
	s_mov_b32 s2, exec_lo
	s_wait_loadcnt 0x0
	ds_store_b32 v1, v88
	s_wait_storecnt_dscnt 0x0
	s_barrier_signal -1
	s_barrier_wait -1
	s_wait_xcnt 0x0
	v_cmpx_ne_u32_e32 0, v0
	s_cbranch_execz .LBB41_406
; %bb.397:
	s_and_not1_b32 vcc_lo, exec_lo, s3
	s_cbranch_vccnz .LBB41_399
; %bb.398:
	scratch_load_b32 v88, v7, off
	ds_load_b32 v89, v1
	s_wait_loadcnt_dscnt 0x0
	v_mul_f32_e32 v88, v88, v89
	s_cbranch_execz .LBB41_400
	s_branch .LBB41_401
.LBB41_399:
                                        ; implicit-def: $vgpr88
.LBB41_400:
	ds_load_b32 v88, v1
.LBB41_401:
	s_and_saveexec_b32 s4, s0
	s_cbranch_execz .LBB41_405
; %bb.402:
	v_add_nc_u32_e32 v89, -1, v0
	s_or_b32 s0, 0, 4
	s_movk_i32 s8, 0xb4
	s_mov_b32 s5, 0
.LBB41_403:                             ; =>This Inner Loop Header: Depth=1
	scratch_load_b32 v90, off, s0
	v_dual_mov_b32 v91, s8 :: v_dual_add_nc_u32 v89, -1, v89
	s_add_co_i32 s8, s8, 4
	s_wait_xcnt 0x0
	s_add_co_i32 s0, s0, 4
	ds_load_b32 v91, v91
	v_cmp_eq_u32_e32 vcc_lo, 0, v89
	s_or_b32 s5, vcc_lo, s5
	s_wait_loadcnt_dscnt 0x0
	v_fmac_f32_e32 v88, v90, v91
	s_and_not1_b32 exec_lo, exec_lo, s5
	s_cbranch_execnz .LBB41_403
; %bb.404:
	s_or_b32 exec_lo, exec_lo, s5
.LBB41_405:
	s_delay_alu instid0(SALU_CYCLE_1)
	s_or_b32 exec_lo, exec_lo, s4
	v_mov_b32_e32 v89, 0
	ds_load_b32 v89, v89
	s_wait_dscnt 0x0
	v_mul_f32_e32 v88, v88, v89
	scratch_store_b32 off, v88, off
.LBB41_406:
	s_wait_xcnt 0x0
	s_or_b32 exec_lo, exec_lo, s2
.LBB41_407:
	v_lshl_add_u64 v[104:105], v[8:9], 2, s[6:7]
	v_lshl_add_u64 v[106:107], v[10:11], 2, s[6:7]
	v_lshl_add_u64 v[100:101], v[12:13], 2, s[6:7]
	v_lshl_add_u64 v[102:103], v[14:15], 2, s[6:7]
	v_lshl_add_u64 v[96:97], v[16:17], 2, s[6:7]
	v_lshl_add_u64 v[98:99], v[18:19], 2, s[6:7]
	v_lshl_add_u64 v[92:93], v[20:21], 2, s[6:7]
	v_lshl_add_u64 v[94:95], v[22:23], 2, s[6:7]
	v_lshl_add_u64 v[88:89], v[24:25], 2, s[6:7]
	v_lshl_add_u64 v[90:91], v[26:27], 2, s[6:7]
	v_lshl_add_u64 v[8:9], v[28:29], 2, s[6:7]
	v_lshl_add_u64 v[10:11], v[30:31], 2, s[6:7]
	v_lshl_add_u64 v[12:13], v[32:33], 2, s[6:7]
	v_lshl_add_u64 v[14:15], v[34:35], 2, s[6:7]
	v_lshl_add_u64 v[16:17], v[36:37], 2, s[6:7]
	v_lshl_add_u64 v[18:19], v[38:39], 2, s[6:7]
	v_lshl_add_u64 v[20:21], v[40:41], 2, s[6:7]
	v_lshl_add_u64 v[22:23], v[42:43], 2, s[6:7]
	v_lshl_add_u64 v[24:25], v[44:45], 2, s[6:7]
	v_lshl_add_u64 v[26:27], v[46:47], 2, s[6:7]
	v_lshl_add_u64 v[28:29], v[48:49], 2, s[6:7]
	v_lshl_add_u64 v[30:31], v[50:51], 2, s[6:7]
	v_lshl_add_u64 v[32:33], v[52:53], 2, s[6:7]
	v_lshl_add_u64 v[34:35], v[54:55], 2, s[6:7]
	v_lshl_add_u64 v[36:37], v[56:57], 2, s[6:7]
	v_lshl_add_u64 v[38:39], v[58:59], 2, s[6:7]
	v_lshl_add_u64 v[40:41], v[60:61], 2, s[6:7]
	v_lshl_add_u64 v[42:43], v[62:63], 2, s[6:7]
	v_lshl_add_u64 v[44:45], v[64:65], 2, s[6:7]
	v_lshl_add_u64 v[46:47], v[66:67], 2, s[6:7]
	v_lshl_add_u64 v[48:49], v[68:69], 2, s[6:7]
	v_lshl_add_u64 v[50:51], v[70:71], 2, s[6:7]
	v_lshl_add_u64 v[52:53], v[72:73], 2, s[6:7]
	v_lshl_add_u64 v[54:55], v[74:75], 2, s[6:7]
	v_lshl_add_u64 v[56:57], v[76:77], 2, s[6:7]
	v_lshl_add_u64 v[58:59], v[78:79], 2, s[6:7]
	v_lshl_add_u64 v[60:61], v[80:81], 2, s[6:7]
	v_lshl_add_u64 v[62:63], v[82:83], 2, s[6:7]
	v_lshl_add_u64 v[64:65], v[84:85], 2, s[6:7]
	v_lshl_add_u64 v[66:67], v[86:87], 2, s[6:7]
	s_and_b32 vcc_lo, exec_lo, s1
	s_cbranch_vccz .LBB41_809
; %bb.408:
	scratch_load_b32 v68, off, off offset:4
	v_cmp_eq_u32_e64 s0, 0, v0
	s_wait_loadcnt 0x0
	ds_store_b32 v1, v68
	s_wait_storecnt_dscnt 0x0
	s_barrier_signal -1
	s_barrier_wait -1
	s_wait_xcnt 0x0
	s_and_saveexec_b32 s1, s0
	s_cbranch_execz .LBB41_414
; %bb.409:
	s_and_b32 vcc_lo, exec_lo, s3
	s_cbranch_vccz .LBB41_411
; %bb.410:
	scratch_load_b32 v68, v7, off
	ds_load_b32 v69, v1
	s_wait_loadcnt_dscnt 0x0
	v_mul_f32_e32 v68, v68, v69
	s_cbranch_execz .LBB41_412
	s_branch .LBB41_413
.LBB41_411:
                                        ; implicit-def: $vgpr68
.LBB41_412:
	ds_load_b32 v68, v1
.LBB41_413:
	v_mov_b32_e32 v69, 0
	ds_load_b32 v69, v69 offset:4
	s_wait_dscnt 0x0
	v_mul_f32_e32 v68, v68, v69
	scratch_store_b32 off, v68, off offset:4
.LBB41_414:
	s_wait_xcnt 0x0
	s_or_b32 exec_lo, exec_lo, s1
	scratch_load_b32 v69, off, off offset:8
	v_cndmask_b32_e64 v68, 0, 1, s3
	s_mov_b32 s1, exec_lo
	s_wait_loadcnt 0x0
	ds_store_b32 v1, v69
	s_wait_storecnt_dscnt 0x0
	s_barrier_signal -1
	s_barrier_wait -1
	s_wait_xcnt 0x0
	v_cmpx_gt_u32_e32 2, v0
	s_cbranch_execz .LBB41_420
; %bb.415:
	s_and_not1_b32 vcc_lo, exec_lo, s3
	s_cbranch_vccnz .LBB41_417
; %bb.416:
	scratch_load_b32 v69, v7, off
	ds_load_b32 v70, v1
	s_wait_loadcnt_dscnt 0x0
	v_mul_f32_e32 v69, v69, v70
	s_cbranch_execz .LBB41_418
	s_branch .LBB41_419
.LBB41_417:
                                        ; implicit-def: $vgpr69
.LBB41_418:
	ds_load_b32 v69, v1
.LBB41_419:
	scratch_load_b32 v72, off, off offset:4
	v_mov_b32_e32 v70, 0
	ds_load_2addr_b32 v[70:71], v70 offset0:2 offset1:45
	s_wait_loadcnt_dscnt 0x0
	v_fma_f32 v71, v72, v71, v69
	s_delay_alu instid0(VALU_DEP_1) | instskip(NEXT) | instid1(VALU_DEP_1)
	v_cndmask_b32_e64 v69, v69, v71, s0
	v_mul_f32_e32 v69, v69, v70
	scratch_store_b32 off, v69, off offset:8
.LBB41_420:
	s_wait_xcnt 0x0
	s_or_b32 exec_lo, exec_lo, s1
	scratch_load_b32 v69, off, off offset:12
	s_mov_b32 s1, exec_lo
	s_wait_loadcnt 0x0
	ds_store_b32 v1, v69
	s_wait_storecnt_dscnt 0x0
	s_barrier_signal -1
	s_barrier_wait -1
	s_wait_xcnt 0x0
	v_cmpx_gt_u32_e32 3, v0
	s_cbranch_execz .LBB41_428
; %bb.421:
	v_cmp_ne_u32_e32 vcc_lo, 1, v68
	s_cbranch_vccnz .LBB41_423
; %bb.422:
	scratch_load_b32 v69, v7, off
	ds_load_b32 v70, v1
	s_wait_loadcnt_dscnt 0x0
	v_mul_f32_e32 v69, v69, v70
	s_cbranch_execz .LBB41_424
	s_branch .LBB41_425
.LBB41_423:
                                        ; implicit-def: $vgpr69
.LBB41_424:
	ds_load_b32 v69, v1
.LBB41_425:
	s_mov_b32 s2, exec_lo
	v_cmpx_ne_u32_e32 2, v0
	s_cbranch_execz .LBB41_427
; %bb.426:
	scratch_load_b32 v70, v7, off offset:4
	scratch_load_b32 v71, off, off offset:8
	ds_load_b32 v72, v1 offset:4
	v_mov_b32_e32 v73, 0
	ds_load_b32 v73, v73 offset:184
	s_wait_loadcnt_dscnt 0x101
	v_fmac_f32_e32 v69, v70, v72
	s_wait_loadcnt_dscnt 0x0
	s_delay_alu instid0(VALU_DEP_1) | instskip(NEXT) | instid1(VALU_DEP_1)
	v_fma_f32 v70, v71, v73, v69
	v_cndmask_b32_e64 v69, v69, v70, s0
.LBB41_427:
	s_or_b32 exec_lo, exec_lo, s2
	v_mov_b32_e32 v70, 0
	ds_load_b32 v70, v70 offset:12
	s_wait_dscnt 0x0
	v_mul_f32_e32 v69, v69, v70
	scratch_store_b32 off, v69, off offset:12
.LBB41_428:
	s_wait_xcnt 0x0
	s_or_b32 exec_lo, exec_lo, s1
	scratch_load_b32 v69, off, off offset:16
	s_mov_b32 s0, exec_lo
	s_wait_loadcnt 0x0
	ds_store_b32 v1, v69
	s_wait_storecnt_dscnt 0x0
	s_barrier_signal -1
	s_barrier_wait -1
	s_wait_xcnt 0x0
	v_cmpx_gt_u32_e32 4, v0
	s_cbranch_execz .LBB41_438
; %bb.429:
	v_cmp_ne_u32_e32 vcc_lo, 1, v68
	s_cbranch_vccnz .LBB41_431
; %bb.430:
	scratch_load_b32 v69, v7, off
	ds_load_b32 v70, v1
	s_wait_loadcnt_dscnt 0x0
	v_mul_f32_e32 v69, v69, v70
	s_cbranch_execz .LBB41_432
	s_branch .LBB41_433
.LBB41_431:
                                        ; implicit-def: $vgpr69
.LBB41_432:
	ds_load_b32 v69, v1
.LBB41_433:
	s_mov_b32 s1, exec_lo
	v_cmpx_ne_u32_e32 3, v0
	s_cbranch_execz .LBB41_437
; %bb.434:
	v_add_nc_u32_e32 v70, 0xb4, v6
	v_add3_u32 v71, 0, v6, 4
	v_mov_b32_e32 v72, v0
	s_mov_b32 s2, 0
.LBB41_435:                             ; =>This Inner Loop Header: Depth=1
	scratch_load_b32 v73, v71, off
	ds_load_b32 v74, v70
	v_dual_add_nc_u32 v72, 1, v72 :: v_dual_add_nc_u32 v70, 4, v70
	s_wait_xcnt 0x0
	v_add_nc_u32_e32 v71, 4, v71
	s_delay_alu instid0(VALU_DEP_2)
	v_cmp_lt_u32_e32 vcc_lo, 2, v72
	s_or_b32 s2, vcc_lo, s2
	s_wait_loadcnt_dscnt 0x0
	v_fmac_f32_e32 v69, v73, v74
	s_and_not1_b32 exec_lo, exec_lo, s2
	s_cbranch_execnz .LBB41_435
; %bb.436:
	s_or_b32 exec_lo, exec_lo, s2
.LBB41_437:
	s_delay_alu instid0(SALU_CYCLE_1)
	s_or_b32 exec_lo, exec_lo, s1
	v_mov_b32_e32 v70, 0
	ds_load_b32 v70, v70 offset:16
	s_wait_dscnt 0x0
	v_mul_f32_e32 v69, v69, v70
	scratch_store_b32 off, v69, off offset:16
.LBB41_438:
	s_wait_xcnt 0x0
	s_or_b32 exec_lo, exec_lo, s0
	scratch_load_b32 v69, off, off offset:20
	s_mov_b32 s0, exec_lo
	s_wait_loadcnt 0x0
	ds_store_b32 v1, v69
	s_wait_storecnt_dscnt 0x0
	s_barrier_signal -1
	s_barrier_wait -1
	s_wait_xcnt 0x0
	v_cmpx_gt_u32_e32 5, v0
	s_cbranch_execz .LBB41_448
; %bb.439:
	v_cmp_ne_u32_e32 vcc_lo, 1, v68
	s_cbranch_vccnz .LBB41_441
; %bb.440:
	scratch_load_b32 v69, v7, off
	ds_load_b32 v70, v1
	s_wait_loadcnt_dscnt 0x0
	v_mul_f32_e32 v69, v69, v70
	s_cbranch_execz .LBB41_442
	s_branch .LBB41_443
.LBB41_441:
                                        ; implicit-def: $vgpr69
.LBB41_442:
	ds_load_b32 v69, v1
.LBB41_443:
	s_mov_b32 s1, exec_lo
	v_cmpx_ne_u32_e32 4, v0
	s_cbranch_execz .LBB41_447
; %bb.444:
	v_add_nc_u32_e32 v70, 0xb4, v6
	v_add3_u32 v71, 0, v6, 4
	v_mov_b32_e32 v72, v0
	s_mov_b32 s2, 0
.LBB41_445:                             ; =>This Inner Loop Header: Depth=1
	scratch_load_b32 v73, v71, off
	ds_load_b32 v74, v70
	v_dual_add_nc_u32 v72, 1, v72 :: v_dual_add_nc_u32 v70, 4, v70
	s_wait_xcnt 0x0
	v_add_nc_u32_e32 v71, 4, v71
	s_delay_alu instid0(VALU_DEP_2)
	v_cmp_lt_u32_e32 vcc_lo, 3, v72
	s_or_b32 s2, vcc_lo, s2
	s_wait_loadcnt_dscnt 0x0
	v_fmac_f32_e32 v69, v73, v74
	s_and_not1_b32 exec_lo, exec_lo, s2
	s_cbranch_execnz .LBB41_445
; %bb.446:
	s_or_b32 exec_lo, exec_lo, s2
.LBB41_447:
	s_delay_alu instid0(SALU_CYCLE_1)
	s_or_b32 exec_lo, exec_lo, s1
	v_mov_b32_e32 v70, 0
	ds_load_b32 v70, v70 offset:20
	s_wait_dscnt 0x0
	v_mul_f32_e32 v69, v69, v70
	scratch_store_b32 off, v69, off offset:20
.LBB41_448:
	s_wait_xcnt 0x0
	s_or_b32 exec_lo, exec_lo, s0
	scratch_load_b32 v69, off, off offset:24
	s_mov_b32 s0, exec_lo
	s_wait_loadcnt 0x0
	ds_store_b32 v1, v69
	s_wait_storecnt_dscnt 0x0
	s_barrier_signal -1
	s_barrier_wait -1
	s_wait_xcnt 0x0
	v_cmpx_gt_u32_e32 6, v0
	s_cbranch_execz .LBB41_458
; %bb.449:
	v_cmp_ne_u32_e32 vcc_lo, 1, v68
	s_cbranch_vccnz .LBB41_451
; %bb.450:
	scratch_load_b32 v69, v7, off
	ds_load_b32 v70, v1
	s_wait_loadcnt_dscnt 0x0
	v_mul_f32_e32 v69, v69, v70
	s_cbranch_execz .LBB41_452
	s_branch .LBB41_453
.LBB41_451:
                                        ; implicit-def: $vgpr69
.LBB41_452:
	ds_load_b32 v69, v1
.LBB41_453:
	s_mov_b32 s1, exec_lo
	v_cmpx_ne_u32_e32 5, v0
	s_cbranch_execz .LBB41_457
; %bb.454:
	v_add_nc_u32_e32 v70, 0xb4, v6
	v_add3_u32 v71, 0, v6, 4
	v_mov_b32_e32 v72, v0
	s_mov_b32 s2, 0
.LBB41_455:                             ; =>This Inner Loop Header: Depth=1
	scratch_load_b32 v73, v71, off
	ds_load_b32 v74, v70
	v_dual_add_nc_u32 v72, 1, v72 :: v_dual_add_nc_u32 v70, 4, v70
	s_wait_xcnt 0x0
	v_add_nc_u32_e32 v71, 4, v71
	s_delay_alu instid0(VALU_DEP_2)
	v_cmp_lt_u32_e32 vcc_lo, 4, v72
	s_or_b32 s2, vcc_lo, s2
	s_wait_loadcnt_dscnt 0x0
	v_fmac_f32_e32 v69, v73, v74
	s_and_not1_b32 exec_lo, exec_lo, s2
	s_cbranch_execnz .LBB41_455
; %bb.456:
	s_or_b32 exec_lo, exec_lo, s2
.LBB41_457:
	s_delay_alu instid0(SALU_CYCLE_1)
	s_or_b32 exec_lo, exec_lo, s1
	v_mov_b32_e32 v70, 0
	ds_load_b32 v70, v70 offset:24
	s_wait_dscnt 0x0
	v_mul_f32_e32 v69, v69, v70
	scratch_store_b32 off, v69, off offset:24
.LBB41_458:
	s_wait_xcnt 0x0
	s_or_b32 exec_lo, exec_lo, s0
	scratch_load_b32 v69, off, off offset:28
	s_mov_b32 s0, exec_lo
	s_wait_loadcnt 0x0
	ds_store_b32 v1, v69
	s_wait_storecnt_dscnt 0x0
	s_barrier_signal -1
	s_barrier_wait -1
	s_wait_xcnt 0x0
	v_cmpx_gt_u32_e32 7, v0
	s_cbranch_execz .LBB41_468
; %bb.459:
	v_cmp_ne_u32_e32 vcc_lo, 1, v68
	s_cbranch_vccnz .LBB41_461
; %bb.460:
	scratch_load_b32 v69, v7, off
	ds_load_b32 v70, v1
	s_wait_loadcnt_dscnt 0x0
	v_mul_f32_e32 v69, v69, v70
	s_cbranch_execz .LBB41_462
	s_branch .LBB41_463
.LBB41_461:
                                        ; implicit-def: $vgpr69
.LBB41_462:
	ds_load_b32 v69, v1
.LBB41_463:
	s_mov_b32 s1, exec_lo
	v_cmpx_ne_u32_e32 6, v0
	s_cbranch_execz .LBB41_467
; %bb.464:
	v_add_nc_u32_e32 v70, 0xb4, v6
	v_add3_u32 v71, 0, v6, 4
	v_mov_b32_e32 v72, v0
	s_mov_b32 s2, 0
.LBB41_465:                             ; =>This Inner Loop Header: Depth=1
	scratch_load_b32 v73, v71, off
	ds_load_b32 v74, v70
	v_dual_add_nc_u32 v72, 1, v72 :: v_dual_add_nc_u32 v70, 4, v70
	s_wait_xcnt 0x0
	v_add_nc_u32_e32 v71, 4, v71
	s_delay_alu instid0(VALU_DEP_2)
	v_cmp_lt_u32_e32 vcc_lo, 5, v72
	s_or_b32 s2, vcc_lo, s2
	s_wait_loadcnt_dscnt 0x0
	v_fmac_f32_e32 v69, v73, v74
	s_and_not1_b32 exec_lo, exec_lo, s2
	s_cbranch_execnz .LBB41_465
; %bb.466:
	s_or_b32 exec_lo, exec_lo, s2
.LBB41_467:
	s_delay_alu instid0(SALU_CYCLE_1)
	s_or_b32 exec_lo, exec_lo, s1
	v_mov_b32_e32 v70, 0
	ds_load_b32 v70, v70 offset:28
	s_wait_dscnt 0x0
	v_mul_f32_e32 v69, v69, v70
	scratch_store_b32 off, v69, off offset:28
.LBB41_468:
	s_wait_xcnt 0x0
	s_or_b32 exec_lo, exec_lo, s0
	scratch_load_b32 v69, off, off offset:32
	s_mov_b32 s0, exec_lo
	s_wait_loadcnt 0x0
	ds_store_b32 v1, v69
	s_wait_storecnt_dscnt 0x0
	s_barrier_signal -1
	s_barrier_wait -1
	s_wait_xcnt 0x0
	v_cmpx_gt_u32_e32 8, v0
	s_cbranch_execz .LBB41_478
; %bb.469:
	v_cmp_ne_u32_e32 vcc_lo, 1, v68
	s_cbranch_vccnz .LBB41_471
; %bb.470:
	scratch_load_b32 v69, v7, off
	ds_load_b32 v70, v1
	s_wait_loadcnt_dscnt 0x0
	v_mul_f32_e32 v69, v69, v70
	s_cbranch_execz .LBB41_472
	s_branch .LBB41_473
.LBB41_471:
                                        ; implicit-def: $vgpr69
.LBB41_472:
	ds_load_b32 v69, v1
.LBB41_473:
	s_mov_b32 s1, exec_lo
	v_cmpx_ne_u32_e32 7, v0
	s_cbranch_execz .LBB41_477
; %bb.474:
	v_add_nc_u32_e32 v70, 0xb4, v6
	v_add3_u32 v71, 0, v6, 4
	v_mov_b32_e32 v72, v0
	s_mov_b32 s2, 0
.LBB41_475:                             ; =>This Inner Loop Header: Depth=1
	scratch_load_b32 v73, v71, off
	ds_load_b32 v74, v70
	v_dual_add_nc_u32 v72, 1, v72 :: v_dual_add_nc_u32 v70, 4, v70
	s_wait_xcnt 0x0
	v_add_nc_u32_e32 v71, 4, v71
	s_delay_alu instid0(VALU_DEP_2)
	v_cmp_lt_u32_e32 vcc_lo, 6, v72
	s_or_b32 s2, vcc_lo, s2
	s_wait_loadcnt_dscnt 0x0
	v_fmac_f32_e32 v69, v73, v74
	s_and_not1_b32 exec_lo, exec_lo, s2
	s_cbranch_execnz .LBB41_475
; %bb.476:
	s_or_b32 exec_lo, exec_lo, s2
.LBB41_477:
	s_delay_alu instid0(SALU_CYCLE_1)
	s_or_b32 exec_lo, exec_lo, s1
	v_mov_b32_e32 v70, 0
	ds_load_b32 v70, v70 offset:32
	s_wait_dscnt 0x0
	v_mul_f32_e32 v69, v69, v70
	scratch_store_b32 off, v69, off offset:32
.LBB41_478:
	s_wait_xcnt 0x0
	s_or_b32 exec_lo, exec_lo, s0
	scratch_load_b32 v69, off, off offset:36
	s_mov_b32 s0, exec_lo
	s_wait_loadcnt 0x0
	ds_store_b32 v1, v69
	s_wait_storecnt_dscnt 0x0
	s_barrier_signal -1
	s_barrier_wait -1
	s_wait_xcnt 0x0
	v_cmpx_gt_u32_e32 9, v0
	s_cbranch_execz .LBB41_488
; %bb.479:
	v_cmp_ne_u32_e32 vcc_lo, 1, v68
	s_cbranch_vccnz .LBB41_481
; %bb.480:
	scratch_load_b32 v69, v7, off
	ds_load_b32 v70, v1
	s_wait_loadcnt_dscnt 0x0
	v_mul_f32_e32 v69, v69, v70
	s_cbranch_execz .LBB41_482
	s_branch .LBB41_483
.LBB41_481:
                                        ; implicit-def: $vgpr69
.LBB41_482:
	ds_load_b32 v69, v1
.LBB41_483:
	s_mov_b32 s1, exec_lo
	v_cmpx_ne_u32_e32 8, v0
	s_cbranch_execz .LBB41_487
; %bb.484:
	v_add_nc_u32_e32 v70, 0xb4, v6
	v_add3_u32 v71, 0, v6, 4
	v_mov_b32_e32 v72, v0
	s_mov_b32 s2, 0
.LBB41_485:                             ; =>This Inner Loop Header: Depth=1
	scratch_load_b32 v73, v71, off
	ds_load_b32 v74, v70
	v_dual_add_nc_u32 v72, 1, v72 :: v_dual_add_nc_u32 v70, 4, v70
	s_wait_xcnt 0x0
	v_add_nc_u32_e32 v71, 4, v71
	s_delay_alu instid0(VALU_DEP_2)
	v_cmp_lt_u32_e32 vcc_lo, 7, v72
	s_or_b32 s2, vcc_lo, s2
	s_wait_loadcnt_dscnt 0x0
	v_fmac_f32_e32 v69, v73, v74
	s_and_not1_b32 exec_lo, exec_lo, s2
	s_cbranch_execnz .LBB41_485
; %bb.486:
	s_or_b32 exec_lo, exec_lo, s2
.LBB41_487:
	s_delay_alu instid0(SALU_CYCLE_1)
	s_or_b32 exec_lo, exec_lo, s1
	v_mov_b32_e32 v70, 0
	ds_load_b32 v70, v70 offset:36
	s_wait_dscnt 0x0
	v_mul_f32_e32 v69, v69, v70
	scratch_store_b32 off, v69, off offset:36
.LBB41_488:
	s_wait_xcnt 0x0
	s_or_b32 exec_lo, exec_lo, s0
	scratch_load_b32 v69, off, off offset:40
	s_mov_b32 s0, exec_lo
	s_wait_loadcnt 0x0
	ds_store_b32 v1, v69
	s_wait_storecnt_dscnt 0x0
	s_barrier_signal -1
	s_barrier_wait -1
	s_wait_xcnt 0x0
	v_cmpx_gt_u32_e32 10, v0
	s_cbranch_execz .LBB41_498
; %bb.489:
	v_cmp_ne_u32_e32 vcc_lo, 1, v68
	s_cbranch_vccnz .LBB41_491
; %bb.490:
	scratch_load_b32 v69, v7, off
	ds_load_b32 v70, v1
	s_wait_loadcnt_dscnt 0x0
	v_mul_f32_e32 v69, v69, v70
	s_cbranch_execz .LBB41_492
	s_branch .LBB41_493
.LBB41_491:
                                        ; implicit-def: $vgpr69
.LBB41_492:
	ds_load_b32 v69, v1
.LBB41_493:
	s_mov_b32 s1, exec_lo
	v_cmpx_ne_u32_e32 9, v0
	s_cbranch_execz .LBB41_497
; %bb.494:
	v_add_nc_u32_e32 v70, 0xb4, v6
	v_add3_u32 v71, 0, v6, 4
	v_mov_b32_e32 v72, v0
	s_mov_b32 s2, 0
.LBB41_495:                             ; =>This Inner Loop Header: Depth=1
	scratch_load_b32 v73, v71, off
	ds_load_b32 v74, v70
	v_dual_add_nc_u32 v72, 1, v72 :: v_dual_add_nc_u32 v70, 4, v70
	s_wait_xcnt 0x0
	v_add_nc_u32_e32 v71, 4, v71
	s_delay_alu instid0(VALU_DEP_2)
	v_cmp_lt_u32_e32 vcc_lo, 8, v72
	s_or_b32 s2, vcc_lo, s2
	s_wait_loadcnt_dscnt 0x0
	v_fmac_f32_e32 v69, v73, v74
	s_and_not1_b32 exec_lo, exec_lo, s2
	s_cbranch_execnz .LBB41_495
; %bb.496:
	s_or_b32 exec_lo, exec_lo, s2
.LBB41_497:
	s_delay_alu instid0(SALU_CYCLE_1)
	s_or_b32 exec_lo, exec_lo, s1
	v_mov_b32_e32 v70, 0
	ds_load_b32 v70, v70 offset:40
	s_wait_dscnt 0x0
	v_mul_f32_e32 v69, v69, v70
	scratch_store_b32 off, v69, off offset:40
.LBB41_498:
	s_wait_xcnt 0x0
	s_or_b32 exec_lo, exec_lo, s0
	scratch_load_b32 v69, off, off offset:44
	s_mov_b32 s0, exec_lo
	s_wait_loadcnt 0x0
	ds_store_b32 v1, v69
	s_wait_storecnt_dscnt 0x0
	s_barrier_signal -1
	s_barrier_wait -1
	s_wait_xcnt 0x0
	v_cmpx_gt_u32_e32 11, v0
	s_cbranch_execz .LBB41_508
; %bb.499:
	v_cmp_ne_u32_e32 vcc_lo, 1, v68
	s_cbranch_vccnz .LBB41_501
; %bb.500:
	scratch_load_b32 v69, v7, off
	ds_load_b32 v70, v1
	s_wait_loadcnt_dscnt 0x0
	v_mul_f32_e32 v69, v69, v70
	s_cbranch_execz .LBB41_502
	s_branch .LBB41_503
.LBB41_501:
                                        ; implicit-def: $vgpr69
.LBB41_502:
	ds_load_b32 v69, v1
.LBB41_503:
	s_mov_b32 s1, exec_lo
	v_cmpx_ne_u32_e32 10, v0
	s_cbranch_execz .LBB41_507
; %bb.504:
	v_add_nc_u32_e32 v70, 0xb4, v6
	v_add3_u32 v71, 0, v6, 4
	v_mov_b32_e32 v72, v0
	s_mov_b32 s2, 0
.LBB41_505:                             ; =>This Inner Loop Header: Depth=1
	scratch_load_b32 v73, v71, off
	ds_load_b32 v74, v70
	v_dual_add_nc_u32 v72, 1, v72 :: v_dual_add_nc_u32 v70, 4, v70
	s_wait_xcnt 0x0
	v_add_nc_u32_e32 v71, 4, v71
	s_delay_alu instid0(VALU_DEP_2)
	v_cmp_lt_u32_e32 vcc_lo, 9, v72
	s_or_b32 s2, vcc_lo, s2
	s_wait_loadcnt_dscnt 0x0
	v_fmac_f32_e32 v69, v73, v74
	s_and_not1_b32 exec_lo, exec_lo, s2
	s_cbranch_execnz .LBB41_505
; %bb.506:
	s_or_b32 exec_lo, exec_lo, s2
.LBB41_507:
	s_delay_alu instid0(SALU_CYCLE_1)
	s_or_b32 exec_lo, exec_lo, s1
	v_mov_b32_e32 v70, 0
	ds_load_b32 v70, v70 offset:44
	s_wait_dscnt 0x0
	v_mul_f32_e32 v69, v69, v70
	scratch_store_b32 off, v69, off offset:44
.LBB41_508:
	s_wait_xcnt 0x0
	s_or_b32 exec_lo, exec_lo, s0
	scratch_load_b32 v69, off, off offset:48
	s_mov_b32 s0, exec_lo
	s_wait_loadcnt 0x0
	ds_store_b32 v1, v69
	s_wait_storecnt_dscnt 0x0
	s_barrier_signal -1
	s_barrier_wait -1
	s_wait_xcnt 0x0
	v_cmpx_gt_u32_e32 12, v0
	s_cbranch_execz .LBB41_518
; %bb.509:
	v_cmp_ne_u32_e32 vcc_lo, 1, v68
	s_cbranch_vccnz .LBB41_511
; %bb.510:
	scratch_load_b32 v69, v7, off
	ds_load_b32 v70, v1
	s_wait_loadcnt_dscnt 0x0
	v_mul_f32_e32 v69, v69, v70
	s_cbranch_execz .LBB41_512
	s_branch .LBB41_513
.LBB41_511:
                                        ; implicit-def: $vgpr69
.LBB41_512:
	ds_load_b32 v69, v1
.LBB41_513:
	s_mov_b32 s1, exec_lo
	v_cmpx_ne_u32_e32 11, v0
	s_cbranch_execz .LBB41_517
; %bb.514:
	v_add_nc_u32_e32 v70, 0xb4, v6
	v_add3_u32 v71, 0, v6, 4
	v_mov_b32_e32 v72, v0
	s_mov_b32 s2, 0
.LBB41_515:                             ; =>This Inner Loop Header: Depth=1
	scratch_load_b32 v73, v71, off
	ds_load_b32 v74, v70
	v_dual_add_nc_u32 v72, 1, v72 :: v_dual_add_nc_u32 v70, 4, v70
	s_wait_xcnt 0x0
	v_add_nc_u32_e32 v71, 4, v71
	s_delay_alu instid0(VALU_DEP_2)
	v_cmp_lt_u32_e32 vcc_lo, 10, v72
	s_or_b32 s2, vcc_lo, s2
	s_wait_loadcnt_dscnt 0x0
	v_fmac_f32_e32 v69, v73, v74
	s_and_not1_b32 exec_lo, exec_lo, s2
	s_cbranch_execnz .LBB41_515
; %bb.516:
	s_or_b32 exec_lo, exec_lo, s2
.LBB41_517:
	s_delay_alu instid0(SALU_CYCLE_1)
	s_or_b32 exec_lo, exec_lo, s1
	v_mov_b32_e32 v70, 0
	ds_load_b32 v70, v70 offset:48
	s_wait_dscnt 0x0
	v_mul_f32_e32 v69, v69, v70
	scratch_store_b32 off, v69, off offset:48
.LBB41_518:
	s_wait_xcnt 0x0
	s_or_b32 exec_lo, exec_lo, s0
	scratch_load_b32 v69, off, off offset:52
	s_mov_b32 s0, exec_lo
	s_wait_loadcnt 0x0
	ds_store_b32 v1, v69
	s_wait_storecnt_dscnt 0x0
	s_barrier_signal -1
	s_barrier_wait -1
	s_wait_xcnt 0x0
	v_cmpx_gt_u32_e32 13, v0
	s_cbranch_execz .LBB41_528
; %bb.519:
	v_cmp_ne_u32_e32 vcc_lo, 1, v68
	s_cbranch_vccnz .LBB41_521
; %bb.520:
	scratch_load_b32 v69, v7, off
	ds_load_b32 v70, v1
	s_wait_loadcnt_dscnt 0x0
	v_mul_f32_e32 v69, v69, v70
	s_cbranch_execz .LBB41_522
	s_branch .LBB41_523
.LBB41_521:
                                        ; implicit-def: $vgpr69
.LBB41_522:
	ds_load_b32 v69, v1
.LBB41_523:
	s_mov_b32 s1, exec_lo
	v_cmpx_ne_u32_e32 12, v0
	s_cbranch_execz .LBB41_527
; %bb.524:
	v_add_nc_u32_e32 v70, 0xb4, v6
	v_add3_u32 v71, 0, v6, 4
	v_mov_b32_e32 v72, v0
	s_mov_b32 s2, 0
.LBB41_525:                             ; =>This Inner Loop Header: Depth=1
	scratch_load_b32 v73, v71, off
	ds_load_b32 v74, v70
	v_dual_add_nc_u32 v72, 1, v72 :: v_dual_add_nc_u32 v70, 4, v70
	s_wait_xcnt 0x0
	v_add_nc_u32_e32 v71, 4, v71
	s_delay_alu instid0(VALU_DEP_2)
	v_cmp_lt_u32_e32 vcc_lo, 11, v72
	s_or_b32 s2, vcc_lo, s2
	s_wait_loadcnt_dscnt 0x0
	v_fmac_f32_e32 v69, v73, v74
	s_and_not1_b32 exec_lo, exec_lo, s2
	s_cbranch_execnz .LBB41_525
; %bb.526:
	s_or_b32 exec_lo, exec_lo, s2
.LBB41_527:
	s_delay_alu instid0(SALU_CYCLE_1)
	s_or_b32 exec_lo, exec_lo, s1
	v_mov_b32_e32 v70, 0
	ds_load_b32 v70, v70 offset:52
	s_wait_dscnt 0x0
	v_mul_f32_e32 v69, v69, v70
	scratch_store_b32 off, v69, off offset:52
.LBB41_528:
	s_wait_xcnt 0x0
	s_or_b32 exec_lo, exec_lo, s0
	scratch_load_b32 v69, off, off offset:56
	s_mov_b32 s0, exec_lo
	s_wait_loadcnt 0x0
	ds_store_b32 v1, v69
	s_wait_storecnt_dscnt 0x0
	s_barrier_signal -1
	s_barrier_wait -1
	s_wait_xcnt 0x0
	v_cmpx_gt_u32_e32 14, v0
	s_cbranch_execz .LBB41_538
; %bb.529:
	v_cmp_ne_u32_e32 vcc_lo, 1, v68
	s_cbranch_vccnz .LBB41_531
; %bb.530:
	scratch_load_b32 v69, v7, off
	ds_load_b32 v70, v1
	s_wait_loadcnt_dscnt 0x0
	v_mul_f32_e32 v69, v69, v70
	s_cbranch_execz .LBB41_532
	s_branch .LBB41_533
.LBB41_531:
                                        ; implicit-def: $vgpr69
.LBB41_532:
	ds_load_b32 v69, v1
.LBB41_533:
	s_mov_b32 s1, exec_lo
	v_cmpx_ne_u32_e32 13, v0
	s_cbranch_execz .LBB41_537
; %bb.534:
	v_add_nc_u32_e32 v70, 0xb4, v6
	v_add3_u32 v71, 0, v6, 4
	v_mov_b32_e32 v72, v0
	s_mov_b32 s2, 0
.LBB41_535:                             ; =>This Inner Loop Header: Depth=1
	scratch_load_b32 v73, v71, off
	ds_load_b32 v74, v70
	v_dual_add_nc_u32 v72, 1, v72 :: v_dual_add_nc_u32 v70, 4, v70
	s_wait_xcnt 0x0
	v_add_nc_u32_e32 v71, 4, v71
	s_delay_alu instid0(VALU_DEP_2)
	v_cmp_lt_u32_e32 vcc_lo, 12, v72
	s_or_b32 s2, vcc_lo, s2
	s_wait_loadcnt_dscnt 0x0
	v_fmac_f32_e32 v69, v73, v74
	s_and_not1_b32 exec_lo, exec_lo, s2
	s_cbranch_execnz .LBB41_535
; %bb.536:
	s_or_b32 exec_lo, exec_lo, s2
.LBB41_537:
	s_delay_alu instid0(SALU_CYCLE_1)
	s_or_b32 exec_lo, exec_lo, s1
	v_mov_b32_e32 v70, 0
	ds_load_b32 v70, v70 offset:56
	s_wait_dscnt 0x0
	v_mul_f32_e32 v69, v69, v70
	scratch_store_b32 off, v69, off offset:56
.LBB41_538:
	s_wait_xcnt 0x0
	s_or_b32 exec_lo, exec_lo, s0
	scratch_load_b32 v69, off, off offset:60
	s_mov_b32 s0, exec_lo
	s_wait_loadcnt 0x0
	ds_store_b32 v1, v69
	s_wait_storecnt_dscnt 0x0
	s_barrier_signal -1
	s_barrier_wait -1
	s_wait_xcnt 0x0
	v_cmpx_gt_u32_e32 15, v0
	s_cbranch_execz .LBB41_548
; %bb.539:
	v_cmp_ne_u32_e32 vcc_lo, 1, v68
	s_cbranch_vccnz .LBB41_541
; %bb.540:
	scratch_load_b32 v69, v7, off
	ds_load_b32 v70, v1
	s_wait_loadcnt_dscnt 0x0
	v_mul_f32_e32 v69, v69, v70
	s_cbranch_execz .LBB41_542
	s_branch .LBB41_543
.LBB41_541:
                                        ; implicit-def: $vgpr69
.LBB41_542:
	ds_load_b32 v69, v1
.LBB41_543:
	s_mov_b32 s1, exec_lo
	v_cmpx_ne_u32_e32 14, v0
	s_cbranch_execz .LBB41_547
; %bb.544:
	v_add_nc_u32_e32 v70, 0xb4, v6
	v_add3_u32 v71, 0, v6, 4
	v_mov_b32_e32 v72, v0
	s_mov_b32 s2, 0
.LBB41_545:                             ; =>This Inner Loop Header: Depth=1
	scratch_load_b32 v73, v71, off
	ds_load_b32 v74, v70
	v_dual_add_nc_u32 v72, 1, v72 :: v_dual_add_nc_u32 v70, 4, v70
	s_wait_xcnt 0x0
	v_add_nc_u32_e32 v71, 4, v71
	s_delay_alu instid0(VALU_DEP_2)
	v_cmp_lt_u32_e32 vcc_lo, 13, v72
	s_or_b32 s2, vcc_lo, s2
	s_wait_loadcnt_dscnt 0x0
	v_fmac_f32_e32 v69, v73, v74
	s_and_not1_b32 exec_lo, exec_lo, s2
	s_cbranch_execnz .LBB41_545
; %bb.546:
	s_or_b32 exec_lo, exec_lo, s2
.LBB41_547:
	s_delay_alu instid0(SALU_CYCLE_1)
	s_or_b32 exec_lo, exec_lo, s1
	v_mov_b32_e32 v70, 0
	ds_load_b32 v70, v70 offset:60
	s_wait_dscnt 0x0
	v_mul_f32_e32 v69, v69, v70
	scratch_store_b32 off, v69, off offset:60
.LBB41_548:
	s_wait_xcnt 0x0
	s_or_b32 exec_lo, exec_lo, s0
	scratch_load_b32 v69, off, off offset:64
	s_mov_b32 s0, exec_lo
	s_wait_loadcnt 0x0
	ds_store_b32 v1, v69
	s_wait_storecnt_dscnt 0x0
	s_barrier_signal -1
	s_barrier_wait -1
	s_wait_xcnt 0x0
	v_cmpx_gt_u32_e32 16, v0
	s_cbranch_execz .LBB41_558
; %bb.549:
	v_cmp_ne_u32_e32 vcc_lo, 1, v68
	s_cbranch_vccnz .LBB41_551
; %bb.550:
	scratch_load_b32 v69, v7, off
	ds_load_b32 v70, v1
	s_wait_loadcnt_dscnt 0x0
	v_mul_f32_e32 v69, v69, v70
	s_cbranch_execz .LBB41_552
	s_branch .LBB41_553
.LBB41_551:
                                        ; implicit-def: $vgpr69
.LBB41_552:
	ds_load_b32 v69, v1
.LBB41_553:
	s_mov_b32 s1, exec_lo
	v_cmpx_ne_u32_e32 15, v0
	s_cbranch_execz .LBB41_557
; %bb.554:
	v_add_nc_u32_e32 v70, 0xb4, v6
	v_add3_u32 v71, 0, v6, 4
	v_mov_b32_e32 v72, v0
	s_mov_b32 s2, 0
.LBB41_555:                             ; =>This Inner Loop Header: Depth=1
	scratch_load_b32 v73, v71, off
	ds_load_b32 v74, v70
	v_dual_add_nc_u32 v72, 1, v72 :: v_dual_add_nc_u32 v70, 4, v70
	s_wait_xcnt 0x0
	v_add_nc_u32_e32 v71, 4, v71
	s_delay_alu instid0(VALU_DEP_2)
	v_cmp_lt_u32_e32 vcc_lo, 14, v72
	s_or_b32 s2, vcc_lo, s2
	s_wait_loadcnt_dscnt 0x0
	v_fmac_f32_e32 v69, v73, v74
	s_and_not1_b32 exec_lo, exec_lo, s2
	s_cbranch_execnz .LBB41_555
; %bb.556:
	s_or_b32 exec_lo, exec_lo, s2
.LBB41_557:
	s_delay_alu instid0(SALU_CYCLE_1)
	s_or_b32 exec_lo, exec_lo, s1
	v_mov_b32_e32 v70, 0
	ds_load_b32 v70, v70 offset:64
	s_wait_dscnt 0x0
	v_mul_f32_e32 v69, v69, v70
	scratch_store_b32 off, v69, off offset:64
.LBB41_558:
	s_wait_xcnt 0x0
	s_or_b32 exec_lo, exec_lo, s0
	scratch_load_b32 v69, off, off offset:68
	s_mov_b32 s0, exec_lo
	s_wait_loadcnt 0x0
	ds_store_b32 v1, v69
	s_wait_storecnt_dscnt 0x0
	s_barrier_signal -1
	s_barrier_wait -1
	s_wait_xcnt 0x0
	v_cmpx_gt_u32_e32 17, v0
	s_cbranch_execz .LBB41_568
; %bb.559:
	v_cmp_ne_u32_e32 vcc_lo, 1, v68
	s_cbranch_vccnz .LBB41_561
; %bb.560:
	scratch_load_b32 v69, v7, off
	ds_load_b32 v70, v1
	s_wait_loadcnt_dscnt 0x0
	v_mul_f32_e32 v69, v69, v70
	s_cbranch_execz .LBB41_562
	s_branch .LBB41_563
.LBB41_561:
                                        ; implicit-def: $vgpr69
.LBB41_562:
	ds_load_b32 v69, v1
.LBB41_563:
	s_mov_b32 s1, exec_lo
	v_cmpx_ne_u32_e32 16, v0
	s_cbranch_execz .LBB41_567
; %bb.564:
	v_add_nc_u32_e32 v70, 0xb4, v6
	v_add3_u32 v71, 0, v6, 4
	v_mov_b32_e32 v72, v0
	s_mov_b32 s2, 0
.LBB41_565:                             ; =>This Inner Loop Header: Depth=1
	scratch_load_b32 v73, v71, off
	ds_load_b32 v74, v70
	v_dual_add_nc_u32 v72, 1, v72 :: v_dual_add_nc_u32 v70, 4, v70
	s_wait_xcnt 0x0
	v_add_nc_u32_e32 v71, 4, v71
	s_delay_alu instid0(VALU_DEP_2)
	v_cmp_lt_u32_e32 vcc_lo, 15, v72
	s_or_b32 s2, vcc_lo, s2
	s_wait_loadcnt_dscnt 0x0
	v_fmac_f32_e32 v69, v73, v74
	s_and_not1_b32 exec_lo, exec_lo, s2
	s_cbranch_execnz .LBB41_565
; %bb.566:
	s_or_b32 exec_lo, exec_lo, s2
.LBB41_567:
	s_delay_alu instid0(SALU_CYCLE_1)
	s_or_b32 exec_lo, exec_lo, s1
	v_mov_b32_e32 v70, 0
	ds_load_b32 v70, v70 offset:68
	s_wait_dscnt 0x0
	v_mul_f32_e32 v69, v69, v70
	scratch_store_b32 off, v69, off offset:68
.LBB41_568:
	s_wait_xcnt 0x0
	s_or_b32 exec_lo, exec_lo, s0
	scratch_load_b32 v69, off, off offset:72
	s_mov_b32 s0, exec_lo
	s_wait_loadcnt 0x0
	ds_store_b32 v1, v69
	s_wait_storecnt_dscnt 0x0
	s_barrier_signal -1
	s_barrier_wait -1
	s_wait_xcnt 0x0
	v_cmpx_gt_u32_e32 18, v0
	s_cbranch_execz .LBB41_578
; %bb.569:
	v_cmp_ne_u32_e32 vcc_lo, 1, v68
	s_cbranch_vccnz .LBB41_571
; %bb.570:
	scratch_load_b32 v69, v7, off
	ds_load_b32 v70, v1
	s_wait_loadcnt_dscnt 0x0
	v_mul_f32_e32 v69, v69, v70
	s_cbranch_execz .LBB41_572
	s_branch .LBB41_573
.LBB41_571:
                                        ; implicit-def: $vgpr69
.LBB41_572:
	ds_load_b32 v69, v1
.LBB41_573:
	s_mov_b32 s1, exec_lo
	v_cmpx_ne_u32_e32 17, v0
	s_cbranch_execz .LBB41_577
; %bb.574:
	v_add_nc_u32_e32 v70, 0xb4, v6
	v_add3_u32 v71, 0, v6, 4
	v_mov_b32_e32 v72, v0
	s_mov_b32 s2, 0
.LBB41_575:                             ; =>This Inner Loop Header: Depth=1
	scratch_load_b32 v73, v71, off
	ds_load_b32 v74, v70
	v_dual_add_nc_u32 v72, 1, v72 :: v_dual_add_nc_u32 v70, 4, v70
	s_wait_xcnt 0x0
	v_add_nc_u32_e32 v71, 4, v71
	s_delay_alu instid0(VALU_DEP_2)
	v_cmp_lt_u32_e32 vcc_lo, 16, v72
	s_or_b32 s2, vcc_lo, s2
	s_wait_loadcnt_dscnt 0x0
	v_fmac_f32_e32 v69, v73, v74
	s_and_not1_b32 exec_lo, exec_lo, s2
	s_cbranch_execnz .LBB41_575
; %bb.576:
	s_or_b32 exec_lo, exec_lo, s2
.LBB41_577:
	s_delay_alu instid0(SALU_CYCLE_1)
	s_or_b32 exec_lo, exec_lo, s1
	v_mov_b32_e32 v70, 0
	ds_load_b32 v70, v70 offset:72
	s_wait_dscnt 0x0
	v_mul_f32_e32 v69, v69, v70
	scratch_store_b32 off, v69, off offset:72
.LBB41_578:
	s_wait_xcnt 0x0
	s_or_b32 exec_lo, exec_lo, s0
	scratch_load_b32 v69, off, off offset:76
	s_mov_b32 s0, exec_lo
	s_wait_loadcnt 0x0
	ds_store_b32 v1, v69
	s_wait_storecnt_dscnt 0x0
	s_barrier_signal -1
	s_barrier_wait -1
	s_wait_xcnt 0x0
	v_cmpx_gt_u32_e32 19, v0
	s_cbranch_execz .LBB41_588
; %bb.579:
	v_cmp_ne_u32_e32 vcc_lo, 1, v68
	s_cbranch_vccnz .LBB41_581
; %bb.580:
	scratch_load_b32 v69, v7, off
	ds_load_b32 v70, v1
	s_wait_loadcnt_dscnt 0x0
	v_mul_f32_e32 v69, v69, v70
	s_cbranch_execz .LBB41_582
	s_branch .LBB41_583
.LBB41_581:
                                        ; implicit-def: $vgpr69
.LBB41_582:
	ds_load_b32 v69, v1
.LBB41_583:
	s_mov_b32 s1, exec_lo
	v_cmpx_ne_u32_e32 18, v0
	s_cbranch_execz .LBB41_587
; %bb.584:
	v_add_nc_u32_e32 v70, 0xb4, v6
	v_add3_u32 v71, 0, v6, 4
	v_mov_b32_e32 v72, v0
	s_mov_b32 s2, 0
.LBB41_585:                             ; =>This Inner Loop Header: Depth=1
	scratch_load_b32 v73, v71, off
	ds_load_b32 v74, v70
	v_dual_add_nc_u32 v72, 1, v72 :: v_dual_add_nc_u32 v70, 4, v70
	s_wait_xcnt 0x0
	v_add_nc_u32_e32 v71, 4, v71
	s_delay_alu instid0(VALU_DEP_2)
	v_cmp_lt_u32_e32 vcc_lo, 17, v72
	s_or_b32 s2, vcc_lo, s2
	s_wait_loadcnt_dscnt 0x0
	v_fmac_f32_e32 v69, v73, v74
	s_and_not1_b32 exec_lo, exec_lo, s2
	s_cbranch_execnz .LBB41_585
; %bb.586:
	s_or_b32 exec_lo, exec_lo, s2
.LBB41_587:
	s_delay_alu instid0(SALU_CYCLE_1)
	s_or_b32 exec_lo, exec_lo, s1
	v_mov_b32_e32 v70, 0
	ds_load_b32 v70, v70 offset:76
	s_wait_dscnt 0x0
	v_mul_f32_e32 v69, v69, v70
	scratch_store_b32 off, v69, off offset:76
.LBB41_588:
	s_wait_xcnt 0x0
	s_or_b32 exec_lo, exec_lo, s0
	scratch_load_b32 v69, off, off offset:80
	s_mov_b32 s0, exec_lo
	s_wait_loadcnt 0x0
	ds_store_b32 v1, v69
	s_wait_storecnt_dscnt 0x0
	s_barrier_signal -1
	s_barrier_wait -1
	s_wait_xcnt 0x0
	v_cmpx_gt_u32_e32 20, v0
	s_cbranch_execz .LBB41_598
; %bb.589:
	v_cmp_ne_u32_e32 vcc_lo, 1, v68
	s_cbranch_vccnz .LBB41_591
; %bb.590:
	scratch_load_b32 v69, v7, off
	ds_load_b32 v70, v1
	s_wait_loadcnt_dscnt 0x0
	v_mul_f32_e32 v69, v69, v70
	s_cbranch_execz .LBB41_592
	s_branch .LBB41_593
.LBB41_591:
                                        ; implicit-def: $vgpr69
.LBB41_592:
	ds_load_b32 v69, v1
.LBB41_593:
	s_mov_b32 s1, exec_lo
	v_cmpx_ne_u32_e32 19, v0
	s_cbranch_execz .LBB41_597
; %bb.594:
	v_add_nc_u32_e32 v70, 0xb4, v6
	v_add3_u32 v71, 0, v6, 4
	v_mov_b32_e32 v72, v0
	s_mov_b32 s2, 0
.LBB41_595:                             ; =>This Inner Loop Header: Depth=1
	scratch_load_b32 v73, v71, off
	ds_load_b32 v74, v70
	v_dual_add_nc_u32 v72, 1, v72 :: v_dual_add_nc_u32 v70, 4, v70
	s_wait_xcnt 0x0
	v_add_nc_u32_e32 v71, 4, v71
	s_delay_alu instid0(VALU_DEP_2)
	v_cmp_lt_u32_e32 vcc_lo, 18, v72
	s_or_b32 s2, vcc_lo, s2
	s_wait_loadcnt_dscnt 0x0
	v_fmac_f32_e32 v69, v73, v74
	s_and_not1_b32 exec_lo, exec_lo, s2
	s_cbranch_execnz .LBB41_595
; %bb.596:
	s_or_b32 exec_lo, exec_lo, s2
.LBB41_597:
	s_delay_alu instid0(SALU_CYCLE_1)
	s_or_b32 exec_lo, exec_lo, s1
	v_mov_b32_e32 v70, 0
	ds_load_b32 v70, v70 offset:80
	s_wait_dscnt 0x0
	v_mul_f32_e32 v69, v69, v70
	scratch_store_b32 off, v69, off offset:80
.LBB41_598:
	s_wait_xcnt 0x0
	s_or_b32 exec_lo, exec_lo, s0
	scratch_load_b32 v69, off, off offset:84
	s_mov_b32 s0, exec_lo
	s_wait_loadcnt 0x0
	ds_store_b32 v1, v69
	s_wait_storecnt_dscnt 0x0
	s_barrier_signal -1
	s_barrier_wait -1
	s_wait_xcnt 0x0
	v_cmpx_gt_u32_e32 21, v0
	s_cbranch_execz .LBB41_608
; %bb.599:
	v_cmp_ne_u32_e32 vcc_lo, 1, v68
	s_cbranch_vccnz .LBB41_601
; %bb.600:
	scratch_load_b32 v69, v7, off
	ds_load_b32 v70, v1
	s_wait_loadcnt_dscnt 0x0
	v_mul_f32_e32 v69, v69, v70
	s_cbranch_execz .LBB41_602
	s_branch .LBB41_603
.LBB41_601:
                                        ; implicit-def: $vgpr69
.LBB41_602:
	ds_load_b32 v69, v1
.LBB41_603:
	s_mov_b32 s1, exec_lo
	v_cmpx_ne_u32_e32 20, v0
	s_cbranch_execz .LBB41_607
; %bb.604:
	v_add_nc_u32_e32 v70, 0xb4, v6
	v_add3_u32 v71, 0, v6, 4
	v_mov_b32_e32 v72, v0
	s_mov_b32 s2, 0
.LBB41_605:                             ; =>This Inner Loop Header: Depth=1
	scratch_load_b32 v73, v71, off
	ds_load_b32 v74, v70
	v_dual_add_nc_u32 v72, 1, v72 :: v_dual_add_nc_u32 v70, 4, v70
	s_wait_xcnt 0x0
	v_add_nc_u32_e32 v71, 4, v71
	s_delay_alu instid0(VALU_DEP_2)
	v_cmp_lt_u32_e32 vcc_lo, 19, v72
	s_or_b32 s2, vcc_lo, s2
	s_wait_loadcnt_dscnt 0x0
	v_fmac_f32_e32 v69, v73, v74
	s_and_not1_b32 exec_lo, exec_lo, s2
	s_cbranch_execnz .LBB41_605
; %bb.606:
	s_or_b32 exec_lo, exec_lo, s2
.LBB41_607:
	s_delay_alu instid0(SALU_CYCLE_1)
	s_or_b32 exec_lo, exec_lo, s1
	v_mov_b32_e32 v70, 0
	ds_load_b32 v70, v70 offset:84
	s_wait_dscnt 0x0
	v_mul_f32_e32 v69, v69, v70
	scratch_store_b32 off, v69, off offset:84
.LBB41_608:
	s_wait_xcnt 0x0
	s_or_b32 exec_lo, exec_lo, s0
	scratch_load_b32 v69, off, off offset:88
	s_mov_b32 s0, exec_lo
	s_wait_loadcnt 0x0
	ds_store_b32 v1, v69
	s_wait_storecnt_dscnt 0x0
	s_barrier_signal -1
	s_barrier_wait -1
	s_wait_xcnt 0x0
	v_cmpx_gt_u32_e32 22, v0
	s_cbranch_execz .LBB41_618
; %bb.609:
	v_cmp_ne_u32_e32 vcc_lo, 1, v68
	s_cbranch_vccnz .LBB41_611
; %bb.610:
	scratch_load_b32 v69, v7, off
	ds_load_b32 v70, v1
	s_wait_loadcnt_dscnt 0x0
	v_mul_f32_e32 v69, v69, v70
	s_cbranch_execz .LBB41_612
	s_branch .LBB41_613
.LBB41_611:
                                        ; implicit-def: $vgpr69
.LBB41_612:
	ds_load_b32 v69, v1
.LBB41_613:
	s_mov_b32 s1, exec_lo
	v_cmpx_ne_u32_e32 21, v0
	s_cbranch_execz .LBB41_617
; %bb.614:
	v_add_nc_u32_e32 v70, 0xb4, v6
	v_add3_u32 v71, 0, v6, 4
	v_mov_b32_e32 v72, v0
	s_mov_b32 s2, 0
.LBB41_615:                             ; =>This Inner Loop Header: Depth=1
	scratch_load_b32 v73, v71, off
	ds_load_b32 v74, v70
	v_dual_add_nc_u32 v72, 1, v72 :: v_dual_add_nc_u32 v70, 4, v70
	s_wait_xcnt 0x0
	v_add_nc_u32_e32 v71, 4, v71
	s_delay_alu instid0(VALU_DEP_2)
	v_cmp_lt_u32_e32 vcc_lo, 20, v72
	s_or_b32 s2, vcc_lo, s2
	s_wait_loadcnt_dscnt 0x0
	v_fmac_f32_e32 v69, v73, v74
	s_and_not1_b32 exec_lo, exec_lo, s2
	s_cbranch_execnz .LBB41_615
; %bb.616:
	s_or_b32 exec_lo, exec_lo, s2
.LBB41_617:
	s_delay_alu instid0(SALU_CYCLE_1)
	s_or_b32 exec_lo, exec_lo, s1
	v_mov_b32_e32 v70, 0
	ds_load_b32 v70, v70 offset:88
	s_wait_dscnt 0x0
	v_mul_f32_e32 v69, v69, v70
	scratch_store_b32 off, v69, off offset:88
.LBB41_618:
	s_wait_xcnt 0x0
	s_or_b32 exec_lo, exec_lo, s0
	scratch_load_b32 v69, off, off offset:92
	s_mov_b32 s0, exec_lo
	s_wait_loadcnt 0x0
	ds_store_b32 v1, v69
	s_wait_storecnt_dscnt 0x0
	s_barrier_signal -1
	s_barrier_wait -1
	s_wait_xcnt 0x0
	v_cmpx_gt_u32_e32 23, v0
	s_cbranch_execz .LBB41_628
; %bb.619:
	v_cmp_ne_u32_e32 vcc_lo, 1, v68
	s_cbranch_vccnz .LBB41_621
; %bb.620:
	scratch_load_b32 v69, v7, off
	ds_load_b32 v70, v1
	s_wait_loadcnt_dscnt 0x0
	v_mul_f32_e32 v69, v69, v70
	s_cbranch_execz .LBB41_622
	s_branch .LBB41_623
.LBB41_621:
                                        ; implicit-def: $vgpr69
.LBB41_622:
	ds_load_b32 v69, v1
.LBB41_623:
	s_mov_b32 s1, exec_lo
	v_cmpx_ne_u32_e32 22, v0
	s_cbranch_execz .LBB41_627
; %bb.624:
	v_add_nc_u32_e32 v70, 0xb4, v6
	v_add3_u32 v71, 0, v6, 4
	v_mov_b32_e32 v72, v0
	s_mov_b32 s2, 0
.LBB41_625:                             ; =>This Inner Loop Header: Depth=1
	scratch_load_b32 v73, v71, off
	ds_load_b32 v74, v70
	v_dual_add_nc_u32 v72, 1, v72 :: v_dual_add_nc_u32 v70, 4, v70
	s_wait_xcnt 0x0
	v_add_nc_u32_e32 v71, 4, v71
	s_delay_alu instid0(VALU_DEP_2)
	v_cmp_lt_u32_e32 vcc_lo, 21, v72
	s_or_b32 s2, vcc_lo, s2
	s_wait_loadcnt_dscnt 0x0
	v_fmac_f32_e32 v69, v73, v74
	s_and_not1_b32 exec_lo, exec_lo, s2
	s_cbranch_execnz .LBB41_625
; %bb.626:
	s_or_b32 exec_lo, exec_lo, s2
.LBB41_627:
	s_delay_alu instid0(SALU_CYCLE_1)
	s_or_b32 exec_lo, exec_lo, s1
	v_mov_b32_e32 v70, 0
	ds_load_b32 v70, v70 offset:92
	s_wait_dscnt 0x0
	v_mul_f32_e32 v69, v69, v70
	scratch_store_b32 off, v69, off offset:92
.LBB41_628:
	s_wait_xcnt 0x0
	s_or_b32 exec_lo, exec_lo, s0
	scratch_load_b32 v69, off, off offset:96
	s_mov_b32 s0, exec_lo
	s_wait_loadcnt 0x0
	ds_store_b32 v1, v69
	s_wait_storecnt_dscnt 0x0
	s_barrier_signal -1
	s_barrier_wait -1
	s_wait_xcnt 0x0
	v_cmpx_gt_u32_e32 24, v0
	s_cbranch_execz .LBB41_638
; %bb.629:
	v_cmp_ne_u32_e32 vcc_lo, 1, v68
	s_cbranch_vccnz .LBB41_631
; %bb.630:
	scratch_load_b32 v69, v7, off
	ds_load_b32 v70, v1
	s_wait_loadcnt_dscnt 0x0
	v_mul_f32_e32 v69, v69, v70
	s_cbranch_execz .LBB41_632
	s_branch .LBB41_633
.LBB41_631:
                                        ; implicit-def: $vgpr69
.LBB41_632:
	ds_load_b32 v69, v1
.LBB41_633:
	s_mov_b32 s1, exec_lo
	v_cmpx_ne_u32_e32 23, v0
	s_cbranch_execz .LBB41_637
; %bb.634:
	v_add_nc_u32_e32 v70, 0xb4, v6
	v_add3_u32 v71, 0, v6, 4
	v_mov_b32_e32 v72, v0
	s_mov_b32 s2, 0
.LBB41_635:                             ; =>This Inner Loop Header: Depth=1
	scratch_load_b32 v73, v71, off
	ds_load_b32 v74, v70
	v_dual_add_nc_u32 v72, 1, v72 :: v_dual_add_nc_u32 v70, 4, v70
	s_wait_xcnt 0x0
	v_add_nc_u32_e32 v71, 4, v71
	s_delay_alu instid0(VALU_DEP_2)
	v_cmp_lt_u32_e32 vcc_lo, 22, v72
	s_or_b32 s2, vcc_lo, s2
	s_wait_loadcnt_dscnt 0x0
	v_fmac_f32_e32 v69, v73, v74
	s_and_not1_b32 exec_lo, exec_lo, s2
	s_cbranch_execnz .LBB41_635
; %bb.636:
	s_or_b32 exec_lo, exec_lo, s2
.LBB41_637:
	s_delay_alu instid0(SALU_CYCLE_1)
	s_or_b32 exec_lo, exec_lo, s1
	v_mov_b32_e32 v70, 0
	ds_load_b32 v70, v70 offset:96
	s_wait_dscnt 0x0
	v_mul_f32_e32 v69, v69, v70
	scratch_store_b32 off, v69, off offset:96
.LBB41_638:
	s_wait_xcnt 0x0
	s_or_b32 exec_lo, exec_lo, s0
	scratch_load_b32 v69, off, off offset:100
	s_mov_b32 s0, exec_lo
	s_wait_loadcnt 0x0
	ds_store_b32 v1, v69
	s_wait_storecnt_dscnt 0x0
	s_barrier_signal -1
	s_barrier_wait -1
	s_wait_xcnt 0x0
	v_cmpx_gt_u32_e32 25, v0
	s_cbranch_execz .LBB41_648
; %bb.639:
	v_cmp_ne_u32_e32 vcc_lo, 1, v68
	s_cbranch_vccnz .LBB41_641
; %bb.640:
	scratch_load_b32 v69, v7, off
	ds_load_b32 v70, v1
	s_wait_loadcnt_dscnt 0x0
	v_mul_f32_e32 v69, v69, v70
	s_cbranch_execz .LBB41_642
	s_branch .LBB41_643
.LBB41_641:
                                        ; implicit-def: $vgpr69
.LBB41_642:
	ds_load_b32 v69, v1
.LBB41_643:
	s_mov_b32 s1, exec_lo
	v_cmpx_ne_u32_e32 24, v0
	s_cbranch_execz .LBB41_647
; %bb.644:
	v_add_nc_u32_e32 v70, 0xb4, v6
	v_add3_u32 v71, 0, v6, 4
	v_mov_b32_e32 v72, v0
	s_mov_b32 s2, 0
.LBB41_645:                             ; =>This Inner Loop Header: Depth=1
	scratch_load_b32 v73, v71, off
	ds_load_b32 v74, v70
	v_dual_add_nc_u32 v72, 1, v72 :: v_dual_add_nc_u32 v70, 4, v70
	s_wait_xcnt 0x0
	v_add_nc_u32_e32 v71, 4, v71
	s_delay_alu instid0(VALU_DEP_2)
	v_cmp_lt_u32_e32 vcc_lo, 23, v72
	s_or_b32 s2, vcc_lo, s2
	s_wait_loadcnt_dscnt 0x0
	v_fmac_f32_e32 v69, v73, v74
	s_and_not1_b32 exec_lo, exec_lo, s2
	s_cbranch_execnz .LBB41_645
; %bb.646:
	s_or_b32 exec_lo, exec_lo, s2
.LBB41_647:
	s_delay_alu instid0(SALU_CYCLE_1)
	s_or_b32 exec_lo, exec_lo, s1
	v_mov_b32_e32 v70, 0
	ds_load_b32 v70, v70 offset:100
	s_wait_dscnt 0x0
	v_mul_f32_e32 v69, v69, v70
	scratch_store_b32 off, v69, off offset:100
.LBB41_648:
	s_wait_xcnt 0x0
	s_or_b32 exec_lo, exec_lo, s0
	scratch_load_b32 v69, off, off offset:104
	s_mov_b32 s0, exec_lo
	s_wait_loadcnt 0x0
	ds_store_b32 v1, v69
	s_wait_storecnt_dscnt 0x0
	s_barrier_signal -1
	s_barrier_wait -1
	s_wait_xcnt 0x0
	v_cmpx_gt_u32_e32 26, v0
	s_cbranch_execz .LBB41_658
; %bb.649:
	v_cmp_ne_u32_e32 vcc_lo, 1, v68
	s_cbranch_vccnz .LBB41_651
; %bb.650:
	scratch_load_b32 v69, v7, off
	ds_load_b32 v70, v1
	s_wait_loadcnt_dscnt 0x0
	v_mul_f32_e32 v69, v69, v70
	s_cbranch_execz .LBB41_652
	s_branch .LBB41_653
.LBB41_651:
                                        ; implicit-def: $vgpr69
.LBB41_652:
	ds_load_b32 v69, v1
.LBB41_653:
	s_mov_b32 s1, exec_lo
	v_cmpx_ne_u32_e32 25, v0
	s_cbranch_execz .LBB41_657
; %bb.654:
	v_add_nc_u32_e32 v70, 0xb4, v6
	v_add3_u32 v71, 0, v6, 4
	v_mov_b32_e32 v72, v0
	s_mov_b32 s2, 0
.LBB41_655:                             ; =>This Inner Loop Header: Depth=1
	scratch_load_b32 v73, v71, off
	ds_load_b32 v74, v70
	v_dual_add_nc_u32 v72, 1, v72 :: v_dual_add_nc_u32 v70, 4, v70
	s_wait_xcnt 0x0
	v_add_nc_u32_e32 v71, 4, v71
	s_delay_alu instid0(VALU_DEP_2)
	v_cmp_lt_u32_e32 vcc_lo, 24, v72
	s_or_b32 s2, vcc_lo, s2
	s_wait_loadcnt_dscnt 0x0
	v_fmac_f32_e32 v69, v73, v74
	s_and_not1_b32 exec_lo, exec_lo, s2
	s_cbranch_execnz .LBB41_655
; %bb.656:
	s_or_b32 exec_lo, exec_lo, s2
.LBB41_657:
	s_delay_alu instid0(SALU_CYCLE_1)
	s_or_b32 exec_lo, exec_lo, s1
	v_mov_b32_e32 v70, 0
	ds_load_b32 v70, v70 offset:104
	s_wait_dscnt 0x0
	v_mul_f32_e32 v69, v69, v70
	scratch_store_b32 off, v69, off offset:104
.LBB41_658:
	s_wait_xcnt 0x0
	s_or_b32 exec_lo, exec_lo, s0
	scratch_load_b32 v69, off, off offset:108
	s_mov_b32 s0, exec_lo
	s_wait_loadcnt 0x0
	ds_store_b32 v1, v69
	s_wait_storecnt_dscnt 0x0
	s_barrier_signal -1
	s_barrier_wait -1
	s_wait_xcnt 0x0
	v_cmpx_gt_u32_e32 27, v0
	s_cbranch_execz .LBB41_668
; %bb.659:
	v_cmp_ne_u32_e32 vcc_lo, 1, v68
	s_cbranch_vccnz .LBB41_661
; %bb.660:
	scratch_load_b32 v69, v7, off
	ds_load_b32 v70, v1
	s_wait_loadcnt_dscnt 0x0
	v_mul_f32_e32 v69, v69, v70
	s_cbranch_execz .LBB41_662
	s_branch .LBB41_663
.LBB41_661:
                                        ; implicit-def: $vgpr69
.LBB41_662:
	ds_load_b32 v69, v1
.LBB41_663:
	s_mov_b32 s1, exec_lo
	v_cmpx_ne_u32_e32 26, v0
	s_cbranch_execz .LBB41_667
; %bb.664:
	v_add_nc_u32_e32 v70, 0xb4, v6
	v_add3_u32 v71, 0, v6, 4
	v_mov_b32_e32 v72, v0
	s_mov_b32 s2, 0
.LBB41_665:                             ; =>This Inner Loop Header: Depth=1
	scratch_load_b32 v73, v71, off
	ds_load_b32 v74, v70
	v_dual_add_nc_u32 v72, 1, v72 :: v_dual_add_nc_u32 v70, 4, v70
	s_wait_xcnt 0x0
	v_add_nc_u32_e32 v71, 4, v71
	s_delay_alu instid0(VALU_DEP_2)
	v_cmp_lt_u32_e32 vcc_lo, 25, v72
	s_or_b32 s2, vcc_lo, s2
	s_wait_loadcnt_dscnt 0x0
	v_fmac_f32_e32 v69, v73, v74
	s_and_not1_b32 exec_lo, exec_lo, s2
	s_cbranch_execnz .LBB41_665
; %bb.666:
	s_or_b32 exec_lo, exec_lo, s2
.LBB41_667:
	s_delay_alu instid0(SALU_CYCLE_1)
	s_or_b32 exec_lo, exec_lo, s1
	v_mov_b32_e32 v70, 0
	ds_load_b32 v70, v70 offset:108
	s_wait_dscnt 0x0
	v_mul_f32_e32 v69, v69, v70
	scratch_store_b32 off, v69, off offset:108
.LBB41_668:
	s_wait_xcnt 0x0
	s_or_b32 exec_lo, exec_lo, s0
	scratch_load_b32 v69, off, off offset:112
	s_mov_b32 s0, exec_lo
	s_wait_loadcnt 0x0
	ds_store_b32 v1, v69
	s_wait_storecnt_dscnt 0x0
	s_barrier_signal -1
	s_barrier_wait -1
	s_wait_xcnt 0x0
	v_cmpx_gt_u32_e32 28, v0
	s_cbranch_execz .LBB41_678
; %bb.669:
	v_cmp_ne_u32_e32 vcc_lo, 1, v68
	s_cbranch_vccnz .LBB41_671
; %bb.670:
	scratch_load_b32 v69, v7, off
	ds_load_b32 v70, v1
	s_wait_loadcnt_dscnt 0x0
	v_mul_f32_e32 v69, v69, v70
	s_cbranch_execz .LBB41_672
	s_branch .LBB41_673
.LBB41_671:
                                        ; implicit-def: $vgpr69
.LBB41_672:
	ds_load_b32 v69, v1
.LBB41_673:
	s_mov_b32 s1, exec_lo
	v_cmpx_ne_u32_e32 27, v0
	s_cbranch_execz .LBB41_677
; %bb.674:
	v_add_nc_u32_e32 v70, 0xb4, v6
	v_add3_u32 v71, 0, v6, 4
	v_mov_b32_e32 v72, v0
	s_mov_b32 s2, 0
.LBB41_675:                             ; =>This Inner Loop Header: Depth=1
	scratch_load_b32 v73, v71, off
	ds_load_b32 v74, v70
	v_dual_add_nc_u32 v72, 1, v72 :: v_dual_add_nc_u32 v70, 4, v70
	s_wait_xcnt 0x0
	v_add_nc_u32_e32 v71, 4, v71
	s_delay_alu instid0(VALU_DEP_2)
	v_cmp_lt_u32_e32 vcc_lo, 26, v72
	s_or_b32 s2, vcc_lo, s2
	s_wait_loadcnt_dscnt 0x0
	v_fmac_f32_e32 v69, v73, v74
	s_and_not1_b32 exec_lo, exec_lo, s2
	s_cbranch_execnz .LBB41_675
; %bb.676:
	s_or_b32 exec_lo, exec_lo, s2
.LBB41_677:
	s_delay_alu instid0(SALU_CYCLE_1)
	s_or_b32 exec_lo, exec_lo, s1
	v_mov_b32_e32 v70, 0
	ds_load_b32 v70, v70 offset:112
	s_wait_dscnt 0x0
	v_mul_f32_e32 v69, v69, v70
	scratch_store_b32 off, v69, off offset:112
.LBB41_678:
	s_wait_xcnt 0x0
	s_or_b32 exec_lo, exec_lo, s0
	scratch_load_b32 v69, off, off offset:116
	s_mov_b32 s0, exec_lo
	s_wait_loadcnt 0x0
	ds_store_b32 v1, v69
	s_wait_storecnt_dscnt 0x0
	s_barrier_signal -1
	s_barrier_wait -1
	s_wait_xcnt 0x0
	v_cmpx_gt_u32_e32 29, v0
	s_cbranch_execz .LBB41_688
; %bb.679:
	v_cmp_ne_u32_e32 vcc_lo, 1, v68
	s_cbranch_vccnz .LBB41_681
; %bb.680:
	scratch_load_b32 v69, v7, off
	ds_load_b32 v70, v1
	s_wait_loadcnt_dscnt 0x0
	v_mul_f32_e32 v69, v69, v70
	s_cbranch_execz .LBB41_682
	s_branch .LBB41_683
.LBB41_681:
                                        ; implicit-def: $vgpr69
.LBB41_682:
	ds_load_b32 v69, v1
.LBB41_683:
	s_mov_b32 s1, exec_lo
	v_cmpx_ne_u32_e32 28, v0
	s_cbranch_execz .LBB41_687
; %bb.684:
	v_add_nc_u32_e32 v70, 0xb4, v6
	v_add3_u32 v71, 0, v6, 4
	v_mov_b32_e32 v72, v0
	s_mov_b32 s2, 0
.LBB41_685:                             ; =>This Inner Loop Header: Depth=1
	scratch_load_b32 v73, v71, off
	ds_load_b32 v74, v70
	v_dual_add_nc_u32 v72, 1, v72 :: v_dual_add_nc_u32 v70, 4, v70
	s_wait_xcnt 0x0
	v_add_nc_u32_e32 v71, 4, v71
	s_delay_alu instid0(VALU_DEP_2)
	v_cmp_lt_u32_e32 vcc_lo, 27, v72
	s_or_b32 s2, vcc_lo, s2
	s_wait_loadcnt_dscnt 0x0
	v_fmac_f32_e32 v69, v73, v74
	s_and_not1_b32 exec_lo, exec_lo, s2
	s_cbranch_execnz .LBB41_685
; %bb.686:
	s_or_b32 exec_lo, exec_lo, s2
.LBB41_687:
	s_delay_alu instid0(SALU_CYCLE_1)
	s_or_b32 exec_lo, exec_lo, s1
	v_mov_b32_e32 v70, 0
	ds_load_b32 v70, v70 offset:116
	s_wait_dscnt 0x0
	v_mul_f32_e32 v69, v69, v70
	scratch_store_b32 off, v69, off offset:116
.LBB41_688:
	s_wait_xcnt 0x0
	s_or_b32 exec_lo, exec_lo, s0
	scratch_load_b32 v69, off, off offset:120
	s_mov_b32 s0, exec_lo
	s_wait_loadcnt 0x0
	ds_store_b32 v1, v69
	s_wait_storecnt_dscnt 0x0
	s_barrier_signal -1
	s_barrier_wait -1
	s_wait_xcnt 0x0
	v_cmpx_gt_u32_e32 30, v0
	s_cbranch_execz .LBB41_698
; %bb.689:
	v_cmp_ne_u32_e32 vcc_lo, 1, v68
	s_cbranch_vccnz .LBB41_691
; %bb.690:
	scratch_load_b32 v69, v7, off
	ds_load_b32 v70, v1
	s_wait_loadcnt_dscnt 0x0
	v_mul_f32_e32 v69, v69, v70
	s_cbranch_execz .LBB41_692
	s_branch .LBB41_693
.LBB41_691:
                                        ; implicit-def: $vgpr69
.LBB41_692:
	ds_load_b32 v69, v1
.LBB41_693:
	s_mov_b32 s1, exec_lo
	v_cmpx_ne_u32_e32 29, v0
	s_cbranch_execz .LBB41_697
; %bb.694:
	v_add_nc_u32_e32 v70, 0xb4, v6
	v_add3_u32 v71, 0, v6, 4
	v_mov_b32_e32 v72, v0
	s_mov_b32 s2, 0
.LBB41_695:                             ; =>This Inner Loop Header: Depth=1
	scratch_load_b32 v73, v71, off
	ds_load_b32 v74, v70
	v_dual_add_nc_u32 v72, 1, v72 :: v_dual_add_nc_u32 v70, 4, v70
	s_wait_xcnt 0x0
	v_add_nc_u32_e32 v71, 4, v71
	s_delay_alu instid0(VALU_DEP_2)
	v_cmp_lt_u32_e32 vcc_lo, 28, v72
	s_or_b32 s2, vcc_lo, s2
	s_wait_loadcnt_dscnt 0x0
	v_fmac_f32_e32 v69, v73, v74
	s_and_not1_b32 exec_lo, exec_lo, s2
	s_cbranch_execnz .LBB41_695
; %bb.696:
	s_or_b32 exec_lo, exec_lo, s2
.LBB41_697:
	s_delay_alu instid0(SALU_CYCLE_1)
	s_or_b32 exec_lo, exec_lo, s1
	v_mov_b32_e32 v70, 0
	ds_load_b32 v70, v70 offset:120
	s_wait_dscnt 0x0
	v_mul_f32_e32 v69, v69, v70
	scratch_store_b32 off, v69, off offset:120
.LBB41_698:
	s_wait_xcnt 0x0
	s_or_b32 exec_lo, exec_lo, s0
	scratch_load_b32 v69, off, off offset:124
	s_mov_b32 s0, exec_lo
	s_wait_loadcnt 0x0
	ds_store_b32 v1, v69
	s_wait_storecnt_dscnt 0x0
	s_barrier_signal -1
	s_barrier_wait -1
	s_wait_xcnt 0x0
	v_cmpx_gt_u32_e32 31, v0
	s_cbranch_execz .LBB41_708
; %bb.699:
	v_cmp_ne_u32_e32 vcc_lo, 1, v68
	s_cbranch_vccnz .LBB41_701
; %bb.700:
	scratch_load_b32 v69, v7, off
	ds_load_b32 v70, v1
	s_wait_loadcnt_dscnt 0x0
	v_mul_f32_e32 v69, v69, v70
	s_cbranch_execz .LBB41_702
	s_branch .LBB41_703
.LBB41_701:
                                        ; implicit-def: $vgpr69
.LBB41_702:
	ds_load_b32 v69, v1
.LBB41_703:
	s_mov_b32 s1, exec_lo
	v_cmpx_ne_u32_e32 30, v0
	s_cbranch_execz .LBB41_707
; %bb.704:
	v_add_nc_u32_e32 v70, 0xb4, v6
	v_add3_u32 v71, 0, v6, 4
	v_mov_b32_e32 v72, v0
	s_mov_b32 s2, 0
.LBB41_705:                             ; =>This Inner Loop Header: Depth=1
	scratch_load_b32 v73, v71, off
	ds_load_b32 v74, v70
	v_dual_add_nc_u32 v72, 1, v72 :: v_dual_add_nc_u32 v70, 4, v70
	s_wait_xcnt 0x0
	v_add_nc_u32_e32 v71, 4, v71
	s_delay_alu instid0(VALU_DEP_2)
	v_cmp_lt_u32_e32 vcc_lo, 29, v72
	s_or_b32 s2, vcc_lo, s2
	s_wait_loadcnt_dscnt 0x0
	v_fmac_f32_e32 v69, v73, v74
	s_and_not1_b32 exec_lo, exec_lo, s2
	s_cbranch_execnz .LBB41_705
; %bb.706:
	s_or_b32 exec_lo, exec_lo, s2
.LBB41_707:
	s_delay_alu instid0(SALU_CYCLE_1)
	s_or_b32 exec_lo, exec_lo, s1
	v_mov_b32_e32 v70, 0
	ds_load_b32 v70, v70 offset:124
	s_wait_dscnt 0x0
	v_mul_f32_e32 v69, v69, v70
	scratch_store_b32 off, v69, off offset:124
.LBB41_708:
	s_wait_xcnt 0x0
	s_or_b32 exec_lo, exec_lo, s0
	scratch_load_b32 v69, off, off offset:128
	s_mov_b32 s0, exec_lo
	s_wait_loadcnt 0x0
	ds_store_b32 v1, v69
	s_wait_storecnt_dscnt 0x0
	s_barrier_signal -1
	s_barrier_wait -1
	s_wait_xcnt 0x0
	v_cmpx_gt_u32_e32 32, v0
	s_cbranch_execz .LBB41_718
; %bb.709:
	v_cmp_ne_u32_e32 vcc_lo, 1, v68
	s_cbranch_vccnz .LBB41_711
; %bb.710:
	scratch_load_b32 v69, v7, off
	ds_load_b32 v70, v1
	s_wait_loadcnt_dscnt 0x0
	v_mul_f32_e32 v69, v69, v70
	s_cbranch_execz .LBB41_712
	s_branch .LBB41_713
.LBB41_711:
                                        ; implicit-def: $vgpr69
.LBB41_712:
	ds_load_b32 v69, v1
.LBB41_713:
	s_mov_b32 s1, exec_lo
	v_cmpx_ne_u32_e32 31, v0
	s_cbranch_execz .LBB41_717
; %bb.714:
	v_add_nc_u32_e32 v70, 0xb4, v6
	v_add3_u32 v71, 0, v6, 4
	v_mov_b32_e32 v72, v0
	s_mov_b32 s2, 0
.LBB41_715:                             ; =>This Inner Loop Header: Depth=1
	scratch_load_b32 v73, v71, off
	ds_load_b32 v74, v70
	v_dual_add_nc_u32 v72, 1, v72 :: v_dual_add_nc_u32 v70, 4, v70
	s_wait_xcnt 0x0
	v_add_nc_u32_e32 v71, 4, v71
	s_delay_alu instid0(VALU_DEP_2)
	v_cmp_lt_u32_e32 vcc_lo, 30, v72
	s_or_b32 s2, vcc_lo, s2
	s_wait_loadcnt_dscnt 0x0
	v_fmac_f32_e32 v69, v73, v74
	s_and_not1_b32 exec_lo, exec_lo, s2
	s_cbranch_execnz .LBB41_715
; %bb.716:
	s_or_b32 exec_lo, exec_lo, s2
.LBB41_717:
	s_delay_alu instid0(SALU_CYCLE_1)
	s_or_b32 exec_lo, exec_lo, s1
	v_mov_b32_e32 v70, 0
	ds_load_b32 v70, v70 offset:128
	s_wait_dscnt 0x0
	v_mul_f32_e32 v69, v69, v70
	scratch_store_b32 off, v69, off offset:128
.LBB41_718:
	s_wait_xcnt 0x0
	s_or_b32 exec_lo, exec_lo, s0
	scratch_load_b32 v69, off, off offset:132
	s_mov_b32 s0, exec_lo
	s_wait_loadcnt 0x0
	ds_store_b32 v1, v69
	s_wait_storecnt_dscnt 0x0
	s_barrier_signal -1
	s_barrier_wait -1
	s_wait_xcnt 0x0
	v_cmpx_gt_u32_e32 33, v0
	s_cbranch_execz .LBB41_728
; %bb.719:
	v_cmp_ne_u32_e32 vcc_lo, 1, v68
	s_cbranch_vccnz .LBB41_721
; %bb.720:
	scratch_load_b32 v69, v7, off
	ds_load_b32 v70, v1
	s_wait_loadcnt_dscnt 0x0
	v_mul_f32_e32 v69, v69, v70
	s_cbranch_execz .LBB41_722
	s_branch .LBB41_723
.LBB41_721:
                                        ; implicit-def: $vgpr69
.LBB41_722:
	ds_load_b32 v69, v1
.LBB41_723:
	s_mov_b32 s1, exec_lo
	v_cmpx_ne_u32_e32 32, v0
	s_cbranch_execz .LBB41_727
; %bb.724:
	v_add_nc_u32_e32 v70, 0xb4, v6
	v_add3_u32 v71, 0, v6, 4
	v_mov_b32_e32 v72, v0
	s_mov_b32 s2, 0
.LBB41_725:                             ; =>This Inner Loop Header: Depth=1
	scratch_load_b32 v73, v71, off
	ds_load_b32 v74, v70
	v_dual_add_nc_u32 v72, 1, v72 :: v_dual_add_nc_u32 v70, 4, v70
	s_wait_xcnt 0x0
	v_add_nc_u32_e32 v71, 4, v71
	s_delay_alu instid0(VALU_DEP_2)
	v_cmp_lt_u32_e32 vcc_lo, 31, v72
	s_or_b32 s2, vcc_lo, s2
	s_wait_loadcnt_dscnt 0x0
	v_fmac_f32_e32 v69, v73, v74
	s_and_not1_b32 exec_lo, exec_lo, s2
	s_cbranch_execnz .LBB41_725
; %bb.726:
	s_or_b32 exec_lo, exec_lo, s2
.LBB41_727:
	s_delay_alu instid0(SALU_CYCLE_1)
	s_or_b32 exec_lo, exec_lo, s1
	v_mov_b32_e32 v70, 0
	ds_load_b32 v70, v70 offset:132
	s_wait_dscnt 0x0
	v_mul_f32_e32 v69, v69, v70
	scratch_store_b32 off, v69, off offset:132
.LBB41_728:
	s_wait_xcnt 0x0
	s_or_b32 exec_lo, exec_lo, s0
	scratch_load_b32 v69, off, off offset:136
	s_mov_b32 s0, exec_lo
	s_wait_loadcnt 0x0
	ds_store_b32 v1, v69
	s_wait_storecnt_dscnt 0x0
	s_barrier_signal -1
	s_barrier_wait -1
	s_wait_xcnt 0x0
	v_cmpx_gt_u32_e32 34, v0
	s_cbranch_execz .LBB41_738
; %bb.729:
	v_cmp_ne_u32_e32 vcc_lo, 1, v68
	s_cbranch_vccnz .LBB41_731
; %bb.730:
	scratch_load_b32 v69, v7, off
	ds_load_b32 v70, v1
	s_wait_loadcnt_dscnt 0x0
	v_mul_f32_e32 v69, v69, v70
	s_cbranch_execz .LBB41_732
	s_branch .LBB41_733
.LBB41_731:
                                        ; implicit-def: $vgpr69
.LBB41_732:
	ds_load_b32 v69, v1
.LBB41_733:
	s_mov_b32 s1, exec_lo
	v_cmpx_ne_u32_e32 33, v0
	s_cbranch_execz .LBB41_737
; %bb.734:
	v_add_nc_u32_e32 v70, 0xb4, v6
	v_add3_u32 v71, 0, v6, 4
	v_mov_b32_e32 v72, v0
	s_mov_b32 s2, 0
.LBB41_735:                             ; =>This Inner Loop Header: Depth=1
	scratch_load_b32 v73, v71, off
	ds_load_b32 v74, v70
	v_dual_add_nc_u32 v72, 1, v72 :: v_dual_add_nc_u32 v70, 4, v70
	s_wait_xcnt 0x0
	v_add_nc_u32_e32 v71, 4, v71
	s_delay_alu instid0(VALU_DEP_2)
	v_cmp_lt_u32_e32 vcc_lo, 32, v72
	s_or_b32 s2, vcc_lo, s2
	s_wait_loadcnt_dscnt 0x0
	v_fmac_f32_e32 v69, v73, v74
	s_and_not1_b32 exec_lo, exec_lo, s2
	s_cbranch_execnz .LBB41_735
; %bb.736:
	s_or_b32 exec_lo, exec_lo, s2
.LBB41_737:
	s_delay_alu instid0(SALU_CYCLE_1)
	s_or_b32 exec_lo, exec_lo, s1
	v_mov_b32_e32 v70, 0
	ds_load_b32 v70, v70 offset:136
	s_wait_dscnt 0x0
	v_mul_f32_e32 v69, v69, v70
	scratch_store_b32 off, v69, off offset:136
.LBB41_738:
	s_wait_xcnt 0x0
	s_or_b32 exec_lo, exec_lo, s0
	scratch_load_b32 v69, off, off offset:140
	s_mov_b32 s0, exec_lo
	s_wait_loadcnt 0x0
	ds_store_b32 v1, v69
	s_wait_storecnt_dscnt 0x0
	s_barrier_signal -1
	s_barrier_wait -1
	s_wait_xcnt 0x0
	v_cmpx_gt_u32_e32 35, v0
	s_cbranch_execz .LBB41_748
; %bb.739:
	v_cmp_ne_u32_e32 vcc_lo, 1, v68
	s_cbranch_vccnz .LBB41_741
; %bb.740:
	scratch_load_b32 v69, v7, off
	ds_load_b32 v70, v1
	s_wait_loadcnt_dscnt 0x0
	v_mul_f32_e32 v69, v69, v70
	s_cbranch_execz .LBB41_742
	s_branch .LBB41_743
.LBB41_741:
                                        ; implicit-def: $vgpr69
.LBB41_742:
	ds_load_b32 v69, v1
.LBB41_743:
	s_mov_b32 s1, exec_lo
	v_cmpx_ne_u32_e32 34, v0
	s_cbranch_execz .LBB41_747
; %bb.744:
	v_add_nc_u32_e32 v70, 0xb4, v6
	v_add3_u32 v71, 0, v6, 4
	v_mov_b32_e32 v72, v0
	s_mov_b32 s2, 0
.LBB41_745:                             ; =>This Inner Loop Header: Depth=1
	scratch_load_b32 v73, v71, off
	ds_load_b32 v74, v70
	v_dual_add_nc_u32 v72, 1, v72 :: v_dual_add_nc_u32 v70, 4, v70
	s_wait_xcnt 0x0
	v_add_nc_u32_e32 v71, 4, v71
	s_delay_alu instid0(VALU_DEP_2)
	v_cmp_lt_u32_e32 vcc_lo, 33, v72
	s_or_b32 s2, vcc_lo, s2
	s_wait_loadcnt_dscnt 0x0
	v_fmac_f32_e32 v69, v73, v74
	s_and_not1_b32 exec_lo, exec_lo, s2
	s_cbranch_execnz .LBB41_745
; %bb.746:
	s_or_b32 exec_lo, exec_lo, s2
.LBB41_747:
	s_delay_alu instid0(SALU_CYCLE_1)
	s_or_b32 exec_lo, exec_lo, s1
	v_mov_b32_e32 v70, 0
	ds_load_b32 v70, v70 offset:140
	s_wait_dscnt 0x0
	v_mul_f32_e32 v69, v69, v70
	scratch_store_b32 off, v69, off offset:140
.LBB41_748:
	s_wait_xcnt 0x0
	s_or_b32 exec_lo, exec_lo, s0
	scratch_load_b32 v69, off, off offset:144
	s_mov_b32 s0, exec_lo
	s_wait_loadcnt 0x0
	ds_store_b32 v1, v69
	s_wait_storecnt_dscnt 0x0
	s_barrier_signal -1
	s_barrier_wait -1
	s_wait_xcnt 0x0
	v_cmpx_gt_u32_e32 36, v0
	s_cbranch_execz .LBB41_758
; %bb.749:
	v_cmp_ne_u32_e32 vcc_lo, 1, v68
	s_cbranch_vccnz .LBB41_751
; %bb.750:
	scratch_load_b32 v69, v7, off
	ds_load_b32 v70, v1
	s_wait_loadcnt_dscnt 0x0
	v_mul_f32_e32 v69, v69, v70
	s_cbranch_execz .LBB41_752
	s_branch .LBB41_753
.LBB41_751:
                                        ; implicit-def: $vgpr69
.LBB41_752:
	ds_load_b32 v69, v1
.LBB41_753:
	s_mov_b32 s1, exec_lo
	v_cmpx_ne_u32_e32 35, v0
	s_cbranch_execz .LBB41_757
; %bb.754:
	v_add_nc_u32_e32 v70, 0xb4, v6
	v_add3_u32 v71, 0, v6, 4
	v_mov_b32_e32 v72, v0
	s_mov_b32 s2, 0
.LBB41_755:                             ; =>This Inner Loop Header: Depth=1
	scratch_load_b32 v73, v71, off
	ds_load_b32 v74, v70
	v_dual_add_nc_u32 v72, 1, v72 :: v_dual_add_nc_u32 v70, 4, v70
	s_wait_xcnt 0x0
	v_add_nc_u32_e32 v71, 4, v71
	s_delay_alu instid0(VALU_DEP_2)
	v_cmp_lt_u32_e32 vcc_lo, 34, v72
	s_or_b32 s2, vcc_lo, s2
	s_wait_loadcnt_dscnt 0x0
	v_fmac_f32_e32 v69, v73, v74
	s_and_not1_b32 exec_lo, exec_lo, s2
	s_cbranch_execnz .LBB41_755
; %bb.756:
	s_or_b32 exec_lo, exec_lo, s2
.LBB41_757:
	s_delay_alu instid0(SALU_CYCLE_1)
	s_or_b32 exec_lo, exec_lo, s1
	v_mov_b32_e32 v70, 0
	ds_load_b32 v70, v70 offset:144
	s_wait_dscnt 0x0
	v_mul_f32_e32 v69, v69, v70
	scratch_store_b32 off, v69, off offset:144
.LBB41_758:
	s_wait_xcnt 0x0
	s_or_b32 exec_lo, exec_lo, s0
	scratch_load_b32 v69, off, off offset:148
	s_mov_b32 s0, exec_lo
	s_wait_loadcnt 0x0
	ds_store_b32 v1, v69
	s_wait_storecnt_dscnt 0x0
	s_barrier_signal -1
	s_barrier_wait -1
	s_wait_xcnt 0x0
	v_cmpx_gt_u32_e32 37, v0
	s_cbranch_execz .LBB41_768
; %bb.759:
	v_cmp_ne_u32_e32 vcc_lo, 1, v68
	s_cbranch_vccnz .LBB41_761
; %bb.760:
	scratch_load_b32 v69, v7, off
	ds_load_b32 v70, v1
	s_wait_loadcnt_dscnt 0x0
	v_mul_f32_e32 v69, v69, v70
	s_cbranch_execz .LBB41_762
	s_branch .LBB41_763
.LBB41_761:
                                        ; implicit-def: $vgpr69
.LBB41_762:
	ds_load_b32 v69, v1
.LBB41_763:
	s_mov_b32 s1, exec_lo
	v_cmpx_ne_u32_e32 36, v0
	s_cbranch_execz .LBB41_767
; %bb.764:
	v_add_nc_u32_e32 v70, 0xb4, v6
	v_add3_u32 v71, 0, v6, 4
	v_mov_b32_e32 v72, v0
	s_mov_b32 s2, 0
.LBB41_765:                             ; =>This Inner Loop Header: Depth=1
	scratch_load_b32 v73, v71, off
	ds_load_b32 v74, v70
	v_dual_add_nc_u32 v72, 1, v72 :: v_dual_add_nc_u32 v70, 4, v70
	s_wait_xcnt 0x0
	v_add_nc_u32_e32 v71, 4, v71
	s_delay_alu instid0(VALU_DEP_2)
	v_cmp_lt_u32_e32 vcc_lo, 35, v72
	s_or_b32 s2, vcc_lo, s2
	s_wait_loadcnt_dscnt 0x0
	v_fmac_f32_e32 v69, v73, v74
	s_and_not1_b32 exec_lo, exec_lo, s2
	s_cbranch_execnz .LBB41_765
; %bb.766:
	s_or_b32 exec_lo, exec_lo, s2
.LBB41_767:
	s_delay_alu instid0(SALU_CYCLE_1)
	s_or_b32 exec_lo, exec_lo, s1
	v_mov_b32_e32 v70, 0
	ds_load_b32 v70, v70 offset:148
	s_wait_dscnt 0x0
	v_mul_f32_e32 v69, v69, v70
	scratch_store_b32 off, v69, off offset:148
.LBB41_768:
	s_wait_xcnt 0x0
	s_or_b32 exec_lo, exec_lo, s0
	scratch_load_b32 v69, off, off offset:152
	s_mov_b32 s0, exec_lo
	s_wait_loadcnt 0x0
	ds_store_b32 v1, v69
	s_wait_storecnt_dscnt 0x0
	s_barrier_signal -1
	s_barrier_wait -1
	s_wait_xcnt 0x0
	v_cmpx_gt_u32_e32 38, v0
	s_cbranch_execz .LBB41_778
; %bb.769:
	v_cmp_ne_u32_e32 vcc_lo, 1, v68
	s_cbranch_vccnz .LBB41_771
; %bb.770:
	scratch_load_b32 v69, v7, off
	ds_load_b32 v70, v1
	s_wait_loadcnt_dscnt 0x0
	v_mul_f32_e32 v69, v69, v70
	s_cbranch_execz .LBB41_772
	s_branch .LBB41_773
.LBB41_771:
                                        ; implicit-def: $vgpr69
.LBB41_772:
	ds_load_b32 v69, v1
.LBB41_773:
	s_mov_b32 s1, exec_lo
	v_cmpx_ne_u32_e32 37, v0
	s_cbranch_execz .LBB41_777
; %bb.774:
	v_add_nc_u32_e32 v70, 0xb4, v6
	v_add3_u32 v71, 0, v6, 4
	v_mov_b32_e32 v72, v0
	s_mov_b32 s2, 0
.LBB41_775:                             ; =>This Inner Loop Header: Depth=1
	scratch_load_b32 v73, v71, off
	ds_load_b32 v74, v70
	v_dual_add_nc_u32 v72, 1, v72 :: v_dual_add_nc_u32 v70, 4, v70
	s_wait_xcnt 0x0
	v_add_nc_u32_e32 v71, 4, v71
	s_delay_alu instid0(VALU_DEP_2)
	v_cmp_lt_u32_e32 vcc_lo, 36, v72
	s_or_b32 s2, vcc_lo, s2
	s_wait_loadcnt_dscnt 0x0
	v_fmac_f32_e32 v69, v73, v74
	s_and_not1_b32 exec_lo, exec_lo, s2
	s_cbranch_execnz .LBB41_775
; %bb.776:
	s_or_b32 exec_lo, exec_lo, s2
.LBB41_777:
	s_delay_alu instid0(SALU_CYCLE_1)
	s_or_b32 exec_lo, exec_lo, s1
	v_mov_b32_e32 v70, 0
	ds_load_b32 v70, v70 offset:152
	s_wait_dscnt 0x0
	v_mul_f32_e32 v69, v69, v70
	scratch_store_b32 off, v69, off offset:152
.LBB41_778:
	s_wait_xcnt 0x0
	s_or_b32 exec_lo, exec_lo, s0
	scratch_load_b32 v69, off, off offset:156
	s_mov_b32 s0, exec_lo
	s_wait_loadcnt 0x0
	ds_store_b32 v1, v69
	s_wait_storecnt_dscnt 0x0
	s_barrier_signal -1
	s_barrier_wait -1
	s_wait_xcnt 0x0
	v_cmpx_gt_u32_e32 39, v0
	s_cbranch_execz .LBB41_788
; %bb.779:
	v_cmp_ne_u32_e32 vcc_lo, 1, v68
	s_cbranch_vccnz .LBB41_781
; %bb.780:
	scratch_load_b32 v69, v7, off
	ds_load_b32 v70, v1
	s_wait_loadcnt_dscnt 0x0
	v_mul_f32_e32 v69, v69, v70
	s_cbranch_execz .LBB41_782
	s_branch .LBB41_783
.LBB41_781:
                                        ; implicit-def: $vgpr69
.LBB41_782:
	ds_load_b32 v69, v1
.LBB41_783:
	s_mov_b32 s1, exec_lo
	v_cmpx_ne_u32_e32 38, v0
	s_cbranch_execz .LBB41_787
; %bb.784:
	v_add_nc_u32_e32 v70, 0xb4, v6
	v_add3_u32 v71, 0, v6, 4
	v_mov_b32_e32 v72, v0
	s_mov_b32 s2, 0
.LBB41_785:                             ; =>This Inner Loop Header: Depth=1
	scratch_load_b32 v73, v71, off
	ds_load_b32 v74, v70
	v_dual_add_nc_u32 v72, 1, v72 :: v_dual_add_nc_u32 v70, 4, v70
	s_wait_xcnt 0x0
	v_add_nc_u32_e32 v71, 4, v71
	s_delay_alu instid0(VALU_DEP_2)
	v_cmp_lt_u32_e32 vcc_lo, 37, v72
	s_or_b32 s2, vcc_lo, s2
	s_wait_loadcnt_dscnt 0x0
	v_fmac_f32_e32 v69, v73, v74
	s_and_not1_b32 exec_lo, exec_lo, s2
	s_cbranch_execnz .LBB41_785
; %bb.786:
	s_or_b32 exec_lo, exec_lo, s2
.LBB41_787:
	s_delay_alu instid0(SALU_CYCLE_1)
	s_or_b32 exec_lo, exec_lo, s1
	v_mov_b32_e32 v70, 0
	ds_load_b32 v70, v70 offset:156
	s_wait_dscnt 0x0
	v_mul_f32_e32 v69, v69, v70
	scratch_store_b32 off, v69, off offset:156
.LBB41_788:
	s_wait_xcnt 0x0
	s_or_b32 exec_lo, exec_lo, s0
	scratch_load_b32 v69, off, off offset:160
	v_cmp_gt_u32_e64 s0, 40, v0
	s_wait_loadcnt 0x0
	ds_store_b32 v1, v69
	s_wait_storecnt_dscnt 0x0
	s_barrier_signal -1
	s_barrier_wait -1
	s_wait_xcnt 0x0
	s_and_saveexec_b32 s1, s0
	s_cbranch_execz .LBB41_798
; %bb.789:
	v_cmp_ne_u32_e32 vcc_lo, 1, v68
	s_cbranch_vccnz .LBB41_791
; %bb.790:
	scratch_load_b32 v69, v7, off
	ds_load_b32 v70, v1
	s_wait_loadcnt_dscnt 0x0
	v_mul_f32_e32 v69, v69, v70
	s_cbranch_execz .LBB41_792
	s_branch .LBB41_793
.LBB41_791:
                                        ; implicit-def: $vgpr69
.LBB41_792:
	ds_load_b32 v69, v1
.LBB41_793:
	s_mov_b32 s2, exec_lo
	v_cmpx_ne_u32_e32 39, v0
	s_cbranch_execz .LBB41_797
; %bb.794:
	v_add_nc_u32_e32 v70, 0xb4, v6
	v_add3_u32 v71, 0, v6, 4
	v_mov_b32_e32 v72, v0
	s_mov_b32 s3, 0
.LBB41_795:                             ; =>This Inner Loop Header: Depth=1
	scratch_load_b32 v73, v71, off
	ds_load_b32 v74, v70
	v_dual_add_nc_u32 v72, 1, v72 :: v_dual_add_nc_u32 v70, 4, v70
	s_wait_xcnt 0x0
	v_add_nc_u32_e32 v71, 4, v71
	s_delay_alu instid0(VALU_DEP_2)
	v_cmp_lt_u32_e32 vcc_lo, 38, v72
	s_or_b32 s3, vcc_lo, s3
	s_wait_loadcnt_dscnt 0x0
	v_fmac_f32_e32 v69, v73, v74
	s_and_not1_b32 exec_lo, exec_lo, s3
	s_cbranch_execnz .LBB41_795
; %bb.796:
	s_or_b32 exec_lo, exec_lo, s3
.LBB41_797:
	s_delay_alu instid0(SALU_CYCLE_1)
	s_or_b32 exec_lo, exec_lo, s2
	v_mov_b32_e32 v70, 0
	ds_load_b32 v70, v70 offset:160
	s_wait_dscnt 0x0
	v_mul_f32_e32 v69, v69, v70
	scratch_store_b32 off, v69, off offset:160
.LBB41_798:
	s_wait_xcnt 0x0
	s_or_b32 exec_lo, exec_lo, s1
	scratch_load_b32 v69, off, off offset:164
	s_mov_b32 s1, exec_lo
	s_wait_loadcnt 0x0
	ds_store_b32 v1, v69
	s_wait_storecnt_dscnt 0x0
	s_barrier_signal -1
	s_barrier_wait -1
	s_wait_xcnt 0x0
	v_cmpx_ne_u32_e32 41, v0
	s_cbranch_execz .LBB41_808
; %bb.799:
	v_cmp_ne_u32_e32 vcc_lo, 1, v68
	s_cbranch_vccnz .LBB41_801
; %bb.800:
	scratch_load_b32 v7, v7, off
	ds_load_b32 v68, v1
	s_wait_loadcnt_dscnt 0x0
	v_mul_f32_e32 v7, v7, v68
	s_cbranch_execz .LBB41_802
	s_branch .LBB41_803
.LBB41_801:
                                        ; implicit-def: $vgpr7
.LBB41_802:
	ds_load_b32 v7, v1
.LBB41_803:
	s_and_saveexec_b32 s2, s0
	s_cbranch_execz .LBB41_807
; %bb.804:
	v_add_nc_u32_e32 v1, 0xb4, v6
	v_add3_u32 v6, 0, v6, 4
	s_mov_b32 s0, 0
.LBB41_805:                             ; =>This Inner Loop Header: Depth=1
	scratch_load_b32 v68, v6, off
	ds_load_b32 v69, v1
	v_dual_add_nc_u32 v0, 1, v0 :: v_dual_add_nc_u32 v1, 4, v1
	s_wait_xcnt 0x0
	v_add_nc_u32_e32 v6, 4, v6
	s_delay_alu instid0(VALU_DEP_2)
	v_cmp_lt_u32_e32 vcc_lo, 39, v0
	s_or_b32 s0, vcc_lo, s0
	s_wait_loadcnt_dscnt 0x0
	v_fmac_f32_e32 v7, v68, v69
	s_and_not1_b32 exec_lo, exec_lo, s0
	s_cbranch_execnz .LBB41_805
; %bb.806:
	s_or_b32 exec_lo, exec_lo, s0
.LBB41_807:
	s_delay_alu instid0(SALU_CYCLE_1)
	s_or_b32 exec_lo, exec_lo, s2
	v_mov_b32_e32 v0, 0
	ds_load_b32 v0, v0 offset:164
	s_wait_dscnt 0x0
	v_mul_f32_e32 v0, v7, v0
	scratch_store_b32 off, v0, off offset:164
.LBB41_808:
	s_wait_xcnt 0x0
	s_or_b32 exec_lo, exec_lo, s1
.LBB41_809:
	s_clause 0x1
	scratch_load_b128 v[68:71], off, off
	scratch_load_b128 v[72:75], off, off offset:16
	s_wait_loadcnt 0x1
	s_clause 0x1
	global_store_b32 v[2:3], v68, off
	global_store_b32 v[4:5], v69, off
	scratch_load_b128 v[0:3], off, off offset:32
	s_clause 0x1
	global_store_b32 v[104:105], v70, off
	global_store_b32 v[106:107], v71, off
	s_clause 0x1
	scratch_load_b128 v[4:7], off, off offset:48
	scratch_load_b128 v[68:71], off, off offset:64
	s_wait_loadcnt 0x3
	s_clause 0x1
	global_store_b32 v[100:101], v72, off
	global_store_b32 v[102:103], v73, off
	scratch_load_b128 v[76:79], off, off offset:80
	s_clause 0x1
	global_store_b32 v[96:97], v74, off
	global_store_b32 v[98:99], v75, off
	s_clause 0x1
	scratch_load_b128 v[72:75], off, off offset:96
	;; [unrolled: 11-line block ×3, first 2 shown]
	scratch_load_b64 v[88:89], off, off offset:160
	s_wait_loadcnt 0x7
	s_clause 0x3
	global_store_b32 v[8:9], v4, off
	global_store_b32 v[10:11], v5, off
	global_store_b32 v[12:13], v6, off
	global_store_b32 v[14:15], v7, off
	s_wait_loadcnt 0x6
	s_clause 0x3
	global_store_b32 v[16:17], v68, off
	global_store_b32 v[18:19], v69, off
	global_store_b32 v[20:21], v70, off
	global_store_b32 v[22:23], v71, off
	;; [unrolled: 6-line block ×7, first 2 shown]
	s_wait_loadcnt 0x0
	s_clause 0x1
	global_store_b32 v[64:65], v88, off
	global_store_b32 v[66:67], v89, off
.LBB41_810:
	s_sendmsg sendmsg(MSG_DEALLOC_VGPRS)
	s_endpgm
	.section	.rodata,"a",@progbits
	.p2align	6, 0x0
	.amdhsa_kernel _ZN9rocsolver6v33100L18trti2_kernel_smallILi42EfPfEEv13rocblas_fill_17rocblas_diagonal_T1_iil
		.amdhsa_group_segment_fixed_size 344
		.amdhsa_private_segment_fixed_size 176
		.amdhsa_kernarg_size 32
		.amdhsa_user_sgpr_count 2
		.amdhsa_user_sgpr_dispatch_ptr 0
		.amdhsa_user_sgpr_queue_ptr 0
		.amdhsa_user_sgpr_kernarg_segment_ptr 1
		.amdhsa_user_sgpr_dispatch_id 0
		.amdhsa_user_sgpr_kernarg_preload_length 0
		.amdhsa_user_sgpr_kernarg_preload_offset 0
		.amdhsa_user_sgpr_private_segment_size 0
		.amdhsa_wavefront_size32 1
		.amdhsa_uses_dynamic_stack 0
		.amdhsa_enable_private_segment 1
		.amdhsa_system_sgpr_workgroup_id_x 1
		.amdhsa_system_sgpr_workgroup_id_y 0
		.amdhsa_system_sgpr_workgroup_id_z 0
		.amdhsa_system_sgpr_workgroup_info 0
		.amdhsa_system_vgpr_workitem_id 0
		.amdhsa_next_free_vgpr 108
		.amdhsa_next_free_sgpr 18
		.amdhsa_named_barrier_count 0
		.amdhsa_reserve_vcc 1
		.amdhsa_float_round_mode_32 0
		.amdhsa_float_round_mode_16_64 0
		.amdhsa_float_denorm_mode_32 3
		.amdhsa_float_denorm_mode_16_64 3
		.amdhsa_fp16_overflow 0
		.amdhsa_memory_ordered 1
		.amdhsa_forward_progress 1
		.amdhsa_inst_pref_size 182
		.amdhsa_round_robin_scheduling 0
		.amdhsa_exception_fp_ieee_invalid_op 0
		.amdhsa_exception_fp_denorm_src 0
		.amdhsa_exception_fp_ieee_div_zero 0
		.amdhsa_exception_fp_ieee_overflow 0
		.amdhsa_exception_fp_ieee_underflow 0
		.amdhsa_exception_fp_ieee_inexact 0
		.amdhsa_exception_int_div_zero 0
	.end_amdhsa_kernel
	.section	.text._ZN9rocsolver6v33100L18trti2_kernel_smallILi42EfPfEEv13rocblas_fill_17rocblas_diagonal_T1_iil,"axG",@progbits,_ZN9rocsolver6v33100L18trti2_kernel_smallILi42EfPfEEv13rocblas_fill_17rocblas_diagonal_T1_iil,comdat
.Lfunc_end41:
	.size	_ZN9rocsolver6v33100L18trti2_kernel_smallILi42EfPfEEv13rocblas_fill_17rocblas_diagonal_T1_iil, .Lfunc_end41-_ZN9rocsolver6v33100L18trti2_kernel_smallILi42EfPfEEv13rocblas_fill_17rocblas_diagonal_T1_iil
                                        ; -- End function
	.set _ZN9rocsolver6v33100L18trti2_kernel_smallILi42EfPfEEv13rocblas_fill_17rocblas_diagonal_T1_iil.num_vgpr, 108
	.set _ZN9rocsolver6v33100L18trti2_kernel_smallILi42EfPfEEv13rocblas_fill_17rocblas_diagonal_T1_iil.num_agpr, 0
	.set _ZN9rocsolver6v33100L18trti2_kernel_smallILi42EfPfEEv13rocblas_fill_17rocblas_diagonal_T1_iil.numbered_sgpr, 18
	.set _ZN9rocsolver6v33100L18trti2_kernel_smallILi42EfPfEEv13rocblas_fill_17rocblas_diagonal_T1_iil.num_named_barrier, 0
	.set _ZN9rocsolver6v33100L18trti2_kernel_smallILi42EfPfEEv13rocblas_fill_17rocblas_diagonal_T1_iil.private_seg_size, 176
	.set _ZN9rocsolver6v33100L18trti2_kernel_smallILi42EfPfEEv13rocblas_fill_17rocblas_diagonal_T1_iil.uses_vcc, 1
	.set _ZN9rocsolver6v33100L18trti2_kernel_smallILi42EfPfEEv13rocblas_fill_17rocblas_diagonal_T1_iil.uses_flat_scratch, 1
	.set _ZN9rocsolver6v33100L18trti2_kernel_smallILi42EfPfEEv13rocblas_fill_17rocblas_diagonal_T1_iil.has_dyn_sized_stack, 0
	.set _ZN9rocsolver6v33100L18trti2_kernel_smallILi42EfPfEEv13rocblas_fill_17rocblas_diagonal_T1_iil.has_recursion, 0
	.set _ZN9rocsolver6v33100L18trti2_kernel_smallILi42EfPfEEv13rocblas_fill_17rocblas_diagonal_T1_iil.has_indirect_call, 0
	.section	.AMDGPU.csdata,"",@progbits
; Kernel info:
; codeLenInByte = 23232
; TotalNumSgprs: 20
; NumVgprs: 108
; ScratchSize: 176
; MemoryBound: 0
; FloatMode: 240
; IeeeMode: 1
; LDSByteSize: 344 bytes/workgroup (compile time only)
; SGPRBlocks: 0
; VGPRBlocks: 6
; NumSGPRsForWavesPerEU: 20
; NumVGPRsForWavesPerEU: 108
; NamedBarCnt: 0
; Occupancy: 9
; WaveLimiterHint : 0
; COMPUTE_PGM_RSRC2:SCRATCH_EN: 1
; COMPUTE_PGM_RSRC2:USER_SGPR: 2
; COMPUTE_PGM_RSRC2:TRAP_HANDLER: 0
; COMPUTE_PGM_RSRC2:TGID_X_EN: 1
; COMPUTE_PGM_RSRC2:TGID_Y_EN: 0
; COMPUTE_PGM_RSRC2:TGID_Z_EN: 0
; COMPUTE_PGM_RSRC2:TIDIG_COMP_CNT: 0
	.section	.text._ZN9rocsolver6v33100L18trti2_kernel_smallILi43EfPfEEv13rocblas_fill_17rocblas_diagonal_T1_iil,"axG",@progbits,_ZN9rocsolver6v33100L18trti2_kernel_smallILi43EfPfEEv13rocblas_fill_17rocblas_diagonal_T1_iil,comdat
	.globl	_ZN9rocsolver6v33100L18trti2_kernel_smallILi43EfPfEEv13rocblas_fill_17rocblas_diagonal_T1_iil ; -- Begin function _ZN9rocsolver6v33100L18trti2_kernel_smallILi43EfPfEEv13rocblas_fill_17rocblas_diagonal_T1_iil
	.p2align	8
	.type	_ZN9rocsolver6v33100L18trti2_kernel_smallILi43EfPfEEv13rocblas_fill_17rocblas_diagonal_T1_iil,@function
_ZN9rocsolver6v33100L18trti2_kernel_smallILi43EfPfEEv13rocblas_fill_17rocblas_diagonal_T1_iil: ; @_ZN9rocsolver6v33100L18trti2_kernel_smallILi43EfPfEEv13rocblas_fill_17rocblas_diagonal_T1_iil
; %bb.0:
	s_mov_b32 s2, exec_lo
	v_cmpx_gt_u32_e32 43, v0
	s_cbranch_execz .LBB42_830
; %bb.1:
	s_load_b256 s[4:11], s[0:1], 0x0
	s_wait_xcnt 0x0
	s_bfe_u32 s0, ttmp6, 0x4000c
	s_and_b32 s1, ttmp6, 15
	s_add_co_i32 s0, s0, 1
	s_getreg_b32 s2, hwreg(HW_REG_IB_STS2, 6, 4)
	s_mul_i32 s0, ttmp9, s0
	v_mov_b32_e32 v7, 0
	s_add_co_i32 s0, s1, s0
	s_wait_kmcnt 0x0
	v_add3_u32 v8, s9, s9, v0
	s_ashr_i32 s1, s8, 31
	s_cmp_eq_u32 s2, 0
	s_cselect_b32 s2, ttmp9, s0
	s_delay_alu instid0(VALU_DEP_1)
	v_add_nc_u32_e32 v10, s9, v8
	s_ashr_i32 s3, s2, 31
	s_mov_b32 s0, s8
	s_mul_u64 s[2:3], s[10:11], s[2:3]
	s_lshl_b64 s[0:1], s[0:1], 2
	v_add_nc_u32_e32 v12, s9, v10
	s_lshl_b64 s[2:3], s[2:3], 2
	v_ashrrev_i32_e32 v9, 31, v8
	s_add_nc_u64 s[2:3], s[6:7], s[2:3]
	s_delay_alu instid0(VALU_DEP_2)
	v_add_nc_u32_e32 v14, s9, v12
	s_add_nc_u64 s[6:7], s[2:3], s[0:1]
	s_mov_b32 s0, s9
	s_ashr_i32 s1, s9, 31
	s_cmp_lg_u32 s5, 0x84
	v_add_nc_u32_e32 v16, s9, v14
	s_cselect_b32 s3, -1, 0
	s_cmp_eq_u32 s5, 0x84
	s_delay_alu instid0(VALU_DEP_1) | instskip(NEXT) | instid1(VALU_DEP_1)
	v_dual_ashrrev_i32 v11, 31, v10 :: v_dual_add_nc_u32 v18, s9, v16
	v_dual_ashrrev_i32 v17, 31, v16 :: v_dual_ashrrev_i32 v19, 31, v18
	v_dual_add_nc_u32 v20, s9, v18 :: v_dual_ashrrev_i32 v13, 31, v12
	s_delay_alu instid0(VALU_DEP_1) | instskip(NEXT) | instid1(VALU_DEP_1)
	v_dual_ashrrev_i32 v15, 31, v14 :: v_dual_add_nc_u32 v22, s9, v20
	v_add_nc_u32_e32 v24, s9, v22
	s_delay_alu instid0(VALU_DEP_1) | instskip(NEXT) | instid1(VALU_DEP_1)
	v_add_nc_u32_e32 v26, s9, v24
	v_dual_add_nc_u32 v28, s9, v26 :: v_dual_ashrrev_i32 v21, 31, v20
	v_ashrrev_i32_e32 v23, 31, v22
	s_delay_alu instid0(VALU_DEP_2) | instskip(SKIP_2) | instid1(VALU_DEP_3)
	v_dual_ashrrev_i32 v27, 31, v26 :: v_dual_add_nc_u32 v30, s9, v28
	v_lshlrev_b32_e32 v6, 2, v0
	v_ashrrev_i32_e32 v25, 31, v24
	v_dual_ashrrev_i32 v29, 31, v28 :: v_dual_ashrrev_i32 v31, 31, v30
	v_add_nc_u32_e32 v32, s9, v30
	s_delay_alu instid0(VALU_DEP_4) | instskip(NEXT) | instid1(VALU_DEP_2)
	v_add_nc_u64_e32 v[2:3], s[6:7], v[6:7]
	v_add_nc_u32_e32 v34, s9, v32
	s_delay_alu instid0(VALU_DEP_2)
	v_lshl_add_u64 v[4:5], s[0:1], 2, v[2:3]
	s_clause 0x3
	global_load_b32 v76, v0, s[6:7] scale_offset
	global_load_b32 v77, v[4:5], off
	global_load_b32 v78, v8, s[6:7] scale_offset
	global_load_b32 v79, v10, s[6:7] scale_offset
	v_add_nc_u32_e32 v36, s9, v34
	s_clause 0x3
	global_load_b32 v80, v12, s[6:7] scale_offset
	global_load_b32 v81, v14, s[6:7] scale_offset
	;; [unrolled: 1-line block ×4, first 2 shown]
	v_add_nc_u32_e32 v38, s9, v36
	s_delay_alu instid0(VALU_DEP_1)
	v_add_nc_u32_e32 v40, s9, v38
	s_clause 0x7
	global_load_b32 v84, v20, s[6:7] scale_offset
	global_load_b32 v85, v22, s[6:7] scale_offset
	;; [unrolled: 1-line block ×8, first 2 shown]
	v_dual_ashrrev_i32 v33, 31, v32 :: v_dual_ashrrev_i32 v35, 31, v34
	v_dual_add_nc_u32 v42, s9, v40 :: v_dual_ashrrev_i32 v41, 31, v40
	s_delay_alu instid0(VALU_DEP_1) | instskip(SKIP_1) | instid1(VALU_DEP_2)
	v_dual_ashrrev_i32 v43, 31, v42 :: v_dual_add_nc_u32 v44, s9, v42
	v_dual_ashrrev_i32 v37, 31, v36 :: v_dual_ashrrev_i32 v39, 31, v38
	v_add_nc_u32_e32 v46, s9, v44
	s_delay_alu instid0(VALU_DEP_1) | instskip(NEXT) | instid1(VALU_DEP_1)
	v_add_nc_u32_e32 v48, s9, v46
	v_add_nc_u32_e32 v50, s9, v48
	s_delay_alu instid0(VALU_DEP_1) | instskip(NEXT) | instid1(VALU_DEP_1)
	v_dual_add_nc_u32 v52, s9, v50 :: v_dual_ashrrev_i32 v45, 31, v44
	v_dual_ashrrev_i32 v47, 31, v46 :: v_dual_add_nc_u32 v54, s9, v52
	s_delay_alu instid0(VALU_DEP_1)
	v_dual_ashrrev_i32 v53, 31, v52 :: v_dual_ashrrev_i32 v55, 31, v54
	v_add_nc_u32_e32 v56, s9, v54
	s_clause 0x7
	global_load_b32 v92, v36, s[6:7] scale_offset
	global_load_b32 v93, v38, s[6:7] scale_offset
	;; [unrolled: 1-line block ×8, first 2 shown]
	v_dual_ashrrev_i32 v49, 31, v48 :: v_dual_ashrrev_i32 v51, 31, v50
	v_add_nc_u32_e32 v58, s9, v56
	s_delay_alu instid0(VALU_DEP_1) | instskip(NEXT) | instid1(VALU_DEP_1)
	v_add_nc_u32_e32 v60, s9, v58
	v_add_nc_u32_e32 v62, s9, v60
	s_delay_alu instid0(VALU_DEP_1) | instskip(NEXT) | instid1(VALU_DEP_1)
	v_dual_add_nc_u32 v64, s9, v62 :: v_dual_ashrrev_i32 v57, 31, v56
	v_dual_ashrrev_i32 v59, 31, v58 :: v_dual_add_nc_u32 v66, s9, v64
	s_delay_alu instid0(VALU_DEP_1)
	v_dual_ashrrev_i32 v65, 31, v64 :: v_dual_ashrrev_i32 v67, 31, v66
	v_add_nc_u32_e32 v68, s9, v66
	s_clause 0x7
	global_load_b32 v100, v52, s[6:7] scale_offset
	global_load_b32 v101, v54, s[6:7] scale_offset
	;; [unrolled: 1-line block ×8, first 2 shown]
	v_dual_ashrrev_i32 v61, 31, v60 :: v_dual_ashrrev_i32 v63, 31, v62
	v_add_nc_u32_e32 v70, s9, v68
	s_delay_alu instid0(VALU_DEP_1) | instskip(NEXT) | instid1(VALU_DEP_1)
	v_add_nc_u32_e32 v72, s9, v70
	v_add_nc_u32_e32 v74, s9, v72
	s_wait_loadcnt 0x1c
	scratch_store_b128 off, v[76:79], off
	s_wait_xcnt 0x0
	v_add_nc_u32_e32 v76, s9, v74
	s_wait_loadcnt 0x18
	scratch_store_b128 off, v[80:83], off offset:16
	v_dual_ashrrev_i32 v69, 31, v68 :: v_dual_ashrrev_i32 v71, 31, v70
	v_dual_add_nc_u32 v78, s9, v76 :: v_dual_ashrrev_i32 v77, 31, v76
	s_wait_loadcnt 0x14
	scratch_store_b128 off, v[84:87], off offset:32
	s_wait_xcnt 0x1
	v_add_nc_u32_e32 v80, s9, v78
	s_wait_loadcnt 0x10
	scratch_store_b128 off, v[88:91], off offset:48
	v_dual_ashrrev_i32 v73, 31, v72 :: v_dual_ashrrev_i32 v75, 31, v74
	v_dual_ashrrev_i32 v79, 31, v78 :: v_dual_add_nc_u32 v82, s9, v80
	s_wait_xcnt 0x0
	v_mov_b32_e32 v90, -1.0
	s_wait_loadcnt 0xc
	scratch_store_b128 off, v[92:95], off offset:64
	s_wait_loadcnt 0x8
	scratch_store_b128 off, v[96:99], off offset:80
	v_add_nc_u32_e32 v84, s9, v82
	s_delay_alu instid0(VALU_DEP_1) | instskip(NEXT) | instid1(VALU_DEP_1)
	v_dual_add_nc_u32 v86, s9, v84 :: v_dual_ashrrev_i32 v85, 31, v84
	v_dual_ashrrev_i32 v87, 31, v86 :: v_dual_add_nc_u32 v88, s9, v86
	s_clause 0xa
	global_load_b32 v92, v68, s[6:7] scale_offset
	global_load_b32 v93, v70, s[6:7] scale_offset
	;; [unrolled: 1-line block ×11, first 2 shown]
	v_dual_ashrrev_i32 v81, 31, v80 :: v_dual_ashrrev_i32 v83, 31, v82
	s_wait_loadcnt 0xf
	scratch_store_b128 off, v[100:103], off offset:96
	s_wait_loadcnt 0xb
	scratch_store_b128 off, v[104:107], off offset:112
	v_ashrrev_i32_e32 v89, 31, v88
	s_wait_loadcnt 0x7
	scratch_store_b128 off, v[92:95], off offset:128
	s_wait_loadcnt 0x3
	scratch_store_b128 off, v[96:99], off offset:144
	s_wait_loadcnt 0x0
	scratch_store_b96 off, v[108:110], off offset:160
	s_cbranch_scc1 .LBB42_3
; %bb.2:
	scratch_load_b32 v1, v0, off scale_offset
	s_wait_loadcnt 0x0
	v_div_scale_f32 v7, null, v1, v1, 1.0
	s_delay_alu instid0(VALU_DEP_1) | instskip(SKIP_1) | instid1(TRANS32_DEP_1)
	v_rcp_f32_e32 v90, v7
	v_nop
	v_fma_f32 v91, -v7, v90, 1.0
	s_delay_alu instid0(VALU_DEP_1) | instskip(SKIP_2) | instid1(VALU_DEP_1)
	v_fmac_f32_e32 v90, v91, v90
	v_div_scale_f32 v91, vcc_lo, 1.0, v1, 1.0
	s_wait_xcnt 0x3
	v_mul_f32_e32 v92, v91, v90
	s_delay_alu instid0(VALU_DEP_1) | instskip(NEXT) | instid1(VALU_DEP_1)
	v_fma_f32 v93, -v7, v92, v91
	v_fmac_f32_e32 v92, v93, v90
	s_delay_alu instid0(VALU_DEP_1) | instskip(NEXT) | instid1(VALU_DEP_1)
	v_fma_f32 v7, -v7, v92, v91
	v_div_fmas_f32 v7, v7, v90, v92
	s_delay_alu instid0(VALU_DEP_1) | instskip(NEXT) | instid1(VALU_DEP_1)
	v_div_fixup_f32 v1, v7, v1, 1.0
	v_xor_b32_e32 v90, 0x80000000, v1
	scratch_store_b32 v0, v1, off scale_offset
.LBB42_3:
	s_wait_xcnt 0x0
	v_add_nc_u32_e32 v1, 0xb0, v6
	v_mov_b32_e32 v7, v6
	s_cmp_eq_u32 s4, 0x79
	s_mov_b32 s1, -1
	ds_store_b32 v6, v90
	s_cbranch_scc1 .LBB42_417
; %bb.4:
	scratch_load_b32 v90, off, off offset:164
	v_cmp_eq_u32_e64 s0, 42, v0
	s_movk_i32 s1, 0x50
	s_movk_i32 s2, 0x60
	;; [unrolled: 1-line block ×6, first 2 shown]
	s_wait_loadcnt 0x0
	ds_store_b32 v1, v90
	s_wait_storecnt_dscnt 0x0
	s_barrier_signal -1
	s_barrier_wait -1
	s_wait_xcnt 0x0
	s_and_saveexec_b32 s4, s0
	s_cbranch_execz .LBB42_10
; %bb.5:
	s_and_b32 vcc_lo, exec_lo, s3
	s_cbranch_vccz .LBB42_7
; %bb.6:
	scratch_load_b32 v90, v7, off
	ds_load_b32 v91, v1
	s_wait_loadcnt_dscnt 0x0
	v_mul_f32_e32 v90, v90, v91
	s_cbranch_execz .LBB42_8
	s_branch .LBB42_9
.LBB42_7:
                                        ; implicit-def: $vgpr90
.LBB42_8:
	ds_load_b32 v90, v1
.LBB42_9:
	v_mov_b32_e32 v91, 0
	ds_load_b32 v91, v91 offset:164
	s_wait_dscnt 0x0
	v_mul_f32_e32 v90, v90, v91
	scratch_store_b32 off, v90, off offset:164
.LBB42_10:
	s_wait_xcnt 0x0
	s_or_b32 exec_lo, exec_lo, s4
	scratch_load_b32 v90, off, off offset:160
	s_mov_b32 s11, s2
	v_cmp_lt_u32_e64 s2, 40, v0
	s_mov_b32 s4, 16
	s_mov_b32 s5, 32
	;; [unrolled: 1-line block ×5, first 2 shown]
	s_wait_loadcnt 0x0
	ds_store_b32 v1, v90
	s_wait_storecnt_dscnt 0x0
	s_barrier_signal -1
	s_barrier_wait -1
	s_wait_xcnt 0x0
	s_and_saveexec_b32 s1, s2
	s_cbranch_execz .LBB42_16
; %bb.11:
	s_and_not1_b32 vcc_lo, exec_lo, s3
	s_cbranch_vccnz .LBB42_13
; %bb.12:
	scratch_load_b32 v90, v7, off
	ds_load_b32 v91, v1
	s_wait_loadcnt_dscnt 0x0
	v_mul_f32_e32 v90, v90, v91
	s_cbranch_execz .LBB42_14
	s_branch .LBB42_15
.LBB42_13:
                                        ; implicit-def: $vgpr90
.LBB42_14:
	ds_load_b32 v90, v1
.LBB42_15:
	scratch_load_b32 v91, off, off offset:164
	v_mov_b32_e32 v92, 0
	ds_load_2addr_b32 v[92:93], v92 offset0:40 offset1:85
	s_wait_loadcnt_dscnt 0x0
	v_fma_f32 v91, v91, v93, v90
	s_delay_alu instid0(VALU_DEP_1) | instskip(NEXT) | instid1(VALU_DEP_1)
	v_cndmask_b32_e64 v90, v90, v91, s0
	v_mul_f32_e32 v90, v90, v92
	scratch_store_b32 off, v90, off offset:160
.LBB42_16:
	s_wait_xcnt 0x0
	s_or_b32 exec_lo, exec_lo, s1
	scratch_load_b32 v90, off, off offset:156
	v_cmp_lt_u32_e64 s1, 39, v0
	s_wait_loadcnt 0x0
	ds_store_b32 v1, v90
	s_wait_storecnt_dscnt 0x0
	s_barrier_signal -1
	s_barrier_wait -1
	s_wait_xcnt 0x0
	s_and_saveexec_b32 s0, s1
	s_cbranch_execz .LBB42_26
; %bb.17:
	s_and_not1_b32 vcc_lo, exec_lo, s3
	s_cbranch_vccnz .LBB42_19
; %bb.18:
	scratch_load_b32 v90, v7, off
	ds_load_b32 v91, v1
	s_wait_loadcnt_dscnt 0x0
	v_mul_f32_e32 v90, v90, v91
	s_cbranch_execz .LBB42_20
	s_branch .LBB42_21
.LBB42_19:
                                        ; implicit-def: $vgpr90
.LBB42_20:
	ds_load_b32 v90, v1
.LBB42_21:
	s_and_saveexec_b32 s16, s2
	s_cbranch_execz .LBB42_25
; %bb.22:
	v_subrev_nc_u32_e32 v91, 40, v0
	s_movk_i32 s17, 0x150
	s_mov_b32 s2, 0
.LBB42_23:                              ; =>This Inner Loop Header: Depth=1
	scratch_load_b32 v92, off, s15
	v_dual_mov_b32 v93, s17 :: v_dual_add_nc_u32 v91, -1, v91
	s_add_co_i32 s17, s17, 4
	s_wait_xcnt 0x0
	s_add_co_i32 s15, s15, 4
	ds_load_b32 v93, v93
	v_cmp_eq_u32_e32 vcc_lo, 0, v91
	s_or_b32 s2, vcc_lo, s2
	s_wait_loadcnt_dscnt 0x0
	v_fmac_f32_e32 v90, v92, v93
	s_and_not1_b32 exec_lo, exec_lo, s2
	s_cbranch_execnz .LBB42_23
; %bb.24:
	s_or_b32 exec_lo, exec_lo, s2
.LBB42_25:
	s_delay_alu instid0(SALU_CYCLE_1)
	s_or_b32 exec_lo, exec_lo, s16
	v_mov_b32_e32 v91, 0
	ds_load_b32 v91, v91 offset:156
	s_wait_dscnt 0x0
	v_mul_f32_e32 v90, v90, v91
	scratch_store_b32 off, v90, off offset:156
.LBB42_26:
	s_wait_xcnt 0x0
	s_or_b32 exec_lo, exec_lo, s0
	scratch_load_b32 v90, off, off offset:152
	v_cmp_lt_u32_e64 s0, 38, v0
	s_wait_loadcnt 0x0
	ds_store_b32 v1, v90
	s_wait_storecnt_dscnt 0x0
	s_barrier_signal -1
	s_barrier_wait -1
	s_wait_xcnt 0x0
	s_and_saveexec_b32 s2, s0
	s_cbranch_execz .LBB42_36
; %bb.27:
	s_and_not1_b32 vcc_lo, exec_lo, s3
	s_cbranch_vccnz .LBB42_29
; %bb.28:
	scratch_load_b32 v90, v7, off
	ds_load_b32 v91, v1
	s_wait_loadcnt_dscnt 0x0
	v_mul_f32_e32 v90, v90, v91
	s_cbranch_execz .LBB42_30
	s_branch .LBB42_31
.LBB42_29:
                                        ; implicit-def: $vgpr90
.LBB42_30:
	ds_load_b32 v90, v1
.LBB42_31:
	s_and_saveexec_b32 s15, s1
	s_cbranch_execz .LBB42_35
; %bb.32:
	v_subrev_nc_u32_e32 v91, 39, v0
	s_movk_i32 s1, 0x9c
	s_movk_i32 s17, 0x14c
	s_mov_b32 s16, 0
.LBB42_33:                              ; =>This Inner Loop Header: Depth=1
	scratch_load_b32 v92, off, s1
	v_dual_mov_b32 v93, s17 :: v_dual_add_nc_u32 v91, -1, v91
	s_add_co_i32 s17, s17, 4
	s_wait_xcnt 0x0
	s_add_co_i32 s1, s1, 4
	ds_load_b32 v93, v93
	v_cmp_eq_u32_e32 vcc_lo, 0, v91
	s_or_b32 s16, vcc_lo, s16
	s_wait_loadcnt_dscnt 0x0
	v_fmac_f32_e32 v90, v92, v93
	s_and_not1_b32 exec_lo, exec_lo, s16
	s_cbranch_execnz .LBB42_33
; %bb.34:
	s_or_b32 exec_lo, exec_lo, s16
.LBB42_35:
	s_delay_alu instid0(SALU_CYCLE_1)
	s_or_b32 exec_lo, exec_lo, s15
	v_mov_b32_e32 v91, 0
	ds_load_b32 v91, v91 offset:152
	s_wait_dscnt 0x0
	v_mul_f32_e32 v90, v90, v91
	scratch_store_b32 off, v90, off offset:152
.LBB42_36:
	s_wait_xcnt 0x0
	s_or_b32 exec_lo, exec_lo, s2
	scratch_load_b32 v90, off, off offset:148
	v_cmp_lt_u32_e64 s1, 37, v0
	s_wait_loadcnt 0x0
	ds_store_b32 v1, v90
	s_wait_storecnt_dscnt 0x0
	s_barrier_signal -1
	s_barrier_wait -1
	s_wait_xcnt 0x0
	s_and_saveexec_b32 s2, s1
	s_cbranch_execz .LBB42_46
; %bb.37:
	s_and_not1_b32 vcc_lo, exec_lo, s3
	s_cbranch_vccnz .LBB42_39
; %bb.38:
	scratch_load_b32 v90, v7, off
	ds_load_b32 v91, v1
	s_wait_loadcnt_dscnt 0x0
	v_mul_f32_e32 v90, v90, v91
	s_cbranch_execz .LBB42_40
	s_branch .LBB42_41
.LBB42_39:
                                        ; implicit-def: $vgpr90
.LBB42_40:
	ds_load_b32 v90, v1
.LBB42_41:
	s_and_saveexec_b32 s15, s0
	s_cbranch_execz .LBB42_45
; %bb.42:
	v_subrev_nc_u32_e32 v91, 38, v0
	s_movk_i32 s0, 0x98
	s_movk_i32 s17, 0x148
	s_mov_b32 s16, 0
.LBB42_43:                              ; =>This Inner Loop Header: Depth=1
	scratch_load_b32 v92, off, s0
	v_dual_mov_b32 v93, s17 :: v_dual_add_nc_u32 v91, -1, v91
	s_add_co_i32 s17, s17, 4
	s_wait_xcnt 0x0
	s_add_co_i32 s0, s0, 4
	ds_load_b32 v93, v93
	v_cmp_eq_u32_e32 vcc_lo, 0, v91
	s_or_b32 s16, vcc_lo, s16
	s_wait_loadcnt_dscnt 0x0
	v_fmac_f32_e32 v90, v92, v93
	s_and_not1_b32 exec_lo, exec_lo, s16
	s_cbranch_execnz .LBB42_43
; %bb.44:
	s_or_b32 exec_lo, exec_lo, s16
.LBB42_45:
	s_delay_alu instid0(SALU_CYCLE_1)
	s_or_b32 exec_lo, exec_lo, s15
	v_mov_b32_e32 v91, 0
	ds_load_b32 v91, v91 offset:148
	s_wait_dscnt 0x0
	v_mul_f32_e32 v90, v90, v91
	scratch_store_b32 off, v90, off offset:148
.LBB42_46:
	;; [unrolled: 58-line block ×3, first 2 shown]
	s_wait_xcnt 0x0
	s_or_b32 exec_lo, exec_lo, s2
	scratch_load_b32 v90, off, off offset:140
	v_cmp_lt_u32_e64 s1, 35, v0
	s_wait_loadcnt 0x0
	ds_store_b32 v1, v90
	s_wait_storecnt_dscnt 0x0
	s_barrier_signal -1
	s_barrier_wait -1
	s_wait_xcnt 0x0
	s_and_saveexec_b32 s2, s1
	s_cbranch_execz .LBB42_66
; %bb.57:
	s_and_not1_b32 vcc_lo, exec_lo, s3
	s_cbranch_vccnz .LBB42_59
; %bb.58:
	scratch_load_b32 v90, v7, off
	ds_load_b32 v91, v1
	s_wait_loadcnt_dscnt 0x0
	v_mul_f32_e32 v90, v90, v91
	s_cbranch_execz .LBB42_60
	s_branch .LBB42_61
.LBB42_59:
                                        ; implicit-def: $vgpr90
.LBB42_60:
	ds_load_b32 v90, v1
.LBB42_61:
	s_and_saveexec_b32 s15, s0
	s_cbranch_execz .LBB42_65
; %bb.62:
	v_subrev_nc_u32_e32 v91, 36, v0
	s_movk_i32 s16, 0x140
	s_mov_b32 s0, 0
.LBB42_63:                              ; =>This Inner Loop Header: Depth=1
	scratch_load_b32 v92, off, s14
	v_dual_mov_b32 v93, s16 :: v_dual_add_nc_u32 v91, -1, v91
	s_add_co_i32 s16, s16, 4
	s_wait_xcnt 0x0
	s_add_co_i32 s14, s14, 4
	ds_load_b32 v93, v93
	v_cmp_eq_u32_e32 vcc_lo, 0, v91
	s_or_b32 s0, vcc_lo, s0
	s_wait_loadcnt_dscnt 0x0
	v_fmac_f32_e32 v90, v92, v93
	s_and_not1_b32 exec_lo, exec_lo, s0
	s_cbranch_execnz .LBB42_63
; %bb.64:
	s_or_b32 exec_lo, exec_lo, s0
.LBB42_65:
	s_delay_alu instid0(SALU_CYCLE_1)
	s_or_b32 exec_lo, exec_lo, s15
	v_mov_b32_e32 v91, 0
	ds_load_b32 v91, v91 offset:140
	s_wait_dscnt 0x0
	v_mul_f32_e32 v90, v90, v91
	scratch_store_b32 off, v90, off offset:140
.LBB42_66:
	s_wait_xcnt 0x0
	s_or_b32 exec_lo, exec_lo, s2
	scratch_load_b32 v90, off, off offset:136
	v_cmp_lt_u32_e64 s0, 34, v0
	s_wait_loadcnt 0x0
	ds_store_b32 v1, v90
	s_wait_storecnt_dscnt 0x0
	s_barrier_signal -1
	s_barrier_wait -1
	s_wait_xcnt 0x0
	s_and_saveexec_b32 s2, s0
	s_cbranch_execz .LBB42_76
; %bb.67:
	s_and_not1_b32 vcc_lo, exec_lo, s3
	s_cbranch_vccnz .LBB42_69
; %bb.68:
	scratch_load_b32 v90, v7, off
	ds_load_b32 v91, v1
	s_wait_loadcnt_dscnt 0x0
	v_mul_f32_e32 v90, v90, v91
	s_cbranch_execz .LBB42_70
	s_branch .LBB42_71
.LBB42_69:
                                        ; implicit-def: $vgpr90
.LBB42_70:
	ds_load_b32 v90, v1
.LBB42_71:
	s_and_saveexec_b32 s14, s1
	s_cbranch_execz .LBB42_75
; %bb.72:
	v_subrev_nc_u32_e32 v91, 35, v0
	s_movk_i32 s1, 0x8c
	s_movk_i32 s16, 0x13c
	s_mov_b32 s15, 0
.LBB42_73:                              ; =>This Inner Loop Header: Depth=1
	scratch_load_b32 v92, off, s1
	v_dual_mov_b32 v93, s16 :: v_dual_add_nc_u32 v91, -1, v91
	s_add_co_i32 s16, s16, 4
	s_wait_xcnt 0x0
	s_add_co_i32 s1, s1, 4
	ds_load_b32 v93, v93
	v_cmp_eq_u32_e32 vcc_lo, 0, v91
	s_or_b32 s15, vcc_lo, s15
	s_wait_loadcnt_dscnt 0x0
	v_fmac_f32_e32 v90, v92, v93
	s_and_not1_b32 exec_lo, exec_lo, s15
	s_cbranch_execnz .LBB42_73
; %bb.74:
	s_or_b32 exec_lo, exec_lo, s15
.LBB42_75:
	s_delay_alu instid0(SALU_CYCLE_1)
	s_or_b32 exec_lo, exec_lo, s14
	v_mov_b32_e32 v91, 0
	ds_load_b32 v91, v91 offset:136
	s_wait_dscnt 0x0
	v_mul_f32_e32 v90, v90, v91
	scratch_store_b32 off, v90, off offset:136
.LBB42_76:
	s_wait_xcnt 0x0
	s_or_b32 exec_lo, exec_lo, s2
	scratch_load_b32 v90, off, off offset:132
	v_cmp_lt_u32_e64 s1, 33, v0
	s_wait_loadcnt 0x0
	ds_store_b32 v1, v90
	s_wait_storecnt_dscnt 0x0
	s_barrier_signal -1
	s_barrier_wait -1
	s_wait_xcnt 0x0
	s_and_saveexec_b32 s2, s1
	s_cbranch_execz .LBB42_86
; %bb.77:
	s_and_not1_b32 vcc_lo, exec_lo, s3
	s_cbranch_vccnz .LBB42_79
; %bb.78:
	scratch_load_b32 v90, v7, off
	ds_load_b32 v91, v1
	s_wait_loadcnt_dscnt 0x0
	v_mul_f32_e32 v90, v90, v91
	s_cbranch_execz .LBB42_80
	s_branch .LBB42_81
.LBB42_79:
                                        ; implicit-def: $vgpr90
.LBB42_80:
	ds_load_b32 v90, v1
.LBB42_81:
	s_and_saveexec_b32 s14, s0
	s_cbranch_execz .LBB42_85
; %bb.82:
	v_subrev_nc_u32_e32 v91, 34, v0
	s_movk_i32 s0, 0x88
	s_movk_i32 s16, 0x138
	s_mov_b32 s15, 0
.LBB42_83:                              ; =>This Inner Loop Header: Depth=1
	scratch_load_b32 v92, off, s0
	v_dual_mov_b32 v93, s16 :: v_dual_add_nc_u32 v91, -1, v91
	s_add_co_i32 s16, s16, 4
	s_wait_xcnt 0x0
	s_add_co_i32 s0, s0, 4
	ds_load_b32 v93, v93
	v_cmp_eq_u32_e32 vcc_lo, 0, v91
	s_or_b32 s15, vcc_lo, s15
	s_wait_loadcnt_dscnt 0x0
	v_fmac_f32_e32 v90, v92, v93
	s_and_not1_b32 exec_lo, exec_lo, s15
	s_cbranch_execnz .LBB42_83
; %bb.84:
	s_or_b32 exec_lo, exec_lo, s15
.LBB42_85:
	s_delay_alu instid0(SALU_CYCLE_1)
	s_or_b32 exec_lo, exec_lo, s14
	v_mov_b32_e32 v91, 0
	ds_load_b32 v91, v91 offset:132
	s_wait_dscnt 0x0
	v_mul_f32_e32 v90, v90, v91
	scratch_store_b32 off, v90, off offset:132
.LBB42_86:
	;; [unrolled: 58-line block ×3, first 2 shown]
	s_wait_xcnt 0x0
	s_or_b32 exec_lo, exec_lo, s2
	scratch_load_b32 v90, off, off offset:124
	v_cmp_lt_u32_e64 s1, 31, v0
	s_wait_loadcnt 0x0
	ds_store_b32 v1, v90
	s_wait_storecnt_dscnt 0x0
	s_barrier_signal -1
	s_barrier_wait -1
	s_wait_xcnt 0x0
	s_and_saveexec_b32 s2, s1
	s_cbranch_execz .LBB42_106
; %bb.97:
	s_and_not1_b32 vcc_lo, exec_lo, s3
	s_cbranch_vccnz .LBB42_99
; %bb.98:
	scratch_load_b32 v90, v7, off
	ds_load_b32 v91, v1
	s_wait_loadcnt_dscnt 0x0
	v_mul_f32_e32 v90, v90, v91
	s_cbranch_execz .LBB42_100
	s_branch .LBB42_101
.LBB42_99:
                                        ; implicit-def: $vgpr90
.LBB42_100:
	ds_load_b32 v90, v1
.LBB42_101:
	s_and_saveexec_b32 s14, s0
	s_cbranch_execz .LBB42_105
; %bb.102:
	v_subrev_nc_u32_e32 v91, 32, v0
	s_movk_i32 s15, 0x130
	s_mov_b32 s0, 0
.LBB42_103:                             ; =>This Inner Loop Header: Depth=1
	scratch_load_b32 v92, off, s13
	v_dual_mov_b32 v93, s15 :: v_dual_add_nc_u32 v91, -1, v91
	s_add_co_i32 s15, s15, 4
	s_wait_xcnt 0x0
	s_add_co_i32 s13, s13, 4
	ds_load_b32 v93, v93
	v_cmp_eq_u32_e32 vcc_lo, 0, v91
	s_or_b32 s0, vcc_lo, s0
	s_wait_loadcnt_dscnt 0x0
	v_fmac_f32_e32 v90, v92, v93
	s_and_not1_b32 exec_lo, exec_lo, s0
	s_cbranch_execnz .LBB42_103
; %bb.104:
	s_or_b32 exec_lo, exec_lo, s0
.LBB42_105:
	s_delay_alu instid0(SALU_CYCLE_1)
	s_or_b32 exec_lo, exec_lo, s14
	v_mov_b32_e32 v91, 0
	ds_load_b32 v91, v91 offset:124
	s_wait_dscnt 0x0
	v_mul_f32_e32 v90, v90, v91
	scratch_store_b32 off, v90, off offset:124
.LBB42_106:
	s_wait_xcnt 0x0
	s_or_b32 exec_lo, exec_lo, s2
	scratch_load_b32 v90, off, off offset:120
	v_cmp_lt_u32_e64 s0, 30, v0
	s_wait_loadcnt 0x0
	ds_store_b32 v1, v90
	s_wait_storecnt_dscnt 0x0
	s_barrier_signal -1
	s_barrier_wait -1
	s_wait_xcnt 0x0
	s_and_saveexec_b32 s2, s0
	s_cbranch_execz .LBB42_116
; %bb.107:
	s_and_not1_b32 vcc_lo, exec_lo, s3
	s_cbranch_vccnz .LBB42_109
; %bb.108:
	scratch_load_b32 v90, v7, off
	ds_load_b32 v91, v1
	s_wait_loadcnt_dscnt 0x0
	v_mul_f32_e32 v90, v90, v91
	s_cbranch_execz .LBB42_110
	s_branch .LBB42_111
.LBB42_109:
                                        ; implicit-def: $vgpr90
.LBB42_110:
	ds_load_b32 v90, v1
.LBB42_111:
	s_and_saveexec_b32 s13, s1
	s_cbranch_execz .LBB42_115
; %bb.112:
	v_subrev_nc_u32_e32 v91, 31, v0
	s_movk_i32 s1, 0x7c
	s_movk_i32 s15, 0x12c
	s_mov_b32 s14, 0
.LBB42_113:                             ; =>This Inner Loop Header: Depth=1
	scratch_load_b32 v92, off, s1
	v_dual_mov_b32 v93, s15 :: v_dual_add_nc_u32 v91, -1, v91
	s_add_co_i32 s15, s15, 4
	s_wait_xcnt 0x0
	s_add_co_i32 s1, s1, 4
	ds_load_b32 v93, v93
	v_cmp_eq_u32_e32 vcc_lo, 0, v91
	s_or_b32 s14, vcc_lo, s14
	s_wait_loadcnt_dscnt 0x0
	v_fmac_f32_e32 v90, v92, v93
	s_and_not1_b32 exec_lo, exec_lo, s14
	s_cbranch_execnz .LBB42_113
; %bb.114:
	s_or_b32 exec_lo, exec_lo, s14
.LBB42_115:
	s_delay_alu instid0(SALU_CYCLE_1)
	s_or_b32 exec_lo, exec_lo, s13
	v_mov_b32_e32 v91, 0
	ds_load_b32 v91, v91 offset:120
	s_wait_dscnt 0x0
	v_mul_f32_e32 v90, v90, v91
	scratch_store_b32 off, v90, off offset:120
.LBB42_116:
	s_wait_xcnt 0x0
	s_or_b32 exec_lo, exec_lo, s2
	scratch_load_b32 v90, off, off offset:116
	v_cmp_lt_u32_e64 s1, 29, v0
	s_wait_loadcnt 0x0
	ds_store_b32 v1, v90
	s_wait_storecnt_dscnt 0x0
	s_barrier_signal -1
	s_barrier_wait -1
	s_wait_xcnt 0x0
	s_and_saveexec_b32 s2, s1
	s_cbranch_execz .LBB42_126
; %bb.117:
	s_and_not1_b32 vcc_lo, exec_lo, s3
	s_cbranch_vccnz .LBB42_119
; %bb.118:
	scratch_load_b32 v90, v7, off
	ds_load_b32 v91, v1
	s_wait_loadcnt_dscnt 0x0
	v_mul_f32_e32 v90, v90, v91
	s_cbranch_execz .LBB42_120
	s_branch .LBB42_121
.LBB42_119:
                                        ; implicit-def: $vgpr90
.LBB42_120:
	ds_load_b32 v90, v1
.LBB42_121:
	s_and_saveexec_b32 s13, s0
	s_cbranch_execz .LBB42_125
; %bb.122:
	v_subrev_nc_u32_e32 v91, 30, v0
	s_movk_i32 s0, 0x78
	s_movk_i32 s15, 0x128
	s_mov_b32 s14, 0
.LBB42_123:                             ; =>This Inner Loop Header: Depth=1
	scratch_load_b32 v92, off, s0
	v_dual_mov_b32 v93, s15 :: v_dual_add_nc_u32 v91, -1, v91
	s_add_co_i32 s15, s15, 4
	s_wait_xcnt 0x0
	s_add_co_i32 s0, s0, 4
	ds_load_b32 v93, v93
	v_cmp_eq_u32_e32 vcc_lo, 0, v91
	s_or_b32 s14, vcc_lo, s14
	s_wait_loadcnt_dscnt 0x0
	v_fmac_f32_e32 v90, v92, v93
	s_and_not1_b32 exec_lo, exec_lo, s14
	s_cbranch_execnz .LBB42_123
; %bb.124:
	s_or_b32 exec_lo, exec_lo, s14
.LBB42_125:
	s_delay_alu instid0(SALU_CYCLE_1)
	s_or_b32 exec_lo, exec_lo, s13
	v_mov_b32_e32 v91, 0
	ds_load_b32 v91, v91 offset:116
	s_wait_dscnt 0x0
	v_mul_f32_e32 v90, v90, v91
	scratch_store_b32 off, v90, off offset:116
.LBB42_126:
	;; [unrolled: 58-line block ×3, first 2 shown]
	s_wait_xcnt 0x0
	s_or_b32 exec_lo, exec_lo, s2
	scratch_load_b32 v90, off, off offset:108
	v_cmp_lt_u32_e64 s1, 27, v0
	s_wait_loadcnt 0x0
	ds_store_b32 v1, v90
	s_wait_storecnt_dscnt 0x0
	s_barrier_signal -1
	s_barrier_wait -1
	s_wait_xcnt 0x0
	s_and_saveexec_b32 s2, s1
	s_cbranch_execz .LBB42_146
; %bb.137:
	s_and_not1_b32 vcc_lo, exec_lo, s3
	s_cbranch_vccnz .LBB42_139
; %bb.138:
	scratch_load_b32 v90, v7, off
	ds_load_b32 v91, v1
	s_wait_loadcnt_dscnt 0x0
	v_mul_f32_e32 v90, v90, v91
	s_cbranch_execz .LBB42_140
	s_branch .LBB42_141
.LBB42_139:
                                        ; implicit-def: $vgpr90
.LBB42_140:
	ds_load_b32 v90, v1
.LBB42_141:
	s_and_saveexec_b32 s13, s0
	s_cbranch_execz .LBB42_145
; %bb.142:
	v_subrev_nc_u32_e32 v91, 28, v0
	s_movk_i32 s14, 0x120
	s_mov_b32 s0, 0
.LBB42_143:                             ; =>This Inner Loop Header: Depth=1
	scratch_load_b32 v92, off, s12
	v_dual_mov_b32 v93, s14 :: v_dual_add_nc_u32 v91, -1, v91
	s_add_co_i32 s14, s14, 4
	s_wait_xcnt 0x0
	s_add_co_i32 s12, s12, 4
	ds_load_b32 v93, v93
	v_cmp_eq_u32_e32 vcc_lo, 0, v91
	s_or_b32 s0, vcc_lo, s0
	s_wait_loadcnt_dscnt 0x0
	v_fmac_f32_e32 v90, v92, v93
	s_and_not1_b32 exec_lo, exec_lo, s0
	s_cbranch_execnz .LBB42_143
; %bb.144:
	s_or_b32 exec_lo, exec_lo, s0
.LBB42_145:
	s_delay_alu instid0(SALU_CYCLE_1)
	s_or_b32 exec_lo, exec_lo, s13
	v_mov_b32_e32 v91, 0
	ds_load_b32 v91, v91 offset:108
	s_wait_dscnt 0x0
	v_mul_f32_e32 v90, v90, v91
	scratch_store_b32 off, v90, off offset:108
.LBB42_146:
	s_wait_xcnt 0x0
	s_or_b32 exec_lo, exec_lo, s2
	scratch_load_b32 v90, off, off offset:104
	v_cmp_lt_u32_e64 s0, 26, v0
	s_wait_loadcnt 0x0
	ds_store_b32 v1, v90
	s_wait_storecnt_dscnt 0x0
	s_barrier_signal -1
	s_barrier_wait -1
	s_wait_xcnt 0x0
	s_and_saveexec_b32 s2, s0
	s_cbranch_execz .LBB42_156
; %bb.147:
	s_and_not1_b32 vcc_lo, exec_lo, s3
	s_cbranch_vccnz .LBB42_149
; %bb.148:
	scratch_load_b32 v90, v7, off
	ds_load_b32 v91, v1
	s_wait_loadcnt_dscnt 0x0
	v_mul_f32_e32 v90, v90, v91
	s_cbranch_execz .LBB42_150
	s_branch .LBB42_151
.LBB42_149:
                                        ; implicit-def: $vgpr90
.LBB42_150:
	ds_load_b32 v90, v1
.LBB42_151:
	s_and_saveexec_b32 s12, s1
	s_cbranch_execz .LBB42_155
; %bb.152:
	v_subrev_nc_u32_e32 v91, 27, v0
	s_movk_i32 s1, 0x6c
	s_movk_i32 s14, 0x11c
	s_mov_b32 s13, 0
.LBB42_153:                             ; =>This Inner Loop Header: Depth=1
	scratch_load_b32 v92, off, s1
	v_dual_mov_b32 v93, s14 :: v_dual_add_nc_u32 v91, -1, v91
	s_add_co_i32 s14, s14, 4
	s_wait_xcnt 0x0
	s_add_co_i32 s1, s1, 4
	ds_load_b32 v93, v93
	v_cmp_eq_u32_e32 vcc_lo, 0, v91
	s_or_b32 s13, vcc_lo, s13
	s_wait_loadcnt_dscnt 0x0
	v_fmac_f32_e32 v90, v92, v93
	s_and_not1_b32 exec_lo, exec_lo, s13
	s_cbranch_execnz .LBB42_153
; %bb.154:
	s_or_b32 exec_lo, exec_lo, s13
.LBB42_155:
	s_delay_alu instid0(SALU_CYCLE_1)
	s_or_b32 exec_lo, exec_lo, s12
	v_mov_b32_e32 v91, 0
	ds_load_b32 v91, v91 offset:104
	s_wait_dscnt 0x0
	v_mul_f32_e32 v90, v90, v91
	scratch_store_b32 off, v90, off offset:104
.LBB42_156:
	s_wait_xcnt 0x0
	s_or_b32 exec_lo, exec_lo, s2
	scratch_load_b32 v90, off, off offset:100
	v_cmp_lt_u32_e64 s1, 25, v0
	s_wait_loadcnt 0x0
	ds_store_b32 v1, v90
	s_wait_storecnt_dscnt 0x0
	s_barrier_signal -1
	s_barrier_wait -1
	s_wait_xcnt 0x0
	s_and_saveexec_b32 s2, s1
	s_cbranch_execz .LBB42_166
; %bb.157:
	s_and_not1_b32 vcc_lo, exec_lo, s3
	s_cbranch_vccnz .LBB42_159
; %bb.158:
	scratch_load_b32 v90, v7, off
	ds_load_b32 v91, v1
	s_wait_loadcnt_dscnt 0x0
	v_mul_f32_e32 v90, v90, v91
	s_cbranch_execz .LBB42_160
	s_branch .LBB42_161
.LBB42_159:
                                        ; implicit-def: $vgpr90
.LBB42_160:
	ds_load_b32 v90, v1
.LBB42_161:
	s_and_saveexec_b32 s12, s0
	s_cbranch_execz .LBB42_165
; %bb.162:
	v_subrev_nc_u32_e32 v91, 26, v0
	s_movk_i32 s0, 0x68
	s_movk_i32 s14, 0x118
	s_mov_b32 s13, 0
.LBB42_163:                             ; =>This Inner Loop Header: Depth=1
	scratch_load_b32 v92, off, s0
	v_dual_mov_b32 v93, s14 :: v_dual_add_nc_u32 v91, -1, v91
	s_add_co_i32 s14, s14, 4
	s_wait_xcnt 0x0
	s_add_co_i32 s0, s0, 4
	ds_load_b32 v93, v93
	v_cmp_eq_u32_e32 vcc_lo, 0, v91
	s_or_b32 s13, vcc_lo, s13
	s_wait_loadcnt_dscnt 0x0
	v_fmac_f32_e32 v90, v92, v93
	s_and_not1_b32 exec_lo, exec_lo, s13
	s_cbranch_execnz .LBB42_163
; %bb.164:
	s_or_b32 exec_lo, exec_lo, s13
.LBB42_165:
	s_delay_alu instid0(SALU_CYCLE_1)
	s_or_b32 exec_lo, exec_lo, s12
	v_mov_b32_e32 v91, 0
	ds_load_b32 v91, v91 offset:100
	s_wait_dscnt 0x0
	v_mul_f32_e32 v90, v90, v91
	scratch_store_b32 off, v90, off offset:100
.LBB42_166:
	;; [unrolled: 58-line block ×3, first 2 shown]
	s_wait_xcnt 0x0
	s_or_b32 exec_lo, exec_lo, s2
	scratch_load_b32 v90, off, off offset:92
	v_cmp_lt_u32_e64 s1, 23, v0
	s_wait_loadcnt 0x0
	ds_store_b32 v1, v90
	s_wait_storecnt_dscnt 0x0
	s_barrier_signal -1
	s_barrier_wait -1
	s_wait_xcnt 0x0
	s_and_saveexec_b32 s2, s1
	s_cbranch_execz .LBB42_186
; %bb.177:
	s_and_not1_b32 vcc_lo, exec_lo, s3
	s_cbranch_vccnz .LBB42_179
; %bb.178:
	scratch_load_b32 v90, v7, off
	ds_load_b32 v91, v1
	s_wait_loadcnt_dscnt 0x0
	v_mul_f32_e32 v90, v90, v91
	s_cbranch_execz .LBB42_180
	s_branch .LBB42_181
.LBB42_179:
                                        ; implicit-def: $vgpr90
.LBB42_180:
	ds_load_b32 v90, v1
.LBB42_181:
	s_and_saveexec_b32 s12, s0
	s_cbranch_execz .LBB42_185
; %bb.182:
	v_subrev_nc_u32_e32 v91, 24, v0
	s_movk_i32 s13, 0x110
	s_mov_b32 s0, 0
.LBB42_183:                             ; =>This Inner Loop Header: Depth=1
	scratch_load_b32 v92, off, s11
	v_dual_mov_b32 v93, s13 :: v_dual_add_nc_u32 v91, -1, v91
	s_add_co_i32 s13, s13, 4
	s_wait_xcnt 0x0
	s_add_co_i32 s11, s11, 4
	ds_load_b32 v93, v93
	v_cmp_eq_u32_e32 vcc_lo, 0, v91
	s_or_b32 s0, vcc_lo, s0
	s_wait_loadcnt_dscnt 0x0
	v_fmac_f32_e32 v90, v92, v93
	s_and_not1_b32 exec_lo, exec_lo, s0
	s_cbranch_execnz .LBB42_183
; %bb.184:
	s_or_b32 exec_lo, exec_lo, s0
.LBB42_185:
	s_delay_alu instid0(SALU_CYCLE_1)
	s_or_b32 exec_lo, exec_lo, s12
	v_mov_b32_e32 v91, 0
	ds_load_b32 v91, v91 offset:92
	s_wait_dscnt 0x0
	v_mul_f32_e32 v90, v90, v91
	scratch_store_b32 off, v90, off offset:92
.LBB42_186:
	s_wait_xcnt 0x0
	s_or_b32 exec_lo, exec_lo, s2
	scratch_load_b32 v90, off, off offset:88
	v_cmp_lt_u32_e64 s0, 22, v0
	s_wait_loadcnt 0x0
	ds_store_b32 v1, v90
	s_wait_storecnt_dscnt 0x0
	s_barrier_signal -1
	s_barrier_wait -1
	s_wait_xcnt 0x0
	s_and_saveexec_b32 s2, s0
	s_cbranch_execz .LBB42_196
; %bb.187:
	s_and_not1_b32 vcc_lo, exec_lo, s3
	s_cbranch_vccnz .LBB42_189
; %bb.188:
	scratch_load_b32 v90, v7, off
	ds_load_b32 v91, v1
	s_wait_loadcnt_dscnt 0x0
	v_mul_f32_e32 v90, v90, v91
	s_cbranch_execz .LBB42_190
	s_branch .LBB42_191
.LBB42_189:
                                        ; implicit-def: $vgpr90
.LBB42_190:
	ds_load_b32 v90, v1
.LBB42_191:
	s_and_saveexec_b32 s11, s1
	s_cbranch_execz .LBB42_195
; %bb.192:
	v_subrev_nc_u32_e32 v91, 23, v0
	s_movk_i32 s1, 0x5c
	s_movk_i32 s13, 0x10c
	s_mov_b32 s12, 0
.LBB42_193:                             ; =>This Inner Loop Header: Depth=1
	scratch_load_b32 v92, off, s1
	v_dual_mov_b32 v93, s13 :: v_dual_add_nc_u32 v91, -1, v91
	s_add_co_i32 s13, s13, 4
	s_wait_xcnt 0x0
	s_add_co_i32 s1, s1, 4
	ds_load_b32 v93, v93
	v_cmp_eq_u32_e32 vcc_lo, 0, v91
	s_or_b32 s12, vcc_lo, s12
	s_wait_loadcnt_dscnt 0x0
	v_fmac_f32_e32 v90, v92, v93
	s_and_not1_b32 exec_lo, exec_lo, s12
	s_cbranch_execnz .LBB42_193
; %bb.194:
	s_or_b32 exec_lo, exec_lo, s12
.LBB42_195:
	s_delay_alu instid0(SALU_CYCLE_1)
	s_or_b32 exec_lo, exec_lo, s11
	v_mov_b32_e32 v91, 0
	ds_load_b32 v91, v91 offset:88
	s_wait_dscnt 0x0
	v_mul_f32_e32 v90, v90, v91
	scratch_store_b32 off, v90, off offset:88
.LBB42_196:
	s_wait_xcnt 0x0
	s_or_b32 exec_lo, exec_lo, s2
	scratch_load_b32 v90, off, off offset:84
	v_cmp_lt_u32_e64 s1, 21, v0
	s_wait_loadcnt 0x0
	ds_store_b32 v1, v90
	s_wait_storecnt_dscnt 0x0
	s_barrier_signal -1
	s_barrier_wait -1
	s_wait_xcnt 0x0
	s_and_saveexec_b32 s2, s1
	s_cbranch_execz .LBB42_206
; %bb.197:
	s_and_not1_b32 vcc_lo, exec_lo, s3
	s_cbranch_vccnz .LBB42_199
; %bb.198:
	scratch_load_b32 v90, v7, off
	ds_load_b32 v91, v1
	s_wait_loadcnt_dscnt 0x0
	v_mul_f32_e32 v90, v90, v91
	s_cbranch_execz .LBB42_200
	s_branch .LBB42_201
.LBB42_199:
                                        ; implicit-def: $vgpr90
.LBB42_200:
	ds_load_b32 v90, v1
.LBB42_201:
	s_and_saveexec_b32 s11, s0
	s_cbranch_execz .LBB42_205
; %bb.202:
	v_subrev_nc_u32_e32 v91, 22, v0
	s_movk_i32 s0, 0x58
	s_movk_i32 s13, 0x108
	s_mov_b32 s12, 0
.LBB42_203:                             ; =>This Inner Loop Header: Depth=1
	scratch_load_b32 v92, off, s0
	v_dual_mov_b32 v93, s13 :: v_dual_add_nc_u32 v91, -1, v91
	s_add_co_i32 s13, s13, 4
	s_wait_xcnt 0x0
	s_add_co_i32 s0, s0, 4
	ds_load_b32 v93, v93
	v_cmp_eq_u32_e32 vcc_lo, 0, v91
	s_or_b32 s12, vcc_lo, s12
	s_wait_loadcnt_dscnt 0x0
	v_fmac_f32_e32 v90, v92, v93
	s_and_not1_b32 exec_lo, exec_lo, s12
	s_cbranch_execnz .LBB42_203
; %bb.204:
	s_or_b32 exec_lo, exec_lo, s12
.LBB42_205:
	s_delay_alu instid0(SALU_CYCLE_1)
	s_or_b32 exec_lo, exec_lo, s11
	v_mov_b32_e32 v91, 0
	ds_load_b32 v91, v91 offset:84
	s_wait_dscnt 0x0
	v_mul_f32_e32 v90, v90, v91
	scratch_store_b32 off, v90, off offset:84
.LBB42_206:
	;; [unrolled: 58-line block ×3, first 2 shown]
	s_wait_xcnt 0x0
	s_or_b32 exec_lo, exec_lo, s2
	scratch_load_b32 v90, off, off offset:76
	v_cmp_lt_u32_e64 s1, 19, v0
	s_wait_loadcnt 0x0
	ds_store_b32 v1, v90
	s_wait_storecnt_dscnt 0x0
	s_barrier_signal -1
	s_barrier_wait -1
	s_wait_xcnt 0x0
	s_and_saveexec_b32 s2, s1
	s_cbranch_execz .LBB42_226
; %bb.217:
	s_and_not1_b32 vcc_lo, exec_lo, s3
	s_cbranch_vccnz .LBB42_219
; %bb.218:
	scratch_load_b32 v90, v7, off
	ds_load_b32 v91, v1
	s_wait_loadcnt_dscnt 0x0
	v_mul_f32_e32 v90, v90, v91
	s_cbranch_execz .LBB42_220
	s_branch .LBB42_221
.LBB42_219:
                                        ; implicit-def: $vgpr90
.LBB42_220:
	ds_load_b32 v90, v1
.LBB42_221:
	s_and_saveexec_b32 s11, s0
	s_cbranch_execz .LBB42_225
; %bb.222:
	v_subrev_nc_u32_e32 v91, 20, v0
	s_movk_i32 s12, 0x100
	s_mov_b32 s0, 0
.LBB42_223:                             ; =>This Inner Loop Header: Depth=1
	scratch_load_b32 v92, off, s10
	v_dual_mov_b32 v93, s12 :: v_dual_add_nc_u32 v91, -1, v91
	s_add_co_i32 s12, s12, 4
	s_wait_xcnt 0x0
	s_add_co_i32 s10, s10, 4
	ds_load_b32 v93, v93
	v_cmp_eq_u32_e32 vcc_lo, 0, v91
	s_or_b32 s0, vcc_lo, s0
	s_wait_loadcnt_dscnt 0x0
	v_fmac_f32_e32 v90, v92, v93
	s_and_not1_b32 exec_lo, exec_lo, s0
	s_cbranch_execnz .LBB42_223
; %bb.224:
	s_or_b32 exec_lo, exec_lo, s0
.LBB42_225:
	s_delay_alu instid0(SALU_CYCLE_1)
	s_or_b32 exec_lo, exec_lo, s11
	v_mov_b32_e32 v91, 0
	ds_load_b32 v91, v91 offset:76
	s_wait_dscnt 0x0
	v_mul_f32_e32 v90, v90, v91
	scratch_store_b32 off, v90, off offset:76
.LBB42_226:
	s_wait_xcnt 0x0
	s_or_b32 exec_lo, exec_lo, s2
	scratch_load_b32 v90, off, off offset:72
	v_cmp_lt_u32_e64 s0, 18, v0
	s_wait_loadcnt 0x0
	ds_store_b32 v1, v90
	s_wait_storecnt_dscnt 0x0
	s_barrier_signal -1
	s_barrier_wait -1
	s_wait_xcnt 0x0
	s_and_saveexec_b32 s2, s0
	s_cbranch_execz .LBB42_236
; %bb.227:
	s_and_not1_b32 vcc_lo, exec_lo, s3
	s_cbranch_vccnz .LBB42_229
; %bb.228:
	scratch_load_b32 v90, v7, off
	ds_load_b32 v91, v1
	s_wait_loadcnt_dscnt 0x0
	v_mul_f32_e32 v90, v90, v91
	s_cbranch_execz .LBB42_230
	s_branch .LBB42_231
.LBB42_229:
                                        ; implicit-def: $vgpr90
.LBB42_230:
	ds_load_b32 v90, v1
.LBB42_231:
	s_and_saveexec_b32 s10, s1
	s_cbranch_execz .LBB42_235
; %bb.232:
	v_subrev_nc_u32_e32 v91, 19, v0
	s_movk_i32 s1, 0x4c
	s_movk_i32 s12, 0xfc
	s_mov_b32 s11, 0
.LBB42_233:                             ; =>This Inner Loop Header: Depth=1
	scratch_load_b32 v92, off, s1
	v_dual_mov_b32 v93, s12 :: v_dual_add_nc_u32 v91, -1, v91
	s_add_co_i32 s12, s12, 4
	s_wait_xcnt 0x0
	s_add_co_i32 s1, s1, 4
	ds_load_b32 v93, v93
	v_cmp_eq_u32_e32 vcc_lo, 0, v91
	s_or_b32 s11, vcc_lo, s11
	s_wait_loadcnt_dscnt 0x0
	v_fmac_f32_e32 v90, v92, v93
	s_and_not1_b32 exec_lo, exec_lo, s11
	s_cbranch_execnz .LBB42_233
; %bb.234:
	s_or_b32 exec_lo, exec_lo, s11
.LBB42_235:
	s_delay_alu instid0(SALU_CYCLE_1)
	s_or_b32 exec_lo, exec_lo, s10
	v_mov_b32_e32 v91, 0
	ds_load_b32 v91, v91 offset:72
	s_wait_dscnt 0x0
	v_mul_f32_e32 v90, v90, v91
	scratch_store_b32 off, v90, off offset:72
.LBB42_236:
	s_wait_xcnt 0x0
	s_or_b32 exec_lo, exec_lo, s2
	scratch_load_b32 v90, off, off offset:68
	v_cmp_lt_u32_e64 s1, 17, v0
	s_wait_loadcnt 0x0
	ds_store_b32 v1, v90
	s_wait_storecnt_dscnt 0x0
	s_barrier_signal -1
	s_barrier_wait -1
	s_wait_xcnt 0x0
	s_and_saveexec_b32 s2, s1
	s_cbranch_execz .LBB42_246
; %bb.237:
	s_and_not1_b32 vcc_lo, exec_lo, s3
	s_cbranch_vccnz .LBB42_239
; %bb.238:
	scratch_load_b32 v90, v7, off
	ds_load_b32 v91, v1
	s_wait_loadcnt_dscnt 0x0
	v_mul_f32_e32 v90, v90, v91
	s_cbranch_execz .LBB42_240
	s_branch .LBB42_241
.LBB42_239:
                                        ; implicit-def: $vgpr90
.LBB42_240:
	ds_load_b32 v90, v1
.LBB42_241:
	s_and_saveexec_b32 s10, s0
	s_cbranch_execz .LBB42_245
; %bb.242:
	v_subrev_nc_u32_e32 v91, 18, v0
	s_movk_i32 s0, 0x48
	s_movk_i32 s12, 0xf8
	s_mov_b32 s11, 0
.LBB42_243:                             ; =>This Inner Loop Header: Depth=1
	scratch_load_b32 v92, off, s0
	v_dual_mov_b32 v93, s12 :: v_dual_add_nc_u32 v91, -1, v91
	s_add_co_i32 s12, s12, 4
	s_wait_xcnt 0x0
	s_add_co_i32 s0, s0, 4
	ds_load_b32 v93, v93
	v_cmp_eq_u32_e32 vcc_lo, 0, v91
	s_or_b32 s11, vcc_lo, s11
	s_wait_loadcnt_dscnt 0x0
	v_fmac_f32_e32 v90, v92, v93
	s_and_not1_b32 exec_lo, exec_lo, s11
	s_cbranch_execnz .LBB42_243
; %bb.244:
	s_or_b32 exec_lo, exec_lo, s11
.LBB42_245:
	s_delay_alu instid0(SALU_CYCLE_1)
	s_or_b32 exec_lo, exec_lo, s10
	v_mov_b32_e32 v91, 0
	ds_load_b32 v91, v91 offset:68
	s_wait_dscnt 0x0
	v_mul_f32_e32 v90, v90, v91
	scratch_store_b32 off, v90, off offset:68
.LBB42_246:
	;; [unrolled: 58-line block ×3, first 2 shown]
	s_wait_xcnt 0x0
	s_or_b32 exec_lo, exec_lo, s2
	scratch_load_b32 v90, off, off offset:60
	v_cmp_lt_u32_e64 s1, 15, v0
	s_wait_loadcnt 0x0
	ds_store_b32 v1, v90
	s_wait_storecnt_dscnt 0x0
	s_barrier_signal -1
	s_barrier_wait -1
	s_wait_xcnt 0x0
	s_and_saveexec_b32 s2, s1
	s_cbranch_execz .LBB42_266
; %bb.257:
	s_and_not1_b32 vcc_lo, exec_lo, s3
	s_cbranch_vccnz .LBB42_259
; %bb.258:
	scratch_load_b32 v90, v7, off
	ds_load_b32 v91, v1
	s_wait_loadcnt_dscnt 0x0
	v_mul_f32_e32 v90, v90, v91
	s_cbranch_execz .LBB42_260
	s_branch .LBB42_261
.LBB42_259:
                                        ; implicit-def: $vgpr90
.LBB42_260:
	ds_load_b32 v90, v1
.LBB42_261:
	s_and_saveexec_b32 s10, s0
	s_cbranch_execz .LBB42_265
; %bb.262:
	v_add_nc_u32_e32 v91, -16, v0
	s_movk_i32 s11, 0xf0
	s_mov_b32 s0, 0
.LBB42_263:                             ; =>This Inner Loop Header: Depth=1
	scratch_load_b32 v92, off, s9
	v_dual_mov_b32 v93, s11 :: v_dual_add_nc_u32 v91, -1, v91
	s_add_co_i32 s11, s11, 4
	s_wait_xcnt 0x0
	s_add_co_i32 s9, s9, 4
	ds_load_b32 v93, v93
	v_cmp_eq_u32_e32 vcc_lo, 0, v91
	s_or_b32 s0, vcc_lo, s0
	s_wait_loadcnt_dscnt 0x0
	v_fmac_f32_e32 v90, v92, v93
	s_and_not1_b32 exec_lo, exec_lo, s0
	s_cbranch_execnz .LBB42_263
; %bb.264:
	s_or_b32 exec_lo, exec_lo, s0
.LBB42_265:
	s_delay_alu instid0(SALU_CYCLE_1)
	s_or_b32 exec_lo, exec_lo, s10
	v_mov_b32_e32 v91, 0
	ds_load_b32 v91, v91 offset:60
	s_wait_dscnt 0x0
	v_mul_f32_e32 v90, v90, v91
	scratch_store_b32 off, v90, off offset:60
.LBB42_266:
	s_wait_xcnt 0x0
	s_or_b32 exec_lo, exec_lo, s2
	scratch_load_b32 v90, off, off offset:56
	v_cmp_lt_u32_e64 s0, 14, v0
	s_wait_loadcnt 0x0
	ds_store_b32 v1, v90
	s_wait_storecnt_dscnt 0x0
	s_barrier_signal -1
	s_barrier_wait -1
	s_wait_xcnt 0x0
	s_and_saveexec_b32 s2, s0
	s_cbranch_execz .LBB42_276
; %bb.267:
	s_and_not1_b32 vcc_lo, exec_lo, s3
	s_cbranch_vccnz .LBB42_269
; %bb.268:
	scratch_load_b32 v90, v7, off
	ds_load_b32 v91, v1
	s_wait_loadcnt_dscnt 0x0
	v_mul_f32_e32 v90, v90, v91
	s_cbranch_execz .LBB42_270
	s_branch .LBB42_271
.LBB42_269:
                                        ; implicit-def: $vgpr90
.LBB42_270:
	ds_load_b32 v90, v1
.LBB42_271:
	s_and_saveexec_b32 s9, s1
	s_cbranch_execz .LBB42_275
; %bb.272:
	v_add_nc_u32_e32 v91, -15, v0
	s_mov_b32 s1, 60
	s_movk_i32 s11, 0xec
	s_mov_b32 s10, 0
.LBB42_273:                             ; =>This Inner Loop Header: Depth=1
	scratch_load_b32 v92, off, s1
	v_dual_mov_b32 v93, s11 :: v_dual_add_nc_u32 v91, -1, v91
	s_add_co_i32 s11, s11, 4
	s_wait_xcnt 0x0
	s_add_co_i32 s1, s1, 4
	ds_load_b32 v93, v93
	v_cmp_eq_u32_e32 vcc_lo, 0, v91
	s_or_b32 s10, vcc_lo, s10
	s_wait_loadcnt_dscnt 0x0
	v_fmac_f32_e32 v90, v92, v93
	s_and_not1_b32 exec_lo, exec_lo, s10
	s_cbranch_execnz .LBB42_273
; %bb.274:
	s_or_b32 exec_lo, exec_lo, s10
.LBB42_275:
	s_delay_alu instid0(SALU_CYCLE_1)
	s_or_b32 exec_lo, exec_lo, s9
	v_mov_b32_e32 v91, 0
	ds_load_b32 v91, v91 offset:56
	s_wait_dscnt 0x0
	v_mul_f32_e32 v90, v90, v91
	scratch_store_b32 off, v90, off offset:56
.LBB42_276:
	s_wait_xcnt 0x0
	s_or_b32 exec_lo, exec_lo, s2
	scratch_load_b32 v90, off, off offset:52
	v_cmp_lt_u32_e64 s1, 13, v0
	s_wait_loadcnt 0x0
	ds_store_b32 v1, v90
	s_wait_storecnt_dscnt 0x0
	s_barrier_signal -1
	s_barrier_wait -1
	s_wait_xcnt 0x0
	s_and_saveexec_b32 s2, s1
	s_cbranch_execz .LBB42_286
; %bb.277:
	s_and_not1_b32 vcc_lo, exec_lo, s3
	s_cbranch_vccnz .LBB42_279
; %bb.278:
	scratch_load_b32 v90, v7, off
	ds_load_b32 v91, v1
	s_wait_loadcnt_dscnt 0x0
	v_mul_f32_e32 v90, v90, v91
	s_cbranch_execz .LBB42_280
	s_branch .LBB42_281
.LBB42_279:
                                        ; implicit-def: $vgpr90
.LBB42_280:
	ds_load_b32 v90, v1
.LBB42_281:
	s_and_saveexec_b32 s9, s0
	s_cbranch_execz .LBB42_285
; %bb.282:
	v_add_nc_u32_e32 v91, -14, v0
	s_mov_b32 s0, 56
	s_movk_i32 s11, 0xe8
	s_mov_b32 s10, 0
.LBB42_283:                             ; =>This Inner Loop Header: Depth=1
	scratch_load_b32 v92, off, s0
	v_dual_mov_b32 v93, s11 :: v_dual_add_nc_u32 v91, -1, v91
	s_add_co_i32 s11, s11, 4
	s_wait_xcnt 0x0
	s_add_co_i32 s0, s0, 4
	ds_load_b32 v93, v93
	v_cmp_eq_u32_e32 vcc_lo, 0, v91
	s_or_b32 s10, vcc_lo, s10
	s_wait_loadcnt_dscnt 0x0
	v_fmac_f32_e32 v90, v92, v93
	s_and_not1_b32 exec_lo, exec_lo, s10
	s_cbranch_execnz .LBB42_283
; %bb.284:
	s_or_b32 exec_lo, exec_lo, s10
.LBB42_285:
	s_delay_alu instid0(SALU_CYCLE_1)
	s_or_b32 exec_lo, exec_lo, s9
	v_mov_b32_e32 v91, 0
	ds_load_b32 v91, v91 offset:52
	s_wait_dscnt 0x0
	v_mul_f32_e32 v90, v90, v91
	scratch_store_b32 off, v90, off offset:52
.LBB42_286:
	;; [unrolled: 58-line block ×3, first 2 shown]
	s_wait_xcnt 0x0
	s_or_b32 exec_lo, exec_lo, s2
	scratch_load_b32 v90, off, off offset:44
	v_cmp_lt_u32_e64 s1, 11, v0
	s_wait_loadcnt 0x0
	ds_store_b32 v1, v90
	s_wait_storecnt_dscnt 0x0
	s_barrier_signal -1
	s_barrier_wait -1
	s_wait_xcnt 0x0
	s_and_saveexec_b32 s2, s1
	s_cbranch_execz .LBB42_306
; %bb.297:
	s_and_not1_b32 vcc_lo, exec_lo, s3
	s_cbranch_vccnz .LBB42_299
; %bb.298:
	scratch_load_b32 v90, v7, off
	ds_load_b32 v91, v1
	s_wait_loadcnt_dscnt 0x0
	v_mul_f32_e32 v90, v90, v91
	s_cbranch_execz .LBB42_300
	s_branch .LBB42_301
.LBB42_299:
                                        ; implicit-def: $vgpr90
.LBB42_300:
	ds_load_b32 v90, v1
.LBB42_301:
	s_and_saveexec_b32 s9, s0
	s_cbranch_execz .LBB42_305
; %bb.302:
	v_add_nc_u32_e32 v91, -12, v0
	s_movk_i32 s10, 0xe0
	s_mov_b32 s0, 0
.LBB42_303:                             ; =>This Inner Loop Header: Depth=1
	scratch_load_b32 v92, off, s8
	v_dual_mov_b32 v93, s10 :: v_dual_add_nc_u32 v91, -1, v91
	s_add_co_i32 s10, s10, 4
	s_wait_xcnt 0x0
	s_add_co_i32 s8, s8, 4
	ds_load_b32 v93, v93
	v_cmp_eq_u32_e32 vcc_lo, 0, v91
	s_or_b32 s0, vcc_lo, s0
	s_wait_loadcnt_dscnt 0x0
	v_fmac_f32_e32 v90, v92, v93
	s_and_not1_b32 exec_lo, exec_lo, s0
	s_cbranch_execnz .LBB42_303
; %bb.304:
	s_or_b32 exec_lo, exec_lo, s0
.LBB42_305:
	s_delay_alu instid0(SALU_CYCLE_1)
	s_or_b32 exec_lo, exec_lo, s9
	v_mov_b32_e32 v91, 0
	ds_load_b32 v91, v91 offset:44
	s_wait_dscnt 0x0
	v_mul_f32_e32 v90, v90, v91
	scratch_store_b32 off, v90, off offset:44
.LBB42_306:
	s_wait_xcnt 0x0
	s_or_b32 exec_lo, exec_lo, s2
	scratch_load_b32 v90, off, off offset:40
	v_cmp_lt_u32_e64 s0, 10, v0
	s_wait_loadcnt 0x0
	ds_store_b32 v1, v90
	s_wait_storecnt_dscnt 0x0
	s_barrier_signal -1
	s_barrier_wait -1
	s_wait_xcnt 0x0
	s_and_saveexec_b32 s2, s0
	s_cbranch_execz .LBB42_316
; %bb.307:
	s_and_not1_b32 vcc_lo, exec_lo, s3
	s_cbranch_vccnz .LBB42_309
; %bb.308:
	scratch_load_b32 v90, v7, off
	ds_load_b32 v91, v1
	s_wait_loadcnt_dscnt 0x0
	v_mul_f32_e32 v90, v90, v91
	s_cbranch_execz .LBB42_310
	s_branch .LBB42_311
.LBB42_309:
                                        ; implicit-def: $vgpr90
.LBB42_310:
	ds_load_b32 v90, v1
.LBB42_311:
	s_and_saveexec_b32 s8, s1
	s_cbranch_execz .LBB42_315
; %bb.312:
	v_add_nc_u32_e32 v91, -11, v0
	s_mov_b32 s1, 44
	s_movk_i32 s10, 0xdc
	s_mov_b32 s9, 0
.LBB42_313:                             ; =>This Inner Loop Header: Depth=1
	scratch_load_b32 v92, off, s1
	v_dual_mov_b32 v93, s10 :: v_dual_add_nc_u32 v91, -1, v91
	s_add_co_i32 s10, s10, 4
	s_wait_xcnt 0x0
	s_add_co_i32 s1, s1, 4
	ds_load_b32 v93, v93
	v_cmp_eq_u32_e32 vcc_lo, 0, v91
	s_or_b32 s9, vcc_lo, s9
	s_wait_loadcnt_dscnt 0x0
	v_fmac_f32_e32 v90, v92, v93
	s_and_not1_b32 exec_lo, exec_lo, s9
	s_cbranch_execnz .LBB42_313
; %bb.314:
	s_or_b32 exec_lo, exec_lo, s9
.LBB42_315:
	s_delay_alu instid0(SALU_CYCLE_1)
	s_or_b32 exec_lo, exec_lo, s8
	v_mov_b32_e32 v91, 0
	ds_load_b32 v91, v91 offset:40
	s_wait_dscnt 0x0
	v_mul_f32_e32 v90, v90, v91
	scratch_store_b32 off, v90, off offset:40
.LBB42_316:
	s_wait_xcnt 0x0
	s_or_b32 exec_lo, exec_lo, s2
	scratch_load_b32 v90, off, off offset:36
	v_cmp_lt_u32_e64 s1, 9, v0
	s_wait_loadcnt 0x0
	ds_store_b32 v1, v90
	s_wait_storecnt_dscnt 0x0
	s_barrier_signal -1
	s_barrier_wait -1
	s_wait_xcnt 0x0
	s_and_saveexec_b32 s2, s1
	s_cbranch_execz .LBB42_326
; %bb.317:
	s_and_not1_b32 vcc_lo, exec_lo, s3
	s_cbranch_vccnz .LBB42_319
; %bb.318:
	scratch_load_b32 v90, v7, off
	ds_load_b32 v91, v1
	s_wait_loadcnt_dscnt 0x0
	v_mul_f32_e32 v90, v90, v91
	s_cbranch_execz .LBB42_320
	s_branch .LBB42_321
.LBB42_319:
                                        ; implicit-def: $vgpr90
.LBB42_320:
	ds_load_b32 v90, v1
.LBB42_321:
	s_and_saveexec_b32 s8, s0
	s_cbranch_execz .LBB42_325
; %bb.322:
	v_add_nc_u32_e32 v91, -10, v0
	s_mov_b32 s0, 40
	s_movk_i32 s10, 0xd8
	s_mov_b32 s9, 0
.LBB42_323:                             ; =>This Inner Loop Header: Depth=1
	scratch_load_b32 v92, off, s0
	v_dual_mov_b32 v93, s10 :: v_dual_add_nc_u32 v91, -1, v91
	s_add_co_i32 s10, s10, 4
	s_wait_xcnt 0x0
	s_add_co_i32 s0, s0, 4
	ds_load_b32 v93, v93
	v_cmp_eq_u32_e32 vcc_lo, 0, v91
	s_or_b32 s9, vcc_lo, s9
	s_wait_loadcnt_dscnt 0x0
	v_fmac_f32_e32 v90, v92, v93
	s_and_not1_b32 exec_lo, exec_lo, s9
	s_cbranch_execnz .LBB42_323
; %bb.324:
	s_or_b32 exec_lo, exec_lo, s9
.LBB42_325:
	s_delay_alu instid0(SALU_CYCLE_1)
	s_or_b32 exec_lo, exec_lo, s8
	v_mov_b32_e32 v91, 0
	ds_load_b32 v91, v91 offset:36
	s_wait_dscnt 0x0
	v_mul_f32_e32 v90, v90, v91
	scratch_store_b32 off, v90, off offset:36
.LBB42_326:
	;; [unrolled: 58-line block ×3, first 2 shown]
	s_wait_xcnt 0x0
	s_or_b32 exec_lo, exec_lo, s2
	scratch_load_b32 v90, off, off offset:28
	v_cmp_lt_u32_e64 s1, 7, v0
	s_wait_loadcnt 0x0
	ds_store_b32 v1, v90
	s_wait_storecnt_dscnt 0x0
	s_barrier_signal -1
	s_barrier_wait -1
	s_wait_xcnt 0x0
	s_and_saveexec_b32 s2, s1
	s_cbranch_execz .LBB42_346
; %bb.337:
	s_and_not1_b32 vcc_lo, exec_lo, s3
	s_cbranch_vccnz .LBB42_339
; %bb.338:
	scratch_load_b32 v90, v7, off
	ds_load_b32 v91, v1
	s_wait_loadcnt_dscnt 0x0
	v_mul_f32_e32 v90, v90, v91
	s_cbranch_execz .LBB42_340
	s_branch .LBB42_341
.LBB42_339:
                                        ; implicit-def: $vgpr90
.LBB42_340:
	ds_load_b32 v90, v1
.LBB42_341:
	s_and_saveexec_b32 s8, s0
	s_cbranch_execz .LBB42_345
; %bb.342:
	v_add_nc_u32_e32 v91, -8, v0
	s_movk_i32 s9, 0xd0
	s_mov_b32 s0, 0
.LBB42_343:                             ; =>This Inner Loop Header: Depth=1
	scratch_load_b32 v92, off, s5
	v_dual_mov_b32 v93, s9 :: v_dual_add_nc_u32 v91, -1, v91
	s_add_co_i32 s9, s9, 4
	s_wait_xcnt 0x0
	s_add_co_i32 s5, s5, 4
	ds_load_b32 v93, v93
	v_cmp_eq_u32_e32 vcc_lo, 0, v91
	s_or_b32 s0, vcc_lo, s0
	s_wait_loadcnt_dscnt 0x0
	v_fmac_f32_e32 v90, v92, v93
	s_and_not1_b32 exec_lo, exec_lo, s0
	s_cbranch_execnz .LBB42_343
; %bb.344:
	s_or_b32 exec_lo, exec_lo, s0
.LBB42_345:
	s_delay_alu instid0(SALU_CYCLE_1)
	s_or_b32 exec_lo, exec_lo, s8
	v_mov_b32_e32 v91, 0
	ds_load_b32 v91, v91 offset:28
	s_wait_dscnt 0x0
	v_mul_f32_e32 v90, v90, v91
	scratch_store_b32 off, v90, off offset:28
.LBB42_346:
	s_wait_xcnt 0x0
	s_or_b32 exec_lo, exec_lo, s2
	scratch_load_b32 v90, off, off offset:24
	v_cmp_lt_u32_e64 s0, 6, v0
	s_wait_loadcnt 0x0
	ds_store_b32 v1, v90
	s_wait_storecnt_dscnt 0x0
	s_barrier_signal -1
	s_barrier_wait -1
	s_wait_xcnt 0x0
	s_and_saveexec_b32 s2, s0
	s_cbranch_execz .LBB42_356
; %bb.347:
	s_and_not1_b32 vcc_lo, exec_lo, s3
	s_cbranch_vccnz .LBB42_349
; %bb.348:
	scratch_load_b32 v90, v7, off
	ds_load_b32 v91, v1
	s_wait_loadcnt_dscnt 0x0
	v_mul_f32_e32 v90, v90, v91
	s_cbranch_execz .LBB42_350
	s_branch .LBB42_351
.LBB42_349:
                                        ; implicit-def: $vgpr90
.LBB42_350:
	ds_load_b32 v90, v1
.LBB42_351:
	s_and_saveexec_b32 s5, s1
	s_cbranch_execz .LBB42_355
; %bb.352:
	v_add_nc_u32_e32 v91, -7, v0
	s_mov_b32 s1, 28
	s_movk_i32 s9, 0xcc
	s_mov_b32 s8, 0
.LBB42_353:                             ; =>This Inner Loop Header: Depth=1
	scratch_load_b32 v92, off, s1
	v_dual_mov_b32 v93, s9 :: v_dual_add_nc_u32 v91, -1, v91
	s_add_co_i32 s9, s9, 4
	s_wait_xcnt 0x0
	s_add_co_i32 s1, s1, 4
	ds_load_b32 v93, v93
	v_cmp_eq_u32_e32 vcc_lo, 0, v91
	s_or_b32 s8, vcc_lo, s8
	s_wait_loadcnt_dscnt 0x0
	v_fmac_f32_e32 v90, v92, v93
	s_and_not1_b32 exec_lo, exec_lo, s8
	s_cbranch_execnz .LBB42_353
; %bb.354:
	s_or_b32 exec_lo, exec_lo, s8
.LBB42_355:
	s_delay_alu instid0(SALU_CYCLE_1)
	s_or_b32 exec_lo, exec_lo, s5
	v_mov_b32_e32 v91, 0
	ds_load_b32 v91, v91 offset:24
	s_wait_dscnt 0x0
	v_mul_f32_e32 v90, v90, v91
	scratch_store_b32 off, v90, off offset:24
.LBB42_356:
	s_wait_xcnt 0x0
	s_or_b32 exec_lo, exec_lo, s2
	scratch_load_b32 v90, off, off offset:20
	v_cmp_lt_u32_e64 s1, 5, v0
	s_wait_loadcnt 0x0
	ds_store_b32 v1, v90
	s_wait_storecnt_dscnt 0x0
	s_barrier_signal -1
	s_barrier_wait -1
	s_wait_xcnt 0x0
	s_and_saveexec_b32 s2, s1
	s_cbranch_execz .LBB42_366
; %bb.357:
	s_and_not1_b32 vcc_lo, exec_lo, s3
	s_cbranch_vccnz .LBB42_359
; %bb.358:
	scratch_load_b32 v90, v7, off
	ds_load_b32 v91, v1
	s_wait_loadcnt_dscnt 0x0
	v_mul_f32_e32 v90, v90, v91
	s_cbranch_execz .LBB42_360
	s_branch .LBB42_361
.LBB42_359:
                                        ; implicit-def: $vgpr90
.LBB42_360:
	ds_load_b32 v90, v1
.LBB42_361:
	s_and_saveexec_b32 s5, s0
	s_cbranch_execz .LBB42_365
; %bb.362:
	v_add_nc_u32_e32 v91, -6, v0
	s_mov_b32 s0, 24
	s_movk_i32 s9, 0xc8
	s_mov_b32 s8, 0
.LBB42_363:                             ; =>This Inner Loop Header: Depth=1
	scratch_load_b32 v92, off, s0
	v_dual_mov_b32 v93, s9 :: v_dual_add_nc_u32 v91, -1, v91
	s_add_co_i32 s9, s9, 4
	s_wait_xcnt 0x0
	s_add_co_i32 s0, s0, 4
	ds_load_b32 v93, v93
	v_cmp_eq_u32_e32 vcc_lo, 0, v91
	s_or_b32 s8, vcc_lo, s8
	s_wait_loadcnt_dscnt 0x0
	v_fmac_f32_e32 v90, v92, v93
	s_and_not1_b32 exec_lo, exec_lo, s8
	s_cbranch_execnz .LBB42_363
; %bb.364:
	s_or_b32 exec_lo, exec_lo, s8
.LBB42_365:
	s_delay_alu instid0(SALU_CYCLE_1)
	s_or_b32 exec_lo, exec_lo, s5
	v_mov_b32_e32 v91, 0
	ds_load_b32 v91, v91 offset:20
	s_wait_dscnt 0x0
	v_mul_f32_e32 v90, v90, v91
	scratch_store_b32 off, v90, off offset:20
.LBB42_366:
	;; [unrolled: 58-line block ×3, first 2 shown]
	s_wait_xcnt 0x0
	s_or_b32 exec_lo, exec_lo, s2
	scratch_load_b32 v90, off, off offset:12
	v_cmp_lt_u32_e64 s2, 3, v0
	s_wait_loadcnt 0x0
	ds_store_b32 v1, v90
	s_wait_storecnt_dscnt 0x0
	s_barrier_signal -1
	s_barrier_wait -1
	s_wait_xcnt 0x0
	s_and_saveexec_b32 s1, s2
	s_cbranch_execz .LBB42_386
; %bb.377:
	s_and_not1_b32 vcc_lo, exec_lo, s3
	s_cbranch_vccnz .LBB42_379
; %bb.378:
	scratch_load_b32 v90, v7, off
	ds_load_b32 v91, v1
	s_wait_loadcnt_dscnt 0x0
	v_mul_f32_e32 v90, v90, v91
	s_cbranch_execz .LBB42_380
	s_branch .LBB42_381
.LBB42_379:
                                        ; implicit-def: $vgpr90
.LBB42_380:
	ds_load_b32 v90, v1
.LBB42_381:
	s_and_saveexec_b32 s5, s0
	s_cbranch_execz .LBB42_385
; %bb.382:
	v_add_nc_u32_e32 v91, -4, v0
	s_movk_i32 s8, 0xc0
	s_mov_b32 s0, 0
.LBB42_383:                             ; =>This Inner Loop Header: Depth=1
	scratch_load_b32 v92, off, s4
	v_dual_mov_b32 v93, s8 :: v_dual_add_nc_u32 v91, -1, v91
	s_add_co_i32 s8, s8, 4
	s_wait_xcnt 0x0
	s_add_co_i32 s4, s4, 4
	ds_load_b32 v93, v93
	v_cmp_eq_u32_e32 vcc_lo, 0, v91
	s_or_b32 s0, vcc_lo, s0
	s_wait_loadcnt_dscnt 0x0
	v_fmac_f32_e32 v90, v92, v93
	s_and_not1_b32 exec_lo, exec_lo, s0
	s_cbranch_execnz .LBB42_383
; %bb.384:
	s_or_b32 exec_lo, exec_lo, s0
.LBB42_385:
	s_delay_alu instid0(SALU_CYCLE_1)
	s_or_b32 exec_lo, exec_lo, s5
	v_mov_b32_e32 v91, 0
	ds_load_b32 v91, v91 offset:12
	s_wait_dscnt 0x0
	v_mul_f32_e32 v90, v90, v91
	scratch_store_b32 off, v90, off offset:12
.LBB42_386:
	s_wait_xcnt 0x0
	s_or_b32 exec_lo, exec_lo, s1
	scratch_load_b32 v90, off, off offset:8
	v_cmp_lt_u32_e64 s1, 2, v0
	s_wait_loadcnt 0x0
	ds_store_b32 v1, v90
	s_wait_storecnt_dscnt 0x0
	s_barrier_signal -1
	s_barrier_wait -1
	s_wait_xcnt 0x0
	s_and_saveexec_b32 s0, s1
	s_cbranch_execz .LBB42_396
; %bb.387:
	s_and_not1_b32 vcc_lo, exec_lo, s3
	s_cbranch_vccnz .LBB42_389
; %bb.388:
	scratch_load_b32 v90, v7, off
	ds_load_b32 v91, v1
	s_wait_loadcnt_dscnt 0x0
	v_mul_f32_e32 v90, v90, v91
	s_cbranch_execz .LBB42_390
	s_branch .LBB42_391
.LBB42_389:
                                        ; implicit-def: $vgpr90
.LBB42_390:
	ds_load_b32 v90, v1
.LBB42_391:
	s_and_saveexec_b32 s4, s2
	s_cbranch_execz .LBB42_395
; %bb.392:
	v_add_nc_u32_e32 v91, -3, v0
	s_or_b32 s2, 0, 12
	s_movk_i32 s8, 0xbc
	s_mov_b32 s5, 0
.LBB42_393:                             ; =>This Inner Loop Header: Depth=1
	scratch_load_b32 v92, off, s2
	v_dual_mov_b32 v93, s8 :: v_dual_add_nc_u32 v91, -1, v91
	s_add_co_i32 s8, s8, 4
	s_wait_xcnt 0x0
	s_add_co_i32 s2, s2, 4
	ds_load_b32 v93, v93
	v_cmp_eq_u32_e32 vcc_lo, 0, v91
	s_or_b32 s5, vcc_lo, s5
	s_wait_loadcnt_dscnt 0x0
	v_fmac_f32_e32 v90, v92, v93
	s_and_not1_b32 exec_lo, exec_lo, s5
	s_cbranch_execnz .LBB42_393
; %bb.394:
	s_or_b32 exec_lo, exec_lo, s5
.LBB42_395:
	s_delay_alu instid0(SALU_CYCLE_1)
	s_or_b32 exec_lo, exec_lo, s4
	v_mov_b32_e32 v91, 0
	ds_load_b32 v91, v91 offset:8
	s_wait_dscnt 0x0
	v_mul_f32_e32 v90, v90, v91
	scratch_store_b32 off, v90, off offset:8
.LBB42_396:
	s_wait_xcnt 0x0
	s_or_b32 exec_lo, exec_lo, s0
	scratch_load_b32 v90, off, off offset:4
	v_cmp_lt_u32_e64 s0, 1, v0
	s_wait_loadcnt 0x0
	ds_store_b32 v1, v90
	s_wait_storecnt_dscnt 0x0
	s_barrier_signal -1
	s_barrier_wait -1
	s_wait_xcnt 0x0
	s_and_saveexec_b32 s2, s0
	s_cbranch_execz .LBB42_406
; %bb.397:
	s_and_not1_b32 vcc_lo, exec_lo, s3
	s_cbranch_vccnz .LBB42_399
; %bb.398:
	scratch_load_b32 v90, v7, off
	ds_load_b32 v91, v1
	s_wait_loadcnt_dscnt 0x0
	v_mul_f32_e32 v90, v90, v91
	s_cbranch_execz .LBB42_400
	s_branch .LBB42_401
.LBB42_399:
                                        ; implicit-def: $vgpr90
.LBB42_400:
	ds_load_b32 v90, v1
.LBB42_401:
	s_and_saveexec_b32 s4, s1
	s_cbranch_execz .LBB42_405
; %bb.402:
	v_add_nc_u32_e32 v91, -2, v0
	s_or_b32 s1, 0, 8
	s_movk_i32 s8, 0xb8
	s_mov_b32 s5, 0
.LBB42_403:                             ; =>This Inner Loop Header: Depth=1
	scratch_load_b32 v92, off, s1
	v_dual_mov_b32 v93, s8 :: v_dual_add_nc_u32 v91, -1, v91
	s_add_co_i32 s8, s8, 4
	s_wait_xcnt 0x0
	s_add_co_i32 s1, s1, 4
	ds_load_b32 v93, v93
	v_cmp_eq_u32_e32 vcc_lo, 0, v91
	s_or_b32 s5, vcc_lo, s5
	s_wait_loadcnt_dscnt 0x0
	v_fmac_f32_e32 v90, v92, v93
	s_and_not1_b32 exec_lo, exec_lo, s5
	s_cbranch_execnz .LBB42_403
; %bb.404:
	s_or_b32 exec_lo, exec_lo, s5
.LBB42_405:
	s_delay_alu instid0(SALU_CYCLE_1)
	s_or_b32 exec_lo, exec_lo, s4
	v_mov_b32_e32 v91, 0
	ds_load_b32 v91, v91 offset:4
	s_wait_dscnt 0x0
	v_mul_f32_e32 v90, v90, v91
	scratch_store_b32 off, v90, off offset:4
.LBB42_406:
	s_wait_xcnt 0x0
	s_or_b32 exec_lo, exec_lo, s2
	scratch_load_b32 v90, off, off
	s_mov_b32 s1, 0
	s_mov_b32 s2, exec_lo
	s_wait_loadcnt 0x0
	ds_store_b32 v1, v90
	s_wait_storecnt_dscnt 0x0
	s_barrier_signal -1
	s_barrier_wait -1
	s_wait_xcnt 0x0
	v_cmpx_ne_u32_e32 0, v0
	s_cbranch_execz .LBB42_416
; %bb.407:
	s_and_not1_b32 vcc_lo, exec_lo, s3
	s_cbranch_vccnz .LBB42_409
; %bb.408:
	scratch_load_b32 v90, v7, off
	ds_load_b32 v91, v1
	s_wait_loadcnt_dscnt 0x0
	v_mul_f32_e32 v90, v90, v91
	s_cbranch_execz .LBB42_410
	s_branch .LBB42_411
.LBB42_409:
                                        ; implicit-def: $vgpr90
.LBB42_410:
	ds_load_b32 v90, v1
.LBB42_411:
	s_and_saveexec_b32 s4, s0
	s_cbranch_execz .LBB42_415
; %bb.412:
	v_add_nc_u32_e32 v91, -1, v0
	s_or_b32 s0, 0, 4
	s_movk_i32 s8, 0xb4
	s_mov_b32 s5, 0
.LBB42_413:                             ; =>This Inner Loop Header: Depth=1
	scratch_load_b32 v92, off, s0
	v_dual_mov_b32 v93, s8 :: v_dual_add_nc_u32 v91, -1, v91
	s_add_co_i32 s8, s8, 4
	s_wait_xcnt 0x0
	s_add_co_i32 s0, s0, 4
	ds_load_b32 v93, v93
	v_cmp_eq_u32_e32 vcc_lo, 0, v91
	s_or_b32 s5, vcc_lo, s5
	s_wait_loadcnt_dscnt 0x0
	v_fmac_f32_e32 v90, v92, v93
	s_and_not1_b32 exec_lo, exec_lo, s5
	s_cbranch_execnz .LBB42_413
; %bb.414:
	s_or_b32 exec_lo, exec_lo, s5
.LBB42_415:
	s_delay_alu instid0(SALU_CYCLE_1)
	s_or_b32 exec_lo, exec_lo, s4
	v_mov_b32_e32 v91, 0
	ds_load_b32 v91, v91
	s_wait_dscnt 0x0
	v_mul_f32_e32 v90, v90, v91
	scratch_store_b32 off, v90, off
.LBB42_416:
	s_wait_xcnt 0x0
	s_or_b32 exec_lo, exec_lo, s2
.LBB42_417:
	v_lshl_add_u64 v[100:101], v[8:9], 2, s[6:7]
	v_lshl_add_u64 v[98:99], v[10:11], 2, s[6:7]
	;; [unrolled: 1-line block ×41, first 2 shown]
	s_and_b32 vcc_lo, exec_lo, s1
	s_cbranch_vccz .LBB42_829
; %bb.418:
	scratch_load_b32 v78, off, off offset:4
	v_cmp_eq_u32_e64 s0, 0, v0
	s_wait_loadcnt 0x0
	ds_store_b32 v1, v78
	s_wait_storecnt_dscnt 0x0
	s_barrier_signal -1
	s_barrier_wait -1
	s_wait_xcnt 0x0
	s_and_saveexec_b32 s1, s0
	s_cbranch_execz .LBB42_424
; %bb.419:
	s_and_b32 vcc_lo, exec_lo, s3
	s_cbranch_vccz .LBB42_421
; %bb.420:
	scratch_load_b32 v78, v7, off
	ds_load_b32 v79, v1
	s_wait_loadcnt_dscnt 0x0
	v_mul_f32_e32 v78, v78, v79
	s_cbranch_execz .LBB42_422
	s_branch .LBB42_423
.LBB42_421:
                                        ; implicit-def: $vgpr78
.LBB42_422:
	ds_load_b32 v78, v1
.LBB42_423:
	v_mov_b32_e32 v79, 0
	ds_load_b32 v79, v79 offset:4
	s_wait_dscnt 0x0
	v_mul_f32_e32 v78, v78, v79
	scratch_store_b32 off, v78, off offset:4
.LBB42_424:
	s_wait_xcnt 0x0
	s_or_b32 exec_lo, exec_lo, s1
	scratch_load_b32 v79, off, off offset:8
	v_cndmask_b32_e64 v78, 0, 1, s3
	s_mov_b32 s1, exec_lo
	s_wait_loadcnt 0x0
	ds_store_b32 v1, v79
	s_wait_storecnt_dscnt 0x0
	s_barrier_signal -1
	s_barrier_wait -1
	s_wait_xcnt 0x0
	v_cmpx_gt_u32_e32 2, v0
	s_cbranch_execz .LBB42_430
; %bb.425:
	s_and_not1_b32 vcc_lo, exec_lo, s3
	s_cbranch_vccnz .LBB42_427
; %bb.426:
	scratch_load_b32 v79, v7, off
	ds_load_b32 v80, v1
	s_wait_loadcnt_dscnt 0x0
	v_mul_f32_e32 v79, v79, v80
	s_cbranch_execz .LBB42_428
	s_branch .LBB42_429
.LBB42_427:
                                        ; implicit-def: $vgpr79
.LBB42_428:
	ds_load_b32 v79, v1
.LBB42_429:
	scratch_load_b32 v82, off, off offset:4
	v_mov_b32_e32 v80, 0
	ds_load_2addr_b32 v[80:81], v80 offset0:2 offset1:45
	s_wait_loadcnt_dscnt 0x0
	v_fma_f32 v81, v82, v81, v79
	s_delay_alu instid0(VALU_DEP_1) | instskip(NEXT) | instid1(VALU_DEP_1)
	v_cndmask_b32_e64 v79, v79, v81, s0
	v_mul_f32_e32 v79, v79, v80
	scratch_store_b32 off, v79, off offset:8
.LBB42_430:
	s_wait_xcnt 0x0
	s_or_b32 exec_lo, exec_lo, s1
	scratch_load_b32 v79, off, off offset:12
	s_mov_b32 s1, exec_lo
	s_wait_loadcnt 0x0
	ds_store_b32 v1, v79
	s_wait_storecnt_dscnt 0x0
	s_barrier_signal -1
	s_barrier_wait -1
	s_wait_xcnt 0x0
	v_cmpx_gt_u32_e32 3, v0
	s_cbranch_execz .LBB42_438
; %bb.431:
	v_cmp_ne_u32_e32 vcc_lo, 1, v78
	s_cbranch_vccnz .LBB42_433
; %bb.432:
	scratch_load_b32 v79, v7, off
	ds_load_b32 v80, v1
	s_wait_loadcnt_dscnt 0x0
	v_mul_f32_e32 v79, v79, v80
	s_cbranch_execz .LBB42_434
	s_branch .LBB42_435
.LBB42_433:
                                        ; implicit-def: $vgpr79
.LBB42_434:
	ds_load_b32 v79, v1
.LBB42_435:
	s_mov_b32 s2, exec_lo
	v_cmpx_ne_u32_e32 2, v0
	s_cbranch_execz .LBB42_437
; %bb.436:
	scratch_load_b32 v80, v7, off offset:4
	ds_load_b32 v81, v1 offset:4
	s_wait_loadcnt_dscnt 0x0
	v_dual_fmac_f32 v79, v80, v81 :: v_dual_mov_b32 v81, 0
	scratch_load_b32 v80, off, off offset:8
	ds_load_b32 v81, v81 offset:184
	s_wait_loadcnt_dscnt 0x0
	v_fma_f32 v80, v80, v81, v79
	s_delay_alu instid0(VALU_DEP_1)
	v_cndmask_b32_e64 v79, v79, v80, s0
.LBB42_437:
	s_or_b32 exec_lo, exec_lo, s2
	v_mov_b32_e32 v80, 0
	ds_load_b32 v80, v80 offset:12
	s_wait_dscnt 0x0
	v_mul_f32_e32 v79, v79, v80
	scratch_store_b32 off, v79, off offset:12
.LBB42_438:
	s_wait_xcnt 0x0
	s_or_b32 exec_lo, exec_lo, s1
	scratch_load_b32 v79, off, off offset:16
	s_mov_b32 s0, exec_lo
	s_wait_loadcnt 0x0
	ds_store_b32 v1, v79
	s_wait_storecnt_dscnt 0x0
	s_barrier_signal -1
	s_barrier_wait -1
	s_wait_xcnt 0x0
	v_cmpx_gt_u32_e32 4, v0
	s_cbranch_execz .LBB42_448
; %bb.439:
	v_cmp_ne_u32_e32 vcc_lo, 1, v78
	s_cbranch_vccnz .LBB42_441
; %bb.440:
	scratch_load_b32 v79, v7, off
	ds_load_b32 v80, v1
	s_wait_loadcnt_dscnt 0x0
	v_mul_f32_e32 v79, v79, v80
	s_cbranch_execz .LBB42_442
	s_branch .LBB42_443
.LBB42_441:
                                        ; implicit-def: $vgpr79
.LBB42_442:
	ds_load_b32 v79, v1
.LBB42_443:
	s_mov_b32 s1, exec_lo
	v_cmpx_ne_u32_e32 3, v0
	s_cbranch_execz .LBB42_447
; %bb.444:
	v_add_nc_u32_e32 v80, 0xb4, v6
	v_add3_u32 v81, 0, v6, 4
	v_mov_b32_e32 v82, v0
	s_mov_b32 s2, 0
.LBB42_445:                             ; =>This Inner Loop Header: Depth=1
	scratch_load_b32 v83, v81, off
	ds_load_b32 v84, v80
	v_dual_add_nc_u32 v82, 1, v82 :: v_dual_add_nc_u32 v80, 4, v80
	s_wait_xcnt 0x0
	v_add_nc_u32_e32 v81, 4, v81
	s_delay_alu instid0(VALU_DEP_2)
	v_cmp_lt_u32_e32 vcc_lo, 2, v82
	s_or_b32 s2, vcc_lo, s2
	s_wait_loadcnt_dscnt 0x0
	v_fmac_f32_e32 v79, v83, v84
	s_and_not1_b32 exec_lo, exec_lo, s2
	s_cbranch_execnz .LBB42_445
; %bb.446:
	s_or_b32 exec_lo, exec_lo, s2
.LBB42_447:
	s_delay_alu instid0(SALU_CYCLE_1)
	s_or_b32 exec_lo, exec_lo, s1
	v_mov_b32_e32 v80, 0
	ds_load_b32 v80, v80 offset:16
	s_wait_dscnt 0x0
	v_mul_f32_e32 v79, v79, v80
	scratch_store_b32 off, v79, off offset:16
.LBB42_448:
	s_wait_xcnt 0x0
	s_or_b32 exec_lo, exec_lo, s0
	scratch_load_b32 v79, off, off offset:20
	s_mov_b32 s0, exec_lo
	s_wait_loadcnt 0x0
	ds_store_b32 v1, v79
	s_wait_storecnt_dscnt 0x0
	s_barrier_signal -1
	s_barrier_wait -1
	s_wait_xcnt 0x0
	v_cmpx_gt_u32_e32 5, v0
	s_cbranch_execz .LBB42_458
; %bb.449:
	v_cmp_ne_u32_e32 vcc_lo, 1, v78
	s_cbranch_vccnz .LBB42_451
; %bb.450:
	scratch_load_b32 v79, v7, off
	ds_load_b32 v80, v1
	s_wait_loadcnt_dscnt 0x0
	v_mul_f32_e32 v79, v79, v80
	s_cbranch_execz .LBB42_452
	s_branch .LBB42_453
.LBB42_451:
                                        ; implicit-def: $vgpr79
.LBB42_452:
	ds_load_b32 v79, v1
.LBB42_453:
	s_mov_b32 s1, exec_lo
	v_cmpx_ne_u32_e32 4, v0
	s_cbranch_execz .LBB42_457
; %bb.454:
	v_add_nc_u32_e32 v80, 0xb4, v6
	v_add3_u32 v81, 0, v6, 4
	v_mov_b32_e32 v82, v0
	s_mov_b32 s2, 0
.LBB42_455:                             ; =>This Inner Loop Header: Depth=1
	scratch_load_b32 v83, v81, off
	ds_load_b32 v84, v80
	v_dual_add_nc_u32 v82, 1, v82 :: v_dual_add_nc_u32 v80, 4, v80
	s_wait_xcnt 0x0
	v_add_nc_u32_e32 v81, 4, v81
	s_delay_alu instid0(VALU_DEP_2)
	v_cmp_lt_u32_e32 vcc_lo, 3, v82
	s_or_b32 s2, vcc_lo, s2
	s_wait_loadcnt_dscnt 0x0
	v_fmac_f32_e32 v79, v83, v84
	s_and_not1_b32 exec_lo, exec_lo, s2
	s_cbranch_execnz .LBB42_455
; %bb.456:
	s_or_b32 exec_lo, exec_lo, s2
.LBB42_457:
	s_delay_alu instid0(SALU_CYCLE_1)
	s_or_b32 exec_lo, exec_lo, s1
	v_mov_b32_e32 v80, 0
	ds_load_b32 v80, v80 offset:20
	s_wait_dscnt 0x0
	v_mul_f32_e32 v79, v79, v80
	scratch_store_b32 off, v79, off offset:20
.LBB42_458:
	;; [unrolled: 59-line block ×37, first 2 shown]
	s_wait_xcnt 0x0
	s_or_b32 exec_lo, exec_lo, s0
	scratch_load_b32 v79, off, off offset:164
	v_cmp_gt_u32_e64 s0, 41, v0
	s_wait_loadcnt 0x0
	ds_store_b32 v1, v79
	s_wait_storecnt_dscnt 0x0
	s_barrier_signal -1
	s_barrier_wait -1
	s_wait_xcnt 0x0
	s_and_saveexec_b32 s1, s0
	s_cbranch_execz .LBB42_818
; %bb.809:
	v_cmp_ne_u32_e32 vcc_lo, 1, v78
	s_cbranch_vccnz .LBB42_811
; %bb.810:
	scratch_load_b32 v79, v7, off
	ds_load_b32 v80, v1
	s_wait_loadcnt_dscnt 0x0
	v_mul_f32_e32 v79, v79, v80
	s_cbranch_execz .LBB42_812
	s_branch .LBB42_813
.LBB42_811:
                                        ; implicit-def: $vgpr79
.LBB42_812:
	ds_load_b32 v79, v1
.LBB42_813:
	s_mov_b32 s2, exec_lo
	v_cmpx_ne_u32_e32 40, v0
	s_cbranch_execz .LBB42_817
; %bb.814:
	v_add_nc_u32_e32 v80, 0xb4, v6
	v_add3_u32 v81, 0, v6, 4
	v_mov_b32_e32 v82, v0
	s_mov_b32 s3, 0
.LBB42_815:                             ; =>This Inner Loop Header: Depth=1
	scratch_load_b32 v83, v81, off
	ds_load_b32 v84, v80
	v_dual_add_nc_u32 v82, 1, v82 :: v_dual_add_nc_u32 v80, 4, v80
	s_wait_xcnt 0x0
	v_add_nc_u32_e32 v81, 4, v81
	s_delay_alu instid0(VALU_DEP_2)
	v_cmp_lt_u32_e32 vcc_lo, 39, v82
	s_or_b32 s3, vcc_lo, s3
	s_wait_loadcnt_dscnt 0x0
	v_fmac_f32_e32 v79, v83, v84
	s_and_not1_b32 exec_lo, exec_lo, s3
	s_cbranch_execnz .LBB42_815
; %bb.816:
	s_or_b32 exec_lo, exec_lo, s3
.LBB42_817:
	s_delay_alu instid0(SALU_CYCLE_1)
	s_or_b32 exec_lo, exec_lo, s2
	v_mov_b32_e32 v80, 0
	ds_load_b32 v80, v80 offset:164
	s_wait_dscnt 0x0
	v_mul_f32_e32 v79, v79, v80
	scratch_store_b32 off, v79, off offset:164
.LBB42_818:
	s_wait_xcnt 0x0
	s_or_b32 exec_lo, exec_lo, s1
	scratch_load_b32 v79, off, off offset:168
	s_mov_b32 s1, exec_lo
	s_wait_loadcnt 0x0
	ds_store_b32 v1, v79
	s_wait_storecnt_dscnt 0x0
	s_barrier_signal -1
	s_barrier_wait -1
	s_wait_xcnt 0x0
	v_cmpx_ne_u32_e32 42, v0
	s_cbranch_execz .LBB42_828
; %bb.819:
	v_cmp_ne_u32_e32 vcc_lo, 1, v78
	s_cbranch_vccnz .LBB42_821
; %bb.820:
	scratch_load_b32 v7, v7, off
	ds_load_b32 v78, v1
	s_wait_loadcnt_dscnt 0x0
	v_mul_f32_e32 v7, v7, v78
	s_cbranch_execz .LBB42_822
	s_branch .LBB42_823
.LBB42_821:
                                        ; implicit-def: $vgpr7
.LBB42_822:
	ds_load_b32 v7, v1
.LBB42_823:
	s_and_saveexec_b32 s2, s0
	s_cbranch_execz .LBB42_827
; %bb.824:
	v_add_nc_u32_e32 v1, 0xb4, v6
	v_add3_u32 v6, 0, v6, 4
	s_mov_b32 s0, 0
.LBB42_825:                             ; =>This Inner Loop Header: Depth=1
	scratch_load_b32 v78, v6, off
	ds_load_b32 v79, v1
	v_dual_add_nc_u32 v0, 1, v0 :: v_dual_add_nc_u32 v1, 4, v1
	s_wait_xcnt 0x0
	v_add_nc_u32_e32 v6, 4, v6
	s_delay_alu instid0(VALU_DEP_2)
	v_cmp_lt_u32_e32 vcc_lo, 40, v0
	s_or_b32 s0, vcc_lo, s0
	s_wait_loadcnt_dscnt 0x0
	v_fmac_f32_e32 v7, v78, v79
	s_and_not1_b32 exec_lo, exec_lo, s0
	s_cbranch_execnz .LBB42_825
; %bb.826:
	s_or_b32 exec_lo, exec_lo, s0
.LBB42_827:
	s_delay_alu instid0(SALU_CYCLE_1)
	s_or_b32 exec_lo, exec_lo, s2
	v_mov_b32_e32 v0, 0
	ds_load_b32 v0, v0 offset:168
	s_wait_dscnt 0x0
	v_mul_f32_e32 v0, v7, v0
	scratch_store_b32 off, v0, off offset:168
.LBB42_828:
	s_wait_xcnt 0x0
	s_or_b32 exec_lo, exec_lo, s1
.LBB42_829:
	s_clause 0x4
	scratch_load_b128 v[78:81], off, off
	scratch_load_b128 v[82:85], off, off offset:16
	scratch_load_b128 v[86:89], off, off offset:32
	;; [unrolled: 1-line block ×4, first 2 shown]
	s_wait_loadcnt 0x4
	global_store_b32 v[2:3], v78, off
	scratch_load_b128 v[0:3], off, off offset:80
	s_clause 0x1
	global_store_b32 v[4:5], v79, off
	global_store_b32 v[100:101], v80, off
	scratch_load_b128 v[4:7], off, off offset:96
	global_store_b32 v[98:99], v81, off
	scratch_load_b128 v[78:81], off, off offset:112
	s_wait_loadcnt 0x6
	global_store_b32 v[96:97], v82, off
	scratch_load_b128 v[96:99], off, off offset:128
	s_clause 0x1
	global_store_b32 v[92:93], v83, off
	global_store_b32 v[94:95], v84, off
	s_clause 0x1
	scratch_load_b128 v[92:95], off, off offset:144
	scratch_load_b96 v[82:84], off, off offset:160
	global_store_b32 v[90:91], v85, off
	s_wait_loadcnt 0x8
	s_clause 0x3
	global_store_b32 v[8:9], v86, off
	global_store_b32 v[10:11], v87, off
	global_store_b32 v[12:13], v88, off
	global_store_b32 v[14:15], v89, off
	s_wait_loadcnt 0x7
	s_clause 0x3
	global_store_b32 v[16:17], v102, off
	global_store_b32 v[18:19], v103, off
	global_store_b32 v[20:21], v104, off
	;; [unrolled: 6-line block ×9, first 2 shown]
.LBB42_830:
	s_sendmsg sendmsg(MSG_DEALLOC_VGPRS)
	s_endpgm
	.section	.rodata,"a",@progbits
	.p2align	6, 0x0
	.amdhsa_kernel _ZN9rocsolver6v33100L18trti2_kernel_smallILi43EfPfEEv13rocblas_fill_17rocblas_diagonal_T1_iil
		.amdhsa_group_segment_fixed_size 348
		.amdhsa_private_segment_fixed_size 176
		.amdhsa_kernarg_size 32
		.amdhsa_user_sgpr_count 2
		.amdhsa_user_sgpr_dispatch_ptr 0
		.amdhsa_user_sgpr_queue_ptr 0
		.amdhsa_user_sgpr_kernarg_segment_ptr 1
		.amdhsa_user_sgpr_dispatch_id 0
		.amdhsa_user_sgpr_kernarg_preload_length 0
		.amdhsa_user_sgpr_kernarg_preload_offset 0
		.amdhsa_user_sgpr_private_segment_size 0
		.amdhsa_wavefront_size32 1
		.amdhsa_uses_dynamic_stack 0
		.amdhsa_enable_private_segment 1
		.amdhsa_system_sgpr_workgroup_id_x 1
		.amdhsa_system_sgpr_workgroup_id_y 0
		.amdhsa_system_sgpr_workgroup_id_z 0
		.amdhsa_system_sgpr_workgroup_info 0
		.amdhsa_system_vgpr_workitem_id 0
		.amdhsa_next_free_vgpr 111
		.amdhsa_next_free_sgpr 18
		.amdhsa_named_barrier_count 0
		.amdhsa_reserve_vcc 1
		.amdhsa_float_round_mode_32 0
		.amdhsa_float_round_mode_16_64 0
		.amdhsa_float_denorm_mode_32 3
		.amdhsa_float_denorm_mode_16_64 3
		.amdhsa_fp16_overflow 0
		.amdhsa_memory_ordered 1
		.amdhsa_forward_progress 1
		.amdhsa_inst_pref_size 186
		.amdhsa_round_robin_scheduling 0
		.amdhsa_exception_fp_ieee_invalid_op 0
		.amdhsa_exception_fp_denorm_src 0
		.amdhsa_exception_fp_ieee_div_zero 0
		.amdhsa_exception_fp_ieee_overflow 0
		.amdhsa_exception_fp_ieee_underflow 0
		.amdhsa_exception_fp_ieee_inexact 0
		.amdhsa_exception_int_div_zero 0
	.end_amdhsa_kernel
	.section	.text._ZN9rocsolver6v33100L18trti2_kernel_smallILi43EfPfEEv13rocblas_fill_17rocblas_diagonal_T1_iil,"axG",@progbits,_ZN9rocsolver6v33100L18trti2_kernel_smallILi43EfPfEEv13rocblas_fill_17rocblas_diagonal_T1_iil,comdat
.Lfunc_end42:
	.size	_ZN9rocsolver6v33100L18trti2_kernel_smallILi43EfPfEEv13rocblas_fill_17rocblas_diagonal_T1_iil, .Lfunc_end42-_ZN9rocsolver6v33100L18trti2_kernel_smallILi43EfPfEEv13rocblas_fill_17rocblas_diagonal_T1_iil
                                        ; -- End function
	.set _ZN9rocsolver6v33100L18trti2_kernel_smallILi43EfPfEEv13rocblas_fill_17rocblas_diagonal_T1_iil.num_vgpr, 111
	.set _ZN9rocsolver6v33100L18trti2_kernel_smallILi43EfPfEEv13rocblas_fill_17rocblas_diagonal_T1_iil.num_agpr, 0
	.set _ZN9rocsolver6v33100L18trti2_kernel_smallILi43EfPfEEv13rocblas_fill_17rocblas_diagonal_T1_iil.numbered_sgpr, 18
	.set _ZN9rocsolver6v33100L18trti2_kernel_smallILi43EfPfEEv13rocblas_fill_17rocblas_diagonal_T1_iil.num_named_barrier, 0
	.set _ZN9rocsolver6v33100L18trti2_kernel_smallILi43EfPfEEv13rocblas_fill_17rocblas_diagonal_T1_iil.private_seg_size, 176
	.set _ZN9rocsolver6v33100L18trti2_kernel_smallILi43EfPfEEv13rocblas_fill_17rocblas_diagonal_T1_iil.uses_vcc, 1
	.set _ZN9rocsolver6v33100L18trti2_kernel_smallILi43EfPfEEv13rocblas_fill_17rocblas_diagonal_T1_iil.uses_flat_scratch, 1
	.set _ZN9rocsolver6v33100L18trti2_kernel_smallILi43EfPfEEv13rocblas_fill_17rocblas_diagonal_T1_iil.has_dyn_sized_stack, 0
	.set _ZN9rocsolver6v33100L18trti2_kernel_smallILi43EfPfEEv13rocblas_fill_17rocblas_diagonal_T1_iil.has_recursion, 0
	.set _ZN9rocsolver6v33100L18trti2_kernel_smallILi43EfPfEEv13rocblas_fill_17rocblas_diagonal_T1_iil.has_indirect_call, 0
	.section	.AMDGPU.csdata,"",@progbits
; Kernel info:
; codeLenInByte = 23776
; TotalNumSgprs: 20
; NumVgprs: 111
; ScratchSize: 176
; MemoryBound: 0
; FloatMode: 240
; IeeeMode: 1
; LDSByteSize: 348 bytes/workgroup (compile time only)
; SGPRBlocks: 0
; VGPRBlocks: 6
; NumSGPRsForWavesPerEU: 20
; NumVGPRsForWavesPerEU: 111
; NamedBarCnt: 0
; Occupancy: 9
; WaveLimiterHint : 0
; COMPUTE_PGM_RSRC2:SCRATCH_EN: 1
; COMPUTE_PGM_RSRC2:USER_SGPR: 2
; COMPUTE_PGM_RSRC2:TRAP_HANDLER: 0
; COMPUTE_PGM_RSRC2:TGID_X_EN: 1
; COMPUTE_PGM_RSRC2:TGID_Y_EN: 0
; COMPUTE_PGM_RSRC2:TGID_Z_EN: 0
; COMPUTE_PGM_RSRC2:TIDIG_COMP_CNT: 0
	.section	.text._ZN9rocsolver6v33100L18trti2_kernel_smallILi44EfPfEEv13rocblas_fill_17rocblas_diagonal_T1_iil,"axG",@progbits,_ZN9rocsolver6v33100L18trti2_kernel_smallILi44EfPfEEv13rocblas_fill_17rocblas_diagonal_T1_iil,comdat
	.globl	_ZN9rocsolver6v33100L18trti2_kernel_smallILi44EfPfEEv13rocblas_fill_17rocblas_diagonal_T1_iil ; -- Begin function _ZN9rocsolver6v33100L18trti2_kernel_smallILi44EfPfEEv13rocblas_fill_17rocblas_diagonal_T1_iil
	.p2align	8
	.type	_ZN9rocsolver6v33100L18trti2_kernel_smallILi44EfPfEEv13rocblas_fill_17rocblas_diagonal_T1_iil,@function
_ZN9rocsolver6v33100L18trti2_kernel_smallILi44EfPfEEv13rocblas_fill_17rocblas_diagonal_T1_iil: ; @_ZN9rocsolver6v33100L18trti2_kernel_smallILi44EfPfEEv13rocblas_fill_17rocblas_diagonal_T1_iil
; %bb.0:
	s_mov_b32 s2, exec_lo
	v_cmpx_gt_u32_e32 44, v0
	s_cbranch_execz .LBB43_850
; %bb.1:
	s_load_b256 s[4:11], s[0:1], 0x0
	s_wait_xcnt 0x0
	s_bfe_u32 s0, ttmp6, 0x4000c
	s_and_b32 s1, ttmp6, 15
	s_add_co_i32 s0, s0, 1
	s_getreg_b32 s2, hwreg(HW_REG_IB_STS2, 6, 4)
	s_mul_i32 s0, ttmp9, s0
	v_mov_b32_e32 v7, 0
	s_add_co_i32 s0, s1, s0
	s_wait_kmcnt 0x0
	v_add3_u32 v8, s9, s9, v0
	s_ashr_i32 s1, s8, 31
	s_cmp_eq_u32 s2, 0
	s_cselect_b32 s2, ttmp9, s0
	s_delay_alu instid0(VALU_DEP_1)
	v_add_nc_u32_e32 v10, s9, v8
	s_ashr_i32 s3, s2, 31
	s_mov_b32 s0, s8
	s_mul_u64 s[2:3], s[10:11], s[2:3]
	s_lshl_b64 s[0:1], s[0:1], 2
	v_add_nc_u32_e32 v12, s9, v10
	s_lshl_b64 s[2:3], s[2:3], 2
	v_ashrrev_i32_e32 v9, 31, v8
	s_add_nc_u64 s[2:3], s[6:7], s[2:3]
	s_delay_alu instid0(VALU_DEP_2)
	v_add_nc_u32_e32 v14, s9, v12
	s_add_nc_u64 s[6:7], s[2:3], s[0:1]
	s_mov_b32 s0, s9
	s_ashr_i32 s1, s9, 31
	s_cmp_lg_u32 s5, 0x84
	v_add_nc_u32_e32 v16, s9, v14
	v_ashrrev_i32_e32 v11, 31, v10
	s_cselect_b32 s3, -1, 0
	s_cmp_eq_u32 s5, 0x84
	s_delay_alu instid0(VALU_DEP_2) | instskip(NEXT) | instid1(VALU_DEP_1)
	v_add_nc_u32_e32 v18, s9, v16
	v_dual_ashrrev_i32 v13, 31, v12 :: v_dual_ashrrev_i32 v19, 31, v18
	v_add_nc_u32_e32 v20, s9, v18
	s_delay_alu instid0(VALU_DEP_1) | instskip(NEXT) | instid1(VALU_DEP_1)
	v_dual_ashrrev_i32 v15, 31, v14 :: v_dual_add_nc_u32 v22, s9, v20
	v_add_nc_u32_e32 v24, s9, v22
	s_delay_alu instid0(VALU_DEP_1) | instskip(NEXT) | instid1(VALU_DEP_1)
	v_add_nc_u32_e32 v26, s9, v24
	v_dual_add_nc_u32 v28, s9, v26 :: v_dual_ashrrev_i32 v17, 31, v16
	s_delay_alu instid0(VALU_DEP_1) | instskip(NEXT) | instid1(VALU_DEP_1)
	v_dual_ashrrev_i32 v23, 31, v22 :: v_dual_add_nc_u32 v30, s9, v28
	v_dual_ashrrev_i32 v25, 31, v24 :: v_dual_ashrrev_i32 v31, 31, v30
	v_dual_add_nc_u32 v32, s9, v30 :: v_dual_ashrrev_i32 v21, 31, v20
	s_delay_alu instid0(VALU_DEP_1) | instskip(SKIP_1) | instid1(VALU_DEP_2)
	v_dual_ashrrev_i32 v27, 31, v26 :: v_dual_add_nc_u32 v34, s9, v32
	v_lshlrev_b32_e32 v6, 2, v0
	v_dual_ashrrev_i32 v29, 31, v28 :: v_dual_ashrrev_i32 v35, 31, v34
	v_add_nc_u32_e32 v36, s9, v34
	s_delay_alu instid0(VALU_DEP_3) | instskip(NEXT) | instid1(VALU_DEP_2)
	v_add_nc_u64_e32 v[2:3], s[6:7], v[6:7]
	v_add_nc_u32_e32 v38, s9, v36
	s_delay_alu instid0(VALU_DEP_2)
	v_lshl_add_u64 v[4:5], s[0:1], 2, v[2:3]
	s_clause 0x3
	global_load_b32 v76, v0, s[6:7] scale_offset
	global_load_b32 v77, v[4:5], off
	global_load_b32 v78, v8, s[6:7] scale_offset
	global_load_b32 v79, v10, s[6:7] scale_offset
	v_add_nc_u32_e32 v40, s9, v38
	s_clause 0xb
	global_load_b32 v80, v12, s[6:7] scale_offset
	global_load_b32 v81, v14, s[6:7] scale_offset
	;; [unrolled: 1-line block ×12, first 2 shown]
	v_add_nc_u32_e32 v42, s9, v40
	s_delay_alu instid0(VALU_DEP_1) | instskip(NEXT) | instid1(VALU_DEP_1)
	v_dual_add_nc_u32 v44, s9, v42 :: v_dual_ashrrev_i32 v33, 31, v32
	v_dual_ashrrev_i32 v39, 31, v38 :: v_dual_add_nc_u32 v46, s9, v44
	s_delay_alu instid0(VALU_DEP_1) | instskip(SKIP_1) | instid1(VALU_DEP_1)
	v_dual_ashrrev_i32 v41, 31, v40 :: v_dual_ashrrev_i32 v47, 31, v46
	v_dual_add_nc_u32 v48, s9, v46 :: v_dual_ashrrev_i32 v37, 31, v36
	v_dual_ashrrev_i32 v43, 31, v42 :: v_dual_add_nc_u32 v50, s9, v48
	s_delay_alu instid0(VALU_DEP_1) | instskip(NEXT) | instid1(VALU_DEP_1)
	v_add_nc_u32_e32 v52, s9, v50
	v_add_nc_u32_e32 v54, s9, v52
	s_delay_alu instid0(VALU_DEP_1)
	v_add_nc_u32_e32 v56, s9, v54
	s_clause 0x7
	global_load_b32 v92, v36, s[6:7] scale_offset
	global_load_b32 v93, v38, s[6:7] scale_offset
	;; [unrolled: 1-line block ×8, first 2 shown]
	v_dual_ashrrev_i32 v45, 31, v44 :: v_dual_ashrrev_i32 v51, 31, v50
	v_add_nc_u32_e32 v58, s9, v56
	s_delay_alu instid0(VALU_DEP_1)
	v_dual_ashrrev_i32 v53, 31, v52 :: v_dual_ashrrev_i32 v59, 31, v58
	v_add_nc_u32_e32 v60, s9, v58
	s_clause 0x3
	global_load_b32 v100, v52, s[6:7] scale_offset
	global_load_b32 v101, v54, s[6:7] scale_offset
	global_load_b32 v102, v56, s[6:7] scale_offset
	global_load_b32 v103, v58, s[6:7] scale_offset
	v_dual_ashrrev_i32 v49, 31, v48 :: v_dual_ashrrev_i32 v55, 31, v54
	v_add_nc_u32_e32 v62, s9, v60
	s_delay_alu instid0(VALU_DEP_1) | instskip(NEXT) | instid1(VALU_DEP_1)
	v_add_nc_u32_e32 v64, s9, v62
	v_add_nc_u32_e32 v66, s9, v64
	s_delay_alu instid0(VALU_DEP_1) | instskip(NEXT) | instid1(VALU_DEP_1)
	v_dual_add_nc_u32 v68, s9, v66 :: v_dual_ashrrev_i32 v57, 31, v56
	v_dual_ashrrev_i32 v63, 31, v62 :: v_dual_add_nc_u32 v70, s9, v68
	s_delay_alu instid0(VALU_DEP_1)
	v_dual_ashrrev_i32 v65, 31, v64 :: v_dual_ashrrev_i32 v71, 31, v70
	v_add_nc_u32_e32 v72, s9, v70
	s_clause 0x3
	global_load_b32 v104, v60, s[6:7] scale_offset
	global_load_b32 v105, v62, s[6:7] scale_offset
	;; [unrolled: 1-line block ×4, first 2 shown]
	v_dual_ashrrev_i32 v61, 31, v60 :: v_dual_ashrrev_i32 v67, 31, v66
	v_add_nc_u32_e32 v74, s9, v72
	s_wait_loadcnt 0x14
	s_clause 0x1
	scratch_store_b128 off, v[84:87], off offset:32
	scratch_store_b128 off, v[76:79], off
	s_wait_xcnt 0x0
	v_add_nc_u32_e32 v76, s9, v74
	scratch_store_b128 off, v[80:83], off offset:16
	s_wait_loadcnt 0x10
	scratch_store_b128 off, v[88:91], off offset:48
	s_wait_loadcnt 0xc
	;; [unrolled: 2-line block ×3, first 2 shown]
	scratch_store_b128 off, v[96:99], off offset:80
	s_wait_xcnt 0x1
	v_dual_add_nc_u32 v78, s9, v76 :: v_dual_mov_b32 v92, -1.0
	s_delay_alu instid0(VALU_DEP_1) | instskip(NEXT) | instid1(VALU_DEP_1)
	v_dual_add_nc_u32 v80, s9, v78 :: v_dual_ashrrev_i32 v69, 31, v68
	v_dual_ashrrev_i32 v75, 31, v74 :: v_dual_add_nc_u32 v82, s9, v80
	s_delay_alu instid0(VALU_DEP_1)
	v_dual_ashrrev_i32 v77, 31, v76 :: v_dual_ashrrev_i32 v83, 31, v82
	v_add_nc_u32_e32 v84, s9, v82
	s_clause 0x7
	global_load_b32 v94, v68, s[6:7] scale_offset
	global_load_b32 v95, v70, s[6:7] scale_offset
	global_load_b32 v96, v72, s[6:7] scale_offset
	global_load_b32 v97, v74, s[6:7] scale_offset
	global_load_b32 v108, v76, s[6:7] scale_offset
	global_load_b32 v109, v78, s[6:7] scale_offset
	global_load_b32 v110, v80, s[6:7] scale_offset
	global_load_b32 v111, v82, s[6:7] scale_offset
	s_wait_loadcnt 0xc
	scratch_store_b128 off, v[100:103], off offset:96
	v_dual_ashrrev_i32 v73, 31, v72 :: v_dual_ashrrev_i32 v79, 31, v78
	v_add_nc_u32_e32 v86, s9, v84
	s_delay_alu instid0(VALU_DEP_1) | instskip(SKIP_1) | instid1(VALU_DEP_1)
	v_dual_ashrrev_i32 v81, 31, v80 :: v_dual_ashrrev_i32 v87, 31, v86
	v_add_nc_u32_e32 v88, s9, v86
	v_add_nc_u32_e32 v90, s9, v88
	s_clause 0x3
	global_load_b32 v98, v84, s[6:7] scale_offset
	global_load_b32 v99, v86, s[6:7] scale_offset
	;; [unrolled: 1-line block ×4, first 2 shown]
	v_ashrrev_i32_e32 v85, 31, v84
	v_dual_ashrrev_i32 v89, 31, v88 :: v_dual_ashrrev_i32 v91, 31, v90
	s_wait_loadcnt 0xc
	scratch_store_b128 off, v[104:107], off offset:112
	s_wait_loadcnt 0x8
	scratch_store_b128 off, v[94:97], off offset:128
	;; [unrolled: 2-line block ×4, first 2 shown]
	s_cbranch_scc1 .LBB43_3
; %bb.2:
	scratch_load_b32 v1, v0, off scale_offset
	s_wait_loadcnt 0x0
	v_div_scale_f32 v7, null, v1, v1, 1.0
	s_delay_alu instid0(VALU_DEP_1) | instskip(SKIP_1) | instid1(TRANS32_DEP_1)
	v_rcp_f32_e32 v92, v7
	v_nop
	v_fma_f32 v93, -v7, v92, 1.0
	s_delay_alu instid0(VALU_DEP_1) | instskip(SKIP_2) | instid1(VALU_DEP_1)
	v_fmac_f32_e32 v92, v93, v92
	v_div_scale_f32 v93, vcc_lo, 1.0, v1, 1.0
	s_wait_xcnt 0x3
	v_mul_f32_e32 v94, v93, v92
	s_delay_alu instid0(VALU_DEP_1) | instskip(NEXT) | instid1(VALU_DEP_1)
	v_fma_f32 v95, -v7, v94, v93
	v_fmac_f32_e32 v94, v95, v92
	s_delay_alu instid0(VALU_DEP_1) | instskip(NEXT) | instid1(VALU_DEP_1)
	v_fma_f32 v7, -v7, v94, v93
	v_div_fmas_f32 v7, v7, v92, v94
	s_delay_alu instid0(VALU_DEP_1) | instskip(NEXT) | instid1(VALU_DEP_1)
	v_div_fixup_f32 v1, v7, v1, 1.0
	v_xor_b32_e32 v92, 0x80000000, v1
	scratch_store_b32 v0, v1, off scale_offset
.LBB43_3:
	s_wait_xcnt 0x0
	v_add_nc_u32_e32 v1, 0xb0, v6
	v_mov_b32_e32 v7, v6
	s_cmp_eq_u32 s4, 0x79
	s_mov_b32 s1, -1
	ds_store_b32 v6, v92
	s_cbranch_scc1 .LBB43_427
; %bb.4:
	scratch_load_b32 v92, off, off offset:168
	v_cmp_eq_u32_e64 s0, 43, v0
	s_movk_i32 s1, 0x50
	s_movk_i32 s10, 0x60
	;; [unrolled: 1-line block ×6, first 2 shown]
	s_wait_loadcnt 0x0
	ds_store_b32 v1, v92
	s_wait_storecnt_dscnt 0x0
	s_barrier_signal -1
	s_barrier_wait -1
	s_wait_xcnt 0x0
	s_and_saveexec_b32 s2, s0
	s_cbranch_execz .LBB43_10
; %bb.5:
	s_and_b32 vcc_lo, exec_lo, s3
	s_cbranch_vccz .LBB43_7
; %bb.6:
	scratch_load_b32 v92, v7, off
	ds_load_b32 v93, v1
	s_wait_loadcnt_dscnt 0x0
	v_mul_f32_e32 v92, v92, v93
	s_cbranch_execz .LBB43_8
	s_branch .LBB43_9
.LBB43_7:
                                        ; implicit-def: $vgpr92
.LBB43_8:
	ds_load_b32 v92, v1
.LBB43_9:
	v_mov_b32_e32 v93, 0
	ds_load_b32 v93, v93 offset:168
	s_wait_dscnt 0x0
	v_mul_f32_e32 v92, v92, v93
	scratch_store_b32 off, v92, off offset:168
.LBB43_10:
	s_wait_xcnt 0x0
	s_or_b32 exec_lo, exec_lo, s2
	scratch_load_b32 v92, off, off offset:164
	s_mov_b32 s9, s1
	v_cmp_lt_u32_e64 s1, 41, v0
	s_mov_b32 s4, 16
	s_mov_b32 s2, 32
	s_mov_b32 s5, 48
	s_mov_b32 s8, 64
	s_wait_loadcnt 0x0
	ds_store_b32 v1, v92
	s_wait_storecnt_dscnt 0x0
	s_barrier_signal -1
	s_barrier_wait -1
	s_wait_xcnt 0x0
	s_and_saveexec_b32 s15, s1
	s_cbranch_execz .LBB43_16
; %bb.11:
	s_and_not1_b32 vcc_lo, exec_lo, s3
	s_cbranch_vccnz .LBB43_13
; %bb.12:
	scratch_load_b32 v92, v7, off
	ds_load_b32 v93, v1
	s_wait_loadcnt_dscnt 0x0
	v_mul_f32_e32 v92, v92, v93
	s_cbranch_execz .LBB43_14
	s_branch .LBB43_15
.LBB43_13:
                                        ; implicit-def: $vgpr92
.LBB43_14:
	ds_load_b32 v92, v1
.LBB43_15:
	scratch_load_b32 v93, off, off offset:168
	v_mov_b32_e32 v94, 0
	ds_load_2addr_b32 v[94:95], v94 offset0:41 offset1:86
	s_wait_loadcnt_dscnt 0x0
	v_fma_f32 v93, v93, v95, v92
	s_delay_alu instid0(VALU_DEP_1) | instskip(NEXT) | instid1(VALU_DEP_1)
	v_cndmask_b32_e64 v92, v92, v93, s0
	v_mul_f32_e32 v92, v92, v94
	scratch_store_b32 off, v92, off offset:164
.LBB43_16:
	s_wait_xcnt 0x0
	s_or_b32 exec_lo, exec_lo, s15
	scratch_load_b32 v92, off, off offset:160
	v_cmp_lt_u32_e64 s0, 40, v0
	s_wait_loadcnt 0x0
	ds_store_b32 v1, v92
	s_wait_storecnt_dscnt 0x0
	s_barrier_signal -1
	s_barrier_wait -1
	s_wait_xcnt 0x0
	s_and_saveexec_b32 s15, s0
	s_cbranch_execz .LBB43_26
; %bb.17:
	s_and_not1_b32 vcc_lo, exec_lo, s3
	s_cbranch_vccnz .LBB43_19
; %bb.18:
	scratch_load_b32 v92, v7, off
	ds_load_b32 v93, v1
	s_wait_loadcnt_dscnt 0x0
	v_mul_f32_e32 v92, v92, v93
	s_cbranch_execz .LBB43_20
	s_branch .LBB43_21
.LBB43_19:
                                        ; implicit-def: $vgpr92
.LBB43_20:
	ds_load_b32 v92, v1
.LBB43_21:
	s_and_saveexec_b32 s16, s1
	s_cbranch_execz .LBB43_25
; %bb.22:
	v_subrev_nc_u32_e32 v93, 41, v0
	s_movk_i32 s1, 0xa4
	s_movk_i32 s18, 0x154
	s_mov_b32 s17, 0
.LBB43_23:                              ; =>This Inner Loop Header: Depth=1
	scratch_load_b32 v94, off, s1
	v_dual_mov_b32 v95, s18 :: v_dual_add_nc_u32 v93, -1, v93
	s_add_co_i32 s18, s18, 4
	s_wait_xcnt 0x0
	s_add_co_i32 s1, s1, 4
	ds_load_b32 v95, v95
	v_cmp_eq_u32_e32 vcc_lo, 0, v93
	s_or_b32 s17, vcc_lo, s17
	s_wait_loadcnt_dscnt 0x0
	v_fmac_f32_e32 v92, v94, v95
	s_and_not1_b32 exec_lo, exec_lo, s17
	s_cbranch_execnz .LBB43_23
; %bb.24:
	s_or_b32 exec_lo, exec_lo, s17
.LBB43_25:
	s_delay_alu instid0(SALU_CYCLE_1)
	s_or_b32 exec_lo, exec_lo, s16
	v_mov_b32_e32 v93, 0
	ds_load_b32 v93, v93 offset:160
	s_wait_dscnt 0x0
	v_mul_f32_e32 v92, v92, v93
	scratch_store_b32 off, v92, off offset:160
.LBB43_26:
	s_wait_xcnt 0x0
	s_or_b32 exec_lo, exec_lo, s15
	scratch_load_b32 v92, off, off offset:156
	v_cmp_lt_u32_e64 s1, 39, v0
	s_wait_loadcnt 0x0
	ds_store_b32 v1, v92
	s_wait_storecnt_dscnt 0x0
	s_barrier_signal -1
	s_barrier_wait -1
	s_wait_xcnt 0x0
	s_and_saveexec_b32 s15, s1
	s_cbranch_execz .LBB43_36
; %bb.27:
	s_and_not1_b32 vcc_lo, exec_lo, s3
	s_cbranch_vccnz .LBB43_29
; %bb.28:
	scratch_load_b32 v92, v7, off
	ds_load_b32 v93, v1
	s_wait_loadcnt_dscnt 0x0
	v_mul_f32_e32 v92, v92, v93
	s_cbranch_execz .LBB43_30
	s_branch .LBB43_31
.LBB43_29:
                                        ; implicit-def: $vgpr92
.LBB43_30:
	ds_load_b32 v92, v1
.LBB43_31:
	s_and_saveexec_b32 s16, s0
	s_cbranch_execz .LBB43_35
; %bb.32:
	v_subrev_nc_u32_e32 v93, 40, v0
	s_movk_i32 s17, 0x150
	s_mov_b32 s0, 0
.LBB43_33:                              ; =>This Inner Loop Header: Depth=1
	scratch_load_b32 v94, off, s14
	v_dual_mov_b32 v95, s17 :: v_dual_add_nc_u32 v93, -1, v93
	s_add_co_i32 s17, s17, 4
	s_wait_xcnt 0x0
	s_add_co_i32 s14, s14, 4
	ds_load_b32 v95, v95
	v_cmp_eq_u32_e32 vcc_lo, 0, v93
	s_or_b32 s0, vcc_lo, s0
	s_wait_loadcnt_dscnt 0x0
	v_fmac_f32_e32 v92, v94, v95
	s_and_not1_b32 exec_lo, exec_lo, s0
	s_cbranch_execnz .LBB43_33
; %bb.34:
	s_or_b32 exec_lo, exec_lo, s0
.LBB43_35:
	s_delay_alu instid0(SALU_CYCLE_1)
	s_or_b32 exec_lo, exec_lo, s16
	v_mov_b32_e32 v93, 0
	ds_load_b32 v93, v93 offset:156
	s_wait_dscnt 0x0
	v_mul_f32_e32 v92, v92, v93
	scratch_store_b32 off, v92, off offset:156
.LBB43_36:
	s_wait_xcnt 0x0
	s_or_b32 exec_lo, exec_lo, s15
	scratch_load_b32 v92, off, off offset:152
	v_cmp_lt_u32_e64 s0, 38, v0
	s_wait_loadcnt 0x0
	ds_store_b32 v1, v92
	s_wait_storecnt_dscnt 0x0
	s_barrier_signal -1
	s_barrier_wait -1
	s_wait_xcnt 0x0
	s_and_saveexec_b32 s14, s0
	s_cbranch_execz .LBB43_46
; %bb.37:
	s_and_not1_b32 vcc_lo, exec_lo, s3
	s_cbranch_vccnz .LBB43_39
; %bb.38:
	scratch_load_b32 v92, v7, off
	ds_load_b32 v93, v1
	s_wait_loadcnt_dscnt 0x0
	v_mul_f32_e32 v92, v92, v93
	s_cbranch_execz .LBB43_40
	s_branch .LBB43_41
.LBB43_39:
                                        ; implicit-def: $vgpr92
.LBB43_40:
	ds_load_b32 v92, v1
.LBB43_41:
	s_and_saveexec_b32 s15, s1
	s_cbranch_execz .LBB43_45
; %bb.42:
	v_subrev_nc_u32_e32 v93, 39, v0
	s_movk_i32 s1, 0x9c
	s_movk_i32 s17, 0x14c
	s_mov_b32 s16, 0
.LBB43_43:                              ; =>This Inner Loop Header: Depth=1
	scratch_load_b32 v94, off, s1
	v_dual_mov_b32 v95, s17 :: v_dual_add_nc_u32 v93, -1, v93
	s_add_co_i32 s17, s17, 4
	s_wait_xcnt 0x0
	s_add_co_i32 s1, s1, 4
	ds_load_b32 v95, v95
	v_cmp_eq_u32_e32 vcc_lo, 0, v93
	s_or_b32 s16, vcc_lo, s16
	s_wait_loadcnt_dscnt 0x0
	v_fmac_f32_e32 v92, v94, v95
	s_and_not1_b32 exec_lo, exec_lo, s16
	s_cbranch_execnz .LBB43_43
; %bb.44:
	s_or_b32 exec_lo, exec_lo, s16
.LBB43_45:
	s_delay_alu instid0(SALU_CYCLE_1)
	s_or_b32 exec_lo, exec_lo, s15
	v_mov_b32_e32 v93, 0
	ds_load_b32 v93, v93 offset:152
	s_wait_dscnt 0x0
	v_mul_f32_e32 v92, v92, v93
	scratch_store_b32 off, v92, off offset:152
.LBB43_46:
	s_wait_xcnt 0x0
	s_or_b32 exec_lo, exec_lo, s14
	scratch_load_b32 v92, off, off offset:148
	v_cmp_lt_u32_e64 s1, 37, v0
	s_wait_loadcnt 0x0
	ds_store_b32 v1, v92
	s_wait_storecnt_dscnt 0x0
	s_barrier_signal -1
	s_barrier_wait -1
	s_wait_xcnt 0x0
	s_and_saveexec_b32 s14, s1
	s_cbranch_execz .LBB43_56
; %bb.47:
	s_and_not1_b32 vcc_lo, exec_lo, s3
	s_cbranch_vccnz .LBB43_49
; %bb.48:
	scratch_load_b32 v92, v7, off
	ds_load_b32 v93, v1
	s_wait_loadcnt_dscnt 0x0
	v_mul_f32_e32 v92, v92, v93
	s_cbranch_execz .LBB43_50
	s_branch .LBB43_51
.LBB43_49:
                                        ; implicit-def: $vgpr92
.LBB43_50:
	ds_load_b32 v92, v1
.LBB43_51:
	s_and_saveexec_b32 s15, s0
	s_cbranch_execz .LBB43_55
; %bb.52:
	v_subrev_nc_u32_e32 v93, 38, v0
	s_movk_i32 s0, 0x98
	s_movk_i32 s17, 0x148
	s_mov_b32 s16, 0
.LBB43_53:                              ; =>This Inner Loop Header: Depth=1
	scratch_load_b32 v94, off, s0
	v_dual_mov_b32 v95, s17 :: v_dual_add_nc_u32 v93, -1, v93
	s_add_co_i32 s17, s17, 4
	s_wait_xcnt 0x0
	s_add_co_i32 s0, s0, 4
	ds_load_b32 v95, v95
	v_cmp_eq_u32_e32 vcc_lo, 0, v93
	s_or_b32 s16, vcc_lo, s16
	s_wait_loadcnt_dscnt 0x0
	v_fmac_f32_e32 v92, v94, v95
	s_and_not1_b32 exec_lo, exec_lo, s16
	s_cbranch_execnz .LBB43_53
; %bb.54:
	s_or_b32 exec_lo, exec_lo, s16
.LBB43_55:
	s_delay_alu instid0(SALU_CYCLE_1)
	s_or_b32 exec_lo, exec_lo, s15
	v_mov_b32_e32 v93, 0
	ds_load_b32 v93, v93 offset:148
	s_wait_dscnt 0x0
	v_mul_f32_e32 v92, v92, v93
	scratch_store_b32 off, v92, off offset:148
.LBB43_56:
	;; [unrolled: 58-line block ×3, first 2 shown]
	s_wait_xcnt 0x0
	s_or_b32 exec_lo, exec_lo, s14
	scratch_load_b32 v92, off, off offset:140
	v_cmp_lt_u32_e64 s1, 35, v0
	s_wait_loadcnt 0x0
	ds_store_b32 v1, v92
	s_wait_storecnt_dscnt 0x0
	s_barrier_signal -1
	s_barrier_wait -1
	s_wait_xcnt 0x0
	s_and_saveexec_b32 s14, s1
	s_cbranch_execz .LBB43_76
; %bb.67:
	s_and_not1_b32 vcc_lo, exec_lo, s3
	s_cbranch_vccnz .LBB43_69
; %bb.68:
	scratch_load_b32 v92, v7, off
	ds_load_b32 v93, v1
	s_wait_loadcnt_dscnt 0x0
	v_mul_f32_e32 v92, v92, v93
	s_cbranch_execz .LBB43_70
	s_branch .LBB43_71
.LBB43_69:
                                        ; implicit-def: $vgpr92
.LBB43_70:
	ds_load_b32 v92, v1
.LBB43_71:
	s_and_saveexec_b32 s15, s0
	s_cbranch_execz .LBB43_75
; %bb.72:
	v_subrev_nc_u32_e32 v93, 36, v0
	s_movk_i32 s16, 0x140
	s_mov_b32 s0, 0
.LBB43_73:                              ; =>This Inner Loop Header: Depth=1
	scratch_load_b32 v94, off, s13
	v_dual_mov_b32 v95, s16 :: v_dual_add_nc_u32 v93, -1, v93
	s_add_co_i32 s16, s16, 4
	s_wait_xcnt 0x0
	s_add_co_i32 s13, s13, 4
	ds_load_b32 v95, v95
	v_cmp_eq_u32_e32 vcc_lo, 0, v93
	s_or_b32 s0, vcc_lo, s0
	s_wait_loadcnt_dscnt 0x0
	v_fmac_f32_e32 v92, v94, v95
	s_and_not1_b32 exec_lo, exec_lo, s0
	s_cbranch_execnz .LBB43_73
; %bb.74:
	s_or_b32 exec_lo, exec_lo, s0
.LBB43_75:
	s_delay_alu instid0(SALU_CYCLE_1)
	s_or_b32 exec_lo, exec_lo, s15
	v_mov_b32_e32 v93, 0
	ds_load_b32 v93, v93 offset:140
	s_wait_dscnt 0x0
	v_mul_f32_e32 v92, v92, v93
	scratch_store_b32 off, v92, off offset:140
.LBB43_76:
	s_wait_xcnt 0x0
	s_or_b32 exec_lo, exec_lo, s14
	scratch_load_b32 v92, off, off offset:136
	v_cmp_lt_u32_e64 s0, 34, v0
	s_wait_loadcnt 0x0
	ds_store_b32 v1, v92
	s_wait_storecnt_dscnt 0x0
	s_barrier_signal -1
	s_barrier_wait -1
	s_wait_xcnt 0x0
	s_and_saveexec_b32 s13, s0
	s_cbranch_execz .LBB43_86
; %bb.77:
	s_and_not1_b32 vcc_lo, exec_lo, s3
	s_cbranch_vccnz .LBB43_79
; %bb.78:
	scratch_load_b32 v92, v7, off
	ds_load_b32 v93, v1
	s_wait_loadcnt_dscnt 0x0
	v_mul_f32_e32 v92, v92, v93
	s_cbranch_execz .LBB43_80
	s_branch .LBB43_81
.LBB43_79:
                                        ; implicit-def: $vgpr92
.LBB43_80:
	ds_load_b32 v92, v1
.LBB43_81:
	s_and_saveexec_b32 s14, s1
	s_cbranch_execz .LBB43_85
; %bb.82:
	v_subrev_nc_u32_e32 v93, 35, v0
	s_movk_i32 s1, 0x8c
	s_movk_i32 s16, 0x13c
	s_mov_b32 s15, 0
.LBB43_83:                              ; =>This Inner Loop Header: Depth=1
	scratch_load_b32 v94, off, s1
	v_dual_mov_b32 v95, s16 :: v_dual_add_nc_u32 v93, -1, v93
	s_add_co_i32 s16, s16, 4
	s_wait_xcnt 0x0
	s_add_co_i32 s1, s1, 4
	ds_load_b32 v95, v95
	v_cmp_eq_u32_e32 vcc_lo, 0, v93
	s_or_b32 s15, vcc_lo, s15
	s_wait_loadcnt_dscnt 0x0
	v_fmac_f32_e32 v92, v94, v95
	s_and_not1_b32 exec_lo, exec_lo, s15
	s_cbranch_execnz .LBB43_83
; %bb.84:
	s_or_b32 exec_lo, exec_lo, s15
.LBB43_85:
	s_delay_alu instid0(SALU_CYCLE_1)
	s_or_b32 exec_lo, exec_lo, s14
	v_mov_b32_e32 v93, 0
	ds_load_b32 v93, v93 offset:136
	s_wait_dscnt 0x0
	v_mul_f32_e32 v92, v92, v93
	scratch_store_b32 off, v92, off offset:136
.LBB43_86:
	s_wait_xcnt 0x0
	s_or_b32 exec_lo, exec_lo, s13
	scratch_load_b32 v92, off, off offset:132
	v_cmp_lt_u32_e64 s1, 33, v0
	s_wait_loadcnt 0x0
	ds_store_b32 v1, v92
	s_wait_storecnt_dscnt 0x0
	s_barrier_signal -1
	s_barrier_wait -1
	s_wait_xcnt 0x0
	s_and_saveexec_b32 s13, s1
	s_cbranch_execz .LBB43_96
; %bb.87:
	s_and_not1_b32 vcc_lo, exec_lo, s3
	s_cbranch_vccnz .LBB43_89
; %bb.88:
	scratch_load_b32 v92, v7, off
	ds_load_b32 v93, v1
	s_wait_loadcnt_dscnt 0x0
	v_mul_f32_e32 v92, v92, v93
	s_cbranch_execz .LBB43_90
	s_branch .LBB43_91
.LBB43_89:
                                        ; implicit-def: $vgpr92
.LBB43_90:
	ds_load_b32 v92, v1
.LBB43_91:
	s_and_saveexec_b32 s14, s0
	s_cbranch_execz .LBB43_95
; %bb.92:
	v_subrev_nc_u32_e32 v93, 34, v0
	s_movk_i32 s0, 0x88
	s_movk_i32 s16, 0x138
	s_mov_b32 s15, 0
.LBB43_93:                              ; =>This Inner Loop Header: Depth=1
	scratch_load_b32 v94, off, s0
	v_dual_mov_b32 v95, s16 :: v_dual_add_nc_u32 v93, -1, v93
	s_add_co_i32 s16, s16, 4
	s_wait_xcnt 0x0
	s_add_co_i32 s0, s0, 4
	ds_load_b32 v95, v95
	v_cmp_eq_u32_e32 vcc_lo, 0, v93
	s_or_b32 s15, vcc_lo, s15
	s_wait_loadcnt_dscnt 0x0
	v_fmac_f32_e32 v92, v94, v95
	s_and_not1_b32 exec_lo, exec_lo, s15
	s_cbranch_execnz .LBB43_93
; %bb.94:
	s_or_b32 exec_lo, exec_lo, s15
.LBB43_95:
	s_delay_alu instid0(SALU_CYCLE_1)
	s_or_b32 exec_lo, exec_lo, s14
	v_mov_b32_e32 v93, 0
	ds_load_b32 v93, v93 offset:132
	s_wait_dscnt 0x0
	v_mul_f32_e32 v92, v92, v93
	scratch_store_b32 off, v92, off offset:132
.LBB43_96:
	s_wait_xcnt 0x0
	s_or_b32 exec_lo, exec_lo, s13
	scratch_load_b32 v92, off, off offset:128
	v_cmp_lt_u32_e64 s0, 32, v0
	s_wait_loadcnt 0x0
	ds_store_b32 v1, v92
	s_wait_storecnt_dscnt 0x0
	s_barrier_signal -1
	s_barrier_wait -1
	s_wait_xcnt 0x0
	s_and_saveexec_b32 s13, s0
	s_cbranch_execz .LBB43_106
; %bb.97:
	s_and_not1_b32 vcc_lo, exec_lo, s3
	s_cbranch_vccnz .LBB43_99
; %bb.98:
	scratch_load_b32 v92, v7, off
	ds_load_b32 v93, v1
	s_wait_loadcnt_dscnt 0x0
	v_mul_f32_e32 v92, v92, v93
	s_cbranch_execz .LBB43_100
	s_branch .LBB43_101
.LBB43_99:
                                        ; implicit-def: $vgpr92
.LBB43_100:
	ds_load_b32 v92, v1
.LBB43_101:
	s_and_saveexec_b32 s14, s1
	s_cbranch_execz .LBB43_105
; %bb.102:
	v_subrev_nc_u32_e32 v93, 33, v0
	s_movk_i32 s1, 0x84
	s_movk_i32 s16, 0x134
	s_mov_b32 s15, 0
.LBB43_103:                             ; =>This Inner Loop Header: Depth=1
	scratch_load_b32 v94, off, s1
	v_dual_mov_b32 v95, s16 :: v_dual_add_nc_u32 v93, -1, v93
	s_add_co_i32 s16, s16, 4
	s_wait_xcnt 0x0
	s_add_co_i32 s1, s1, 4
	ds_load_b32 v95, v95
	v_cmp_eq_u32_e32 vcc_lo, 0, v93
	s_or_b32 s15, vcc_lo, s15
	s_wait_loadcnt_dscnt 0x0
	v_fmac_f32_e32 v92, v94, v95
	s_and_not1_b32 exec_lo, exec_lo, s15
	s_cbranch_execnz .LBB43_103
; %bb.104:
	s_or_b32 exec_lo, exec_lo, s15
.LBB43_105:
	s_delay_alu instid0(SALU_CYCLE_1)
	s_or_b32 exec_lo, exec_lo, s14
	v_mov_b32_e32 v93, 0
	ds_load_b32 v93, v93 offset:128
	s_wait_dscnt 0x0
	v_mul_f32_e32 v92, v92, v93
	scratch_store_b32 off, v92, off offset:128
.LBB43_106:
	s_wait_xcnt 0x0
	s_or_b32 exec_lo, exec_lo, s13
	scratch_load_b32 v92, off, off offset:124
	v_cmp_lt_u32_e64 s1, 31, v0
	s_wait_loadcnt 0x0
	ds_store_b32 v1, v92
	s_wait_storecnt_dscnt 0x0
	s_barrier_signal -1
	s_barrier_wait -1
	s_wait_xcnt 0x0
	s_and_saveexec_b32 s13, s1
	s_cbranch_execz .LBB43_116
; %bb.107:
	s_and_not1_b32 vcc_lo, exec_lo, s3
	s_cbranch_vccnz .LBB43_109
; %bb.108:
	scratch_load_b32 v92, v7, off
	ds_load_b32 v93, v1
	s_wait_loadcnt_dscnt 0x0
	v_mul_f32_e32 v92, v92, v93
	s_cbranch_execz .LBB43_110
	s_branch .LBB43_111
.LBB43_109:
                                        ; implicit-def: $vgpr92
.LBB43_110:
	ds_load_b32 v92, v1
.LBB43_111:
	s_and_saveexec_b32 s14, s0
	s_cbranch_execz .LBB43_115
; %bb.112:
	v_subrev_nc_u32_e32 v93, 32, v0
	s_movk_i32 s15, 0x130
	s_mov_b32 s0, 0
.LBB43_113:                             ; =>This Inner Loop Header: Depth=1
	scratch_load_b32 v94, off, s12
	v_dual_mov_b32 v95, s15 :: v_dual_add_nc_u32 v93, -1, v93
	s_add_co_i32 s15, s15, 4
	s_wait_xcnt 0x0
	s_add_co_i32 s12, s12, 4
	ds_load_b32 v95, v95
	v_cmp_eq_u32_e32 vcc_lo, 0, v93
	s_or_b32 s0, vcc_lo, s0
	s_wait_loadcnt_dscnt 0x0
	v_fmac_f32_e32 v92, v94, v95
	s_and_not1_b32 exec_lo, exec_lo, s0
	s_cbranch_execnz .LBB43_113
; %bb.114:
	s_or_b32 exec_lo, exec_lo, s0
.LBB43_115:
	s_delay_alu instid0(SALU_CYCLE_1)
	s_or_b32 exec_lo, exec_lo, s14
	v_mov_b32_e32 v93, 0
	ds_load_b32 v93, v93 offset:124
	s_wait_dscnt 0x0
	v_mul_f32_e32 v92, v92, v93
	scratch_store_b32 off, v92, off offset:124
.LBB43_116:
	s_wait_xcnt 0x0
	s_or_b32 exec_lo, exec_lo, s13
	scratch_load_b32 v92, off, off offset:120
	v_cmp_lt_u32_e64 s0, 30, v0
	s_wait_loadcnt 0x0
	ds_store_b32 v1, v92
	s_wait_storecnt_dscnt 0x0
	s_barrier_signal -1
	s_barrier_wait -1
	s_wait_xcnt 0x0
	s_and_saveexec_b32 s12, s0
	s_cbranch_execz .LBB43_126
; %bb.117:
	s_and_not1_b32 vcc_lo, exec_lo, s3
	s_cbranch_vccnz .LBB43_119
; %bb.118:
	scratch_load_b32 v92, v7, off
	ds_load_b32 v93, v1
	s_wait_loadcnt_dscnt 0x0
	v_mul_f32_e32 v92, v92, v93
	s_cbranch_execz .LBB43_120
	s_branch .LBB43_121
.LBB43_119:
                                        ; implicit-def: $vgpr92
.LBB43_120:
	ds_load_b32 v92, v1
.LBB43_121:
	s_and_saveexec_b32 s13, s1
	s_cbranch_execz .LBB43_125
; %bb.122:
	v_subrev_nc_u32_e32 v93, 31, v0
	s_movk_i32 s1, 0x7c
	s_movk_i32 s15, 0x12c
	s_mov_b32 s14, 0
.LBB43_123:                             ; =>This Inner Loop Header: Depth=1
	scratch_load_b32 v94, off, s1
	v_dual_mov_b32 v95, s15 :: v_dual_add_nc_u32 v93, -1, v93
	s_add_co_i32 s15, s15, 4
	s_wait_xcnt 0x0
	s_add_co_i32 s1, s1, 4
	ds_load_b32 v95, v95
	v_cmp_eq_u32_e32 vcc_lo, 0, v93
	s_or_b32 s14, vcc_lo, s14
	s_wait_loadcnt_dscnt 0x0
	v_fmac_f32_e32 v92, v94, v95
	s_and_not1_b32 exec_lo, exec_lo, s14
	s_cbranch_execnz .LBB43_123
; %bb.124:
	s_or_b32 exec_lo, exec_lo, s14
.LBB43_125:
	s_delay_alu instid0(SALU_CYCLE_1)
	s_or_b32 exec_lo, exec_lo, s13
	v_mov_b32_e32 v93, 0
	ds_load_b32 v93, v93 offset:120
	s_wait_dscnt 0x0
	v_mul_f32_e32 v92, v92, v93
	scratch_store_b32 off, v92, off offset:120
.LBB43_126:
	s_wait_xcnt 0x0
	s_or_b32 exec_lo, exec_lo, s12
	scratch_load_b32 v92, off, off offset:116
	v_cmp_lt_u32_e64 s1, 29, v0
	s_wait_loadcnt 0x0
	ds_store_b32 v1, v92
	s_wait_storecnt_dscnt 0x0
	s_barrier_signal -1
	s_barrier_wait -1
	s_wait_xcnt 0x0
	s_and_saveexec_b32 s12, s1
	s_cbranch_execz .LBB43_136
; %bb.127:
	s_and_not1_b32 vcc_lo, exec_lo, s3
	s_cbranch_vccnz .LBB43_129
; %bb.128:
	scratch_load_b32 v92, v7, off
	ds_load_b32 v93, v1
	s_wait_loadcnt_dscnt 0x0
	v_mul_f32_e32 v92, v92, v93
	s_cbranch_execz .LBB43_130
	s_branch .LBB43_131
.LBB43_129:
                                        ; implicit-def: $vgpr92
.LBB43_130:
	ds_load_b32 v92, v1
.LBB43_131:
	s_and_saveexec_b32 s13, s0
	s_cbranch_execz .LBB43_135
; %bb.132:
	v_subrev_nc_u32_e32 v93, 30, v0
	s_movk_i32 s0, 0x78
	s_movk_i32 s15, 0x128
	s_mov_b32 s14, 0
.LBB43_133:                             ; =>This Inner Loop Header: Depth=1
	scratch_load_b32 v94, off, s0
	v_dual_mov_b32 v95, s15 :: v_dual_add_nc_u32 v93, -1, v93
	s_add_co_i32 s15, s15, 4
	s_wait_xcnt 0x0
	s_add_co_i32 s0, s0, 4
	ds_load_b32 v95, v95
	v_cmp_eq_u32_e32 vcc_lo, 0, v93
	s_or_b32 s14, vcc_lo, s14
	s_wait_loadcnt_dscnt 0x0
	v_fmac_f32_e32 v92, v94, v95
	s_and_not1_b32 exec_lo, exec_lo, s14
	s_cbranch_execnz .LBB43_133
; %bb.134:
	s_or_b32 exec_lo, exec_lo, s14
.LBB43_135:
	s_delay_alu instid0(SALU_CYCLE_1)
	s_or_b32 exec_lo, exec_lo, s13
	v_mov_b32_e32 v93, 0
	ds_load_b32 v93, v93 offset:116
	s_wait_dscnt 0x0
	v_mul_f32_e32 v92, v92, v93
	scratch_store_b32 off, v92, off offset:116
.LBB43_136:
	;; [unrolled: 58-line block ×3, first 2 shown]
	s_wait_xcnt 0x0
	s_or_b32 exec_lo, exec_lo, s12
	scratch_load_b32 v92, off, off offset:108
	v_cmp_lt_u32_e64 s1, 27, v0
	s_wait_loadcnt 0x0
	ds_store_b32 v1, v92
	s_wait_storecnt_dscnt 0x0
	s_barrier_signal -1
	s_barrier_wait -1
	s_wait_xcnt 0x0
	s_and_saveexec_b32 s12, s1
	s_cbranch_execz .LBB43_156
; %bb.147:
	s_and_not1_b32 vcc_lo, exec_lo, s3
	s_cbranch_vccnz .LBB43_149
; %bb.148:
	scratch_load_b32 v92, v7, off
	ds_load_b32 v93, v1
	s_wait_loadcnt_dscnt 0x0
	v_mul_f32_e32 v92, v92, v93
	s_cbranch_execz .LBB43_150
	s_branch .LBB43_151
.LBB43_149:
                                        ; implicit-def: $vgpr92
.LBB43_150:
	ds_load_b32 v92, v1
.LBB43_151:
	s_and_saveexec_b32 s13, s0
	s_cbranch_execz .LBB43_155
; %bb.152:
	v_subrev_nc_u32_e32 v93, 28, v0
	s_movk_i32 s14, 0x120
	s_mov_b32 s0, 0
.LBB43_153:                             ; =>This Inner Loop Header: Depth=1
	scratch_load_b32 v94, off, s11
	v_dual_mov_b32 v95, s14 :: v_dual_add_nc_u32 v93, -1, v93
	s_add_co_i32 s14, s14, 4
	s_wait_xcnt 0x0
	s_add_co_i32 s11, s11, 4
	ds_load_b32 v95, v95
	v_cmp_eq_u32_e32 vcc_lo, 0, v93
	s_or_b32 s0, vcc_lo, s0
	s_wait_loadcnt_dscnt 0x0
	v_fmac_f32_e32 v92, v94, v95
	s_and_not1_b32 exec_lo, exec_lo, s0
	s_cbranch_execnz .LBB43_153
; %bb.154:
	s_or_b32 exec_lo, exec_lo, s0
.LBB43_155:
	s_delay_alu instid0(SALU_CYCLE_1)
	s_or_b32 exec_lo, exec_lo, s13
	v_mov_b32_e32 v93, 0
	ds_load_b32 v93, v93 offset:108
	s_wait_dscnt 0x0
	v_mul_f32_e32 v92, v92, v93
	scratch_store_b32 off, v92, off offset:108
.LBB43_156:
	s_wait_xcnt 0x0
	s_or_b32 exec_lo, exec_lo, s12
	scratch_load_b32 v92, off, off offset:104
	v_cmp_lt_u32_e64 s0, 26, v0
	s_wait_loadcnt 0x0
	ds_store_b32 v1, v92
	s_wait_storecnt_dscnt 0x0
	s_barrier_signal -1
	s_barrier_wait -1
	s_wait_xcnt 0x0
	s_and_saveexec_b32 s11, s0
	s_cbranch_execz .LBB43_166
; %bb.157:
	s_and_not1_b32 vcc_lo, exec_lo, s3
	s_cbranch_vccnz .LBB43_159
; %bb.158:
	scratch_load_b32 v92, v7, off
	ds_load_b32 v93, v1
	s_wait_loadcnt_dscnt 0x0
	v_mul_f32_e32 v92, v92, v93
	s_cbranch_execz .LBB43_160
	s_branch .LBB43_161
.LBB43_159:
                                        ; implicit-def: $vgpr92
.LBB43_160:
	ds_load_b32 v92, v1
.LBB43_161:
	s_and_saveexec_b32 s12, s1
	s_cbranch_execz .LBB43_165
; %bb.162:
	v_subrev_nc_u32_e32 v93, 27, v0
	s_movk_i32 s1, 0x6c
	s_movk_i32 s14, 0x11c
	s_mov_b32 s13, 0
.LBB43_163:                             ; =>This Inner Loop Header: Depth=1
	scratch_load_b32 v94, off, s1
	v_dual_mov_b32 v95, s14 :: v_dual_add_nc_u32 v93, -1, v93
	s_add_co_i32 s14, s14, 4
	s_wait_xcnt 0x0
	s_add_co_i32 s1, s1, 4
	ds_load_b32 v95, v95
	v_cmp_eq_u32_e32 vcc_lo, 0, v93
	s_or_b32 s13, vcc_lo, s13
	s_wait_loadcnt_dscnt 0x0
	v_fmac_f32_e32 v92, v94, v95
	s_and_not1_b32 exec_lo, exec_lo, s13
	s_cbranch_execnz .LBB43_163
; %bb.164:
	s_or_b32 exec_lo, exec_lo, s13
.LBB43_165:
	s_delay_alu instid0(SALU_CYCLE_1)
	s_or_b32 exec_lo, exec_lo, s12
	v_mov_b32_e32 v93, 0
	ds_load_b32 v93, v93 offset:104
	s_wait_dscnt 0x0
	v_mul_f32_e32 v92, v92, v93
	scratch_store_b32 off, v92, off offset:104
.LBB43_166:
	s_wait_xcnt 0x0
	s_or_b32 exec_lo, exec_lo, s11
	scratch_load_b32 v92, off, off offset:100
	v_cmp_lt_u32_e64 s1, 25, v0
	s_wait_loadcnt 0x0
	ds_store_b32 v1, v92
	s_wait_storecnt_dscnt 0x0
	s_barrier_signal -1
	s_barrier_wait -1
	s_wait_xcnt 0x0
	s_and_saveexec_b32 s11, s1
	s_cbranch_execz .LBB43_176
; %bb.167:
	s_and_not1_b32 vcc_lo, exec_lo, s3
	s_cbranch_vccnz .LBB43_169
; %bb.168:
	scratch_load_b32 v92, v7, off
	ds_load_b32 v93, v1
	s_wait_loadcnt_dscnt 0x0
	v_mul_f32_e32 v92, v92, v93
	s_cbranch_execz .LBB43_170
	s_branch .LBB43_171
.LBB43_169:
                                        ; implicit-def: $vgpr92
.LBB43_170:
	ds_load_b32 v92, v1
.LBB43_171:
	s_and_saveexec_b32 s12, s0
	s_cbranch_execz .LBB43_175
; %bb.172:
	v_subrev_nc_u32_e32 v93, 26, v0
	s_movk_i32 s0, 0x68
	s_movk_i32 s14, 0x118
	s_mov_b32 s13, 0
.LBB43_173:                             ; =>This Inner Loop Header: Depth=1
	scratch_load_b32 v94, off, s0
	v_dual_mov_b32 v95, s14 :: v_dual_add_nc_u32 v93, -1, v93
	s_add_co_i32 s14, s14, 4
	s_wait_xcnt 0x0
	s_add_co_i32 s0, s0, 4
	ds_load_b32 v95, v95
	v_cmp_eq_u32_e32 vcc_lo, 0, v93
	s_or_b32 s13, vcc_lo, s13
	s_wait_loadcnt_dscnt 0x0
	v_fmac_f32_e32 v92, v94, v95
	s_and_not1_b32 exec_lo, exec_lo, s13
	s_cbranch_execnz .LBB43_173
; %bb.174:
	s_or_b32 exec_lo, exec_lo, s13
.LBB43_175:
	s_delay_alu instid0(SALU_CYCLE_1)
	s_or_b32 exec_lo, exec_lo, s12
	v_mov_b32_e32 v93, 0
	ds_load_b32 v93, v93 offset:100
	s_wait_dscnt 0x0
	v_mul_f32_e32 v92, v92, v93
	scratch_store_b32 off, v92, off offset:100
.LBB43_176:
	s_wait_xcnt 0x0
	s_or_b32 exec_lo, exec_lo, s11
	scratch_load_b32 v92, off, off offset:96
	v_cmp_lt_u32_e64 s0, 24, v0
	s_wait_loadcnt 0x0
	ds_store_b32 v1, v92
	s_wait_storecnt_dscnt 0x0
	s_barrier_signal -1
	s_barrier_wait -1
	s_wait_xcnt 0x0
	s_and_saveexec_b32 s11, s0
	s_cbranch_execz .LBB43_186
; %bb.177:
	s_and_not1_b32 vcc_lo, exec_lo, s3
	s_cbranch_vccnz .LBB43_179
; %bb.178:
	scratch_load_b32 v92, v7, off
	ds_load_b32 v93, v1
	s_wait_loadcnt_dscnt 0x0
	v_mul_f32_e32 v92, v92, v93
	s_cbranch_execz .LBB43_180
	s_branch .LBB43_181
.LBB43_179:
                                        ; implicit-def: $vgpr92
.LBB43_180:
	ds_load_b32 v92, v1
.LBB43_181:
	s_and_saveexec_b32 s12, s1
	s_cbranch_execz .LBB43_185
; %bb.182:
	v_subrev_nc_u32_e32 v93, 25, v0
	s_movk_i32 s1, 0x64
	s_movk_i32 s14, 0x114
	s_mov_b32 s13, 0
.LBB43_183:                             ; =>This Inner Loop Header: Depth=1
	scratch_load_b32 v94, off, s1
	v_dual_mov_b32 v95, s14 :: v_dual_add_nc_u32 v93, -1, v93
	s_add_co_i32 s14, s14, 4
	s_wait_xcnt 0x0
	s_add_co_i32 s1, s1, 4
	ds_load_b32 v95, v95
	v_cmp_eq_u32_e32 vcc_lo, 0, v93
	s_or_b32 s13, vcc_lo, s13
	s_wait_loadcnt_dscnt 0x0
	v_fmac_f32_e32 v92, v94, v95
	s_and_not1_b32 exec_lo, exec_lo, s13
	s_cbranch_execnz .LBB43_183
; %bb.184:
	s_or_b32 exec_lo, exec_lo, s13
.LBB43_185:
	s_delay_alu instid0(SALU_CYCLE_1)
	s_or_b32 exec_lo, exec_lo, s12
	v_mov_b32_e32 v93, 0
	ds_load_b32 v93, v93 offset:96
	s_wait_dscnt 0x0
	v_mul_f32_e32 v92, v92, v93
	scratch_store_b32 off, v92, off offset:96
.LBB43_186:
	s_wait_xcnt 0x0
	s_or_b32 exec_lo, exec_lo, s11
	scratch_load_b32 v92, off, off offset:92
	v_cmp_lt_u32_e64 s1, 23, v0
	s_wait_loadcnt 0x0
	ds_store_b32 v1, v92
	s_wait_storecnt_dscnt 0x0
	s_barrier_signal -1
	s_barrier_wait -1
	s_wait_xcnt 0x0
	s_and_saveexec_b32 s11, s1
	s_cbranch_execz .LBB43_196
; %bb.187:
	s_and_not1_b32 vcc_lo, exec_lo, s3
	s_cbranch_vccnz .LBB43_189
; %bb.188:
	scratch_load_b32 v92, v7, off
	ds_load_b32 v93, v1
	s_wait_loadcnt_dscnt 0x0
	v_mul_f32_e32 v92, v92, v93
	s_cbranch_execz .LBB43_190
	s_branch .LBB43_191
.LBB43_189:
                                        ; implicit-def: $vgpr92
.LBB43_190:
	ds_load_b32 v92, v1
.LBB43_191:
	s_and_saveexec_b32 s12, s0
	s_cbranch_execz .LBB43_195
; %bb.192:
	v_subrev_nc_u32_e32 v93, 24, v0
	s_movk_i32 s13, 0x110
	s_mov_b32 s0, 0
.LBB43_193:                             ; =>This Inner Loop Header: Depth=1
	scratch_load_b32 v94, off, s10
	v_dual_mov_b32 v95, s13 :: v_dual_add_nc_u32 v93, -1, v93
	s_add_co_i32 s13, s13, 4
	s_wait_xcnt 0x0
	s_add_co_i32 s10, s10, 4
	ds_load_b32 v95, v95
	v_cmp_eq_u32_e32 vcc_lo, 0, v93
	s_or_b32 s0, vcc_lo, s0
	s_wait_loadcnt_dscnt 0x0
	v_fmac_f32_e32 v92, v94, v95
	s_and_not1_b32 exec_lo, exec_lo, s0
	s_cbranch_execnz .LBB43_193
; %bb.194:
	s_or_b32 exec_lo, exec_lo, s0
.LBB43_195:
	s_delay_alu instid0(SALU_CYCLE_1)
	s_or_b32 exec_lo, exec_lo, s12
	v_mov_b32_e32 v93, 0
	ds_load_b32 v93, v93 offset:92
	s_wait_dscnt 0x0
	v_mul_f32_e32 v92, v92, v93
	scratch_store_b32 off, v92, off offset:92
.LBB43_196:
	s_wait_xcnt 0x0
	s_or_b32 exec_lo, exec_lo, s11
	scratch_load_b32 v92, off, off offset:88
	v_cmp_lt_u32_e64 s0, 22, v0
	s_wait_loadcnt 0x0
	ds_store_b32 v1, v92
	s_wait_storecnt_dscnt 0x0
	s_barrier_signal -1
	s_barrier_wait -1
	s_wait_xcnt 0x0
	s_and_saveexec_b32 s10, s0
	s_cbranch_execz .LBB43_206
; %bb.197:
	s_and_not1_b32 vcc_lo, exec_lo, s3
	s_cbranch_vccnz .LBB43_199
; %bb.198:
	scratch_load_b32 v92, v7, off
	ds_load_b32 v93, v1
	s_wait_loadcnt_dscnt 0x0
	v_mul_f32_e32 v92, v92, v93
	s_cbranch_execz .LBB43_200
	s_branch .LBB43_201
.LBB43_199:
                                        ; implicit-def: $vgpr92
.LBB43_200:
	ds_load_b32 v92, v1
.LBB43_201:
	s_and_saveexec_b32 s11, s1
	s_cbranch_execz .LBB43_205
; %bb.202:
	v_subrev_nc_u32_e32 v93, 23, v0
	s_movk_i32 s1, 0x5c
	s_movk_i32 s13, 0x10c
	s_mov_b32 s12, 0
.LBB43_203:                             ; =>This Inner Loop Header: Depth=1
	scratch_load_b32 v94, off, s1
	v_dual_mov_b32 v95, s13 :: v_dual_add_nc_u32 v93, -1, v93
	s_add_co_i32 s13, s13, 4
	s_wait_xcnt 0x0
	s_add_co_i32 s1, s1, 4
	ds_load_b32 v95, v95
	v_cmp_eq_u32_e32 vcc_lo, 0, v93
	s_or_b32 s12, vcc_lo, s12
	s_wait_loadcnt_dscnt 0x0
	v_fmac_f32_e32 v92, v94, v95
	s_and_not1_b32 exec_lo, exec_lo, s12
	s_cbranch_execnz .LBB43_203
; %bb.204:
	s_or_b32 exec_lo, exec_lo, s12
.LBB43_205:
	s_delay_alu instid0(SALU_CYCLE_1)
	s_or_b32 exec_lo, exec_lo, s11
	v_mov_b32_e32 v93, 0
	ds_load_b32 v93, v93 offset:88
	s_wait_dscnt 0x0
	v_mul_f32_e32 v92, v92, v93
	scratch_store_b32 off, v92, off offset:88
.LBB43_206:
	s_wait_xcnt 0x0
	s_or_b32 exec_lo, exec_lo, s10
	scratch_load_b32 v92, off, off offset:84
	v_cmp_lt_u32_e64 s1, 21, v0
	s_wait_loadcnt 0x0
	ds_store_b32 v1, v92
	s_wait_storecnt_dscnt 0x0
	s_barrier_signal -1
	s_barrier_wait -1
	s_wait_xcnt 0x0
	s_and_saveexec_b32 s10, s1
	s_cbranch_execz .LBB43_216
; %bb.207:
	s_and_not1_b32 vcc_lo, exec_lo, s3
	s_cbranch_vccnz .LBB43_209
; %bb.208:
	scratch_load_b32 v92, v7, off
	ds_load_b32 v93, v1
	s_wait_loadcnt_dscnt 0x0
	v_mul_f32_e32 v92, v92, v93
	s_cbranch_execz .LBB43_210
	s_branch .LBB43_211
.LBB43_209:
                                        ; implicit-def: $vgpr92
.LBB43_210:
	ds_load_b32 v92, v1
.LBB43_211:
	s_and_saveexec_b32 s11, s0
	s_cbranch_execz .LBB43_215
; %bb.212:
	v_subrev_nc_u32_e32 v93, 22, v0
	s_movk_i32 s0, 0x58
	s_movk_i32 s13, 0x108
	s_mov_b32 s12, 0
.LBB43_213:                             ; =>This Inner Loop Header: Depth=1
	scratch_load_b32 v94, off, s0
	v_dual_mov_b32 v95, s13 :: v_dual_add_nc_u32 v93, -1, v93
	s_add_co_i32 s13, s13, 4
	s_wait_xcnt 0x0
	s_add_co_i32 s0, s0, 4
	ds_load_b32 v95, v95
	v_cmp_eq_u32_e32 vcc_lo, 0, v93
	s_or_b32 s12, vcc_lo, s12
	s_wait_loadcnt_dscnt 0x0
	v_fmac_f32_e32 v92, v94, v95
	s_and_not1_b32 exec_lo, exec_lo, s12
	s_cbranch_execnz .LBB43_213
; %bb.214:
	s_or_b32 exec_lo, exec_lo, s12
.LBB43_215:
	s_delay_alu instid0(SALU_CYCLE_1)
	s_or_b32 exec_lo, exec_lo, s11
	v_mov_b32_e32 v93, 0
	ds_load_b32 v93, v93 offset:84
	s_wait_dscnt 0x0
	v_mul_f32_e32 v92, v92, v93
	scratch_store_b32 off, v92, off offset:84
.LBB43_216:
	;; [unrolled: 58-line block ×3, first 2 shown]
	s_wait_xcnt 0x0
	s_or_b32 exec_lo, exec_lo, s10
	scratch_load_b32 v92, off, off offset:76
	v_cmp_lt_u32_e64 s1, 19, v0
	s_wait_loadcnt 0x0
	ds_store_b32 v1, v92
	s_wait_storecnt_dscnt 0x0
	s_barrier_signal -1
	s_barrier_wait -1
	s_wait_xcnt 0x0
	s_and_saveexec_b32 s10, s1
	s_cbranch_execz .LBB43_236
; %bb.227:
	s_and_not1_b32 vcc_lo, exec_lo, s3
	s_cbranch_vccnz .LBB43_229
; %bb.228:
	scratch_load_b32 v92, v7, off
	ds_load_b32 v93, v1
	s_wait_loadcnt_dscnt 0x0
	v_mul_f32_e32 v92, v92, v93
	s_cbranch_execz .LBB43_230
	s_branch .LBB43_231
.LBB43_229:
                                        ; implicit-def: $vgpr92
.LBB43_230:
	ds_load_b32 v92, v1
.LBB43_231:
	s_and_saveexec_b32 s11, s0
	s_cbranch_execz .LBB43_235
; %bb.232:
	v_subrev_nc_u32_e32 v93, 20, v0
	s_movk_i32 s12, 0x100
	s_mov_b32 s0, 0
.LBB43_233:                             ; =>This Inner Loop Header: Depth=1
	scratch_load_b32 v94, off, s9
	v_dual_mov_b32 v95, s12 :: v_dual_add_nc_u32 v93, -1, v93
	s_add_co_i32 s12, s12, 4
	s_wait_xcnt 0x0
	s_add_co_i32 s9, s9, 4
	ds_load_b32 v95, v95
	v_cmp_eq_u32_e32 vcc_lo, 0, v93
	s_or_b32 s0, vcc_lo, s0
	s_wait_loadcnt_dscnt 0x0
	v_fmac_f32_e32 v92, v94, v95
	s_and_not1_b32 exec_lo, exec_lo, s0
	s_cbranch_execnz .LBB43_233
; %bb.234:
	s_or_b32 exec_lo, exec_lo, s0
.LBB43_235:
	s_delay_alu instid0(SALU_CYCLE_1)
	s_or_b32 exec_lo, exec_lo, s11
	v_mov_b32_e32 v93, 0
	ds_load_b32 v93, v93 offset:76
	s_wait_dscnt 0x0
	v_mul_f32_e32 v92, v92, v93
	scratch_store_b32 off, v92, off offset:76
.LBB43_236:
	s_wait_xcnt 0x0
	s_or_b32 exec_lo, exec_lo, s10
	scratch_load_b32 v92, off, off offset:72
	v_cmp_lt_u32_e64 s0, 18, v0
	s_wait_loadcnt 0x0
	ds_store_b32 v1, v92
	s_wait_storecnt_dscnt 0x0
	s_barrier_signal -1
	s_barrier_wait -1
	s_wait_xcnt 0x0
	s_and_saveexec_b32 s9, s0
	s_cbranch_execz .LBB43_246
; %bb.237:
	s_and_not1_b32 vcc_lo, exec_lo, s3
	s_cbranch_vccnz .LBB43_239
; %bb.238:
	scratch_load_b32 v92, v7, off
	ds_load_b32 v93, v1
	s_wait_loadcnt_dscnt 0x0
	v_mul_f32_e32 v92, v92, v93
	s_cbranch_execz .LBB43_240
	s_branch .LBB43_241
.LBB43_239:
                                        ; implicit-def: $vgpr92
.LBB43_240:
	ds_load_b32 v92, v1
.LBB43_241:
	s_and_saveexec_b32 s10, s1
	s_cbranch_execz .LBB43_245
; %bb.242:
	v_subrev_nc_u32_e32 v93, 19, v0
	s_movk_i32 s1, 0x4c
	s_movk_i32 s12, 0xfc
	s_mov_b32 s11, 0
.LBB43_243:                             ; =>This Inner Loop Header: Depth=1
	scratch_load_b32 v94, off, s1
	v_dual_mov_b32 v95, s12 :: v_dual_add_nc_u32 v93, -1, v93
	s_add_co_i32 s12, s12, 4
	s_wait_xcnt 0x0
	s_add_co_i32 s1, s1, 4
	ds_load_b32 v95, v95
	v_cmp_eq_u32_e32 vcc_lo, 0, v93
	s_or_b32 s11, vcc_lo, s11
	s_wait_loadcnt_dscnt 0x0
	v_fmac_f32_e32 v92, v94, v95
	s_and_not1_b32 exec_lo, exec_lo, s11
	s_cbranch_execnz .LBB43_243
; %bb.244:
	s_or_b32 exec_lo, exec_lo, s11
.LBB43_245:
	s_delay_alu instid0(SALU_CYCLE_1)
	s_or_b32 exec_lo, exec_lo, s10
	v_mov_b32_e32 v93, 0
	ds_load_b32 v93, v93 offset:72
	s_wait_dscnt 0x0
	v_mul_f32_e32 v92, v92, v93
	scratch_store_b32 off, v92, off offset:72
.LBB43_246:
	s_wait_xcnt 0x0
	s_or_b32 exec_lo, exec_lo, s9
	scratch_load_b32 v92, off, off offset:68
	v_cmp_lt_u32_e64 s1, 17, v0
	s_wait_loadcnt 0x0
	ds_store_b32 v1, v92
	s_wait_storecnt_dscnt 0x0
	s_barrier_signal -1
	s_barrier_wait -1
	s_wait_xcnt 0x0
	s_and_saveexec_b32 s9, s1
	s_cbranch_execz .LBB43_256
; %bb.247:
	s_and_not1_b32 vcc_lo, exec_lo, s3
	s_cbranch_vccnz .LBB43_249
; %bb.248:
	scratch_load_b32 v92, v7, off
	ds_load_b32 v93, v1
	s_wait_loadcnt_dscnt 0x0
	v_mul_f32_e32 v92, v92, v93
	s_cbranch_execz .LBB43_250
	s_branch .LBB43_251
.LBB43_249:
                                        ; implicit-def: $vgpr92
.LBB43_250:
	ds_load_b32 v92, v1
.LBB43_251:
	s_and_saveexec_b32 s10, s0
	s_cbranch_execz .LBB43_255
; %bb.252:
	v_subrev_nc_u32_e32 v93, 18, v0
	s_movk_i32 s0, 0x48
	s_movk_i32 s12, 0xf8
	s_mov_b32 s11, 0
.LBB43_253:                             ; =>This Inner Loop Header: Depth=1
	scratch_load_b32 v94, off, s0
	v_dual_mov_b32 v95, s12 :: v_dual_add_nc_u32 v93, -1, v93
	s_add_co_i32 s12, s12, 4
	s_wait_xcnt 0x0
	s_add_co_i32 s0, s0, 4
	ds_load_b32 v95, v95
	v_cmp_eq_u32_e32 vcc_lo, 0, v93
	s_or_b32 s11, vcc_lo, s11
	s_wait_loadcnt_dscnt 0x0
	v_fmac_f32_e32 v92, v94, v95
	s_and_not1_b32 exec_lo, exec_lo, s11
	s_cbranch_execnz .LBB43_253
; %bb.254:
	s_or_b32 exec_lo, exec_lo, s11
.LBB43_255:
	s_delay_alu instid0(SALU_CYCLE_1)
	s_or_b32 exec_lo, exec_lo, s10
	v_mov_b32_e32 v93, 0
	ds_load_b32 v93, v93 offset:68
	s_wait_dscnt 0x0
	v_mul_f32_e32 v92, v92, v93
	scratch_store_b32 off, v92, off offset:68
.LBB43_256:
	;; [unrolled: 58-line block ×3, first 2 shown]
	s_wait_xcnt 0x0
	s_or_b32 exec_lo, exec_lo, s9
	scratch_load_b32 v92, off, off offset:60
	v_cmp_lt_u32_e64 s1, 15, v0
	s_wait_loadcnt 0x0
	ds_store_b32 v1, v92
	s_wait_storecnt_dscnt 0x0
	s_barrier_signal -1
	s_barrier_wait -1
	s_wait_xcnt 0x0
	s_and_saveexec_b32 s9, s1
	s_cbranch_execz .LBB43_276
; %bb.267:
	s_and_not1_b32 vcc_lo, exec_lo, s3
	s_cbranch_vccnz .LBB43_269
; %bb.268:
	scratch_load_b32 v92, v7, off
	ds_load_b32 v93, v1
	s_wait_loadcnt_dscnt 0x0
	v_mul_f32_e32 v92, v92, v93
	s_cbranch_execz .LBB43_270
	s_branch .LBB43_271
.LBB43_269:
                                        ; implicit-def: $vgpr92
.LBB43_270:
	ds_load_b32 v92, v1
.LBB43_271:
	s_and_saveexec_b32 s10, s0
	s_cbranch_execz .LBB43_275
; %bb.272:
	v_add_nc_u32_e32 v93, -16, v0
	s_movk_i32 s11, 0xf0
	s_mov_b32 s0, 0
.LBB43_273:                             ; =>This Inner Loop Header: Depth=1
	scratch_load_b32 v94, off, s8
	v_dual_mov_b32 v95, s11 :: v_dual_add_nc_u32 v93, -1, v93
	s_add_co_i32 s11, s11, 4
	s_wait_xcnt 0x0
	s_add_co_i32 s8, s8, 4
	ds_load_b32 v95, v95
	v_cmp_eq_u32_e32 vcc_lo, 0, v93
	s_or_b32 s0, vcc_lo, s0
	s_wait_loadcnt_dscnt 0x0
	v_fmac_f32_e32 v92, v94, v95
	s_and_not1_b32 exec_lo, exec_lo, s0
	s_cbranch_execnz .LBB43_273
; %bb.274:
	s_or_b32 exec_lo, exec_lo, s0
.LBB43_275:
	s_delay_alu instid0(SALU_CYCLE_1)
	s_or_b32 exec_lo, exec_lo, s10
	v_mov_b32_e32 v93, 0
	ds_load_b32 v93, v93 offset:60
	s_wait_dscnt 0x0
	v_mul_f32_e32 v92, v92, v93
	scratch_store_b32 off, v92, off offset:60
.LBB43_276:
	s_wait_xcnt 0x0
	s_or_b32 exec_lo, exec_lo, s9
	scratch_load_b32 v92, off, off offset:56
	v_cmp_lt_u32_e64 s0, 14, v0
	s_wait_loadcnt 0x0
	ds_store_b32 v1, v92
	s_wait_storecnt_dscnt 0x0
	s_barrier_signal -1
	s_barrier_wait -1
	s_wait_xcnt 0x0
	s_and_saveexec_b32 s8, s0
	s_cbranch_execz .LBB43_286
; %bb.277:
	s_and_not1_b32 vcc_lo, exec_lo, s3
	s_cbranch_vccnz .LBB43_279
; %bb.278:
	scratch_load_b32 v92, v7, off
	ds_load_b32 v93, v1
	s_wait_loadcnt_dscnt 0x0
	v_mul_f32_e32 v92, v92, v93
	s_cbranch_execz .LBB43_280
	s_branch .LBB43_281
.LBB43_279:
                                        ; implicit-def: $vgpr92
.LBB43_280:
	ds_load_b32 v92, v1
.LBB43_281:
	s_and_saveexec_b32 s9, s1
	s_cbranch_execz .LBB43_285
; %bb.282:
	v_add_nc_u32_e32 v93, -15, v0
	s_mov_b32 s1, 60
	s_movk_i32 s11, 0xec
	s_mov_b32 s10, 0
.LBB43_283:                             ; =>This Inner Loop Header: Depth=1
	scratch_load_b32 v94, off, s1
	v_dual_mov_b32 v95, s11 :: v_dual_add_nc_u32 v93, -1, v93
	s_add_co_i32 s11, s11, 4
	s_wait_xcnt 0x0
	s_add_co_i32 s1, s1, 4
	ds_load_b32 v95, v95
	v_cmp_eq_u32_e32 vcc_lo, 0, v93
	s_or_b32 s10, vcc_lo, s10
	s_wait_loadcnt_dscnt 0x0
	v_fmac_f32_e32 v92, v94, v95
	s_and_not1_b32 exec_lo, exec_lo, s10
	s_cbranch_execnz .LBB43_283
; %bb.284:
	s_or_b32 exec_lo, exec_lo, s10
.LBB43_285:
	s_delay_alu instid0(SALU_CYCLE_1)
	s_or_b32 exec_lo, exec_lo, s9
	v_mov_b32_e32 v93, 0
	ds_load_b32 v93, v93 offset:56
	s_wait_dscnt 0x0
	v_mul_f32_e32 v92, v92, v93
	scratch_store_b32 off, v92, off offset:56
.LBB43_286:
	s_wait_xcnt 0x0
	s_or_b32 exec_lo, exec_lo, s8
	scratch_load_b32 v92, off, off offset:52
	v_cmp_lt_u32_e64 s1, 13, v0
	s_wait_loadcnt 0x0
	ds_store_b32 v1, v92
	s_wait_storecnt_dscnt 0x0
	s_barrier_signal -1
	s_barrier_wait -1
	s_wait_xcnt 0x0
	s_and_saveexec_b32 s8, s1
	s_cbranch_execz .LBB43_296
; %bb.287:
	s_and_not1_b32 vcc_lo, exec_lo, s3
	s_cbranch_vccnz .LBB43_289
; %bb.288:
	scratch_load_b32 v92, v7, off
	ds_load_b32 v93, v1
	s_wait_loadcnt_dscnt 0x0
	v_mul_f32_e32 v92, v92, v93
	s_cbranch_execz .LBB43_290
	s_branch .LBB43_291
.LBB43_289:
                                        ; implicit-def: $vgpr92
.LBB43_290:
	ds_load_b32 v92, v1
.LBB43_291:
	s_and_saveexec_b32 s9, s0
	s_cbranch_execz .LBB43_295
; %bb.292:
	v_add_nc_u32_e32 v93, -14, v0
	s_mov_b32 s0, 56
	s_movk_i32 s11, 0xe8
	s_mov_b32 s10, 0
.LBB43_293:                             ; =>This Inner Loop Header: Depth=1
	scratch_load_b32 v94, off, s0
	v_dual_mov_b32 v95, s11 :: v_dual_add_nc_u32 v93, -1, v93
	s_add_co_i32 s11, s11, 4
	s_wait_xcnt 0x0
	s_add_co_i32 s0, s0, 4
	ds_load_b32 v95, v95
	v_cmp_eq_u32_e32 vcc_lo, 0, v93
	s_or_b32 s10, vcc_lo, s10
	s_wait_loadcnt_dscnt 0x0
	v_fmac_f32_e32 v92, v94, v95
	s_and_not1_b32 exec_lo, exec_lo, s10
	s_cbranch_execnz .LBB43_293
; %bb.294:
	s_or_b32 exec_lo, exec_lo, s10
.LBB43_295:
	s_delay_alu instid0(SALU_CYCLE_1)
	s_or_b32 exec_lo, exec_lo, s9
	v_mov_b32_e32 v93, 0
	ds_load_b32 v93, v93 offset:52
	s_wait_dscnt 0x0
	v_mul_f32_e32 v92, v92, v93
	scratch_store_b32 off, v92, off offset:52
.LBB43_296:
	;; [unrolled: 58-line block ×3, first 2 shown]
	s_wait_xcnt 0x0
	s_or_b32 exec_lo, exec_lo, s8
	scratch_load_b32 v92, off, off offset:44
	v_cmp_lt_u32_e64 s1, 11, v0
	s_wait_loadcnt 0x0
	ds_store_b32 v1, v92
	s_wait_storecnt_dscnt 0x0
	s_barrier_signal -1
	s_barrier_wait -1
	s_wait_xcnt 0x0
	s_and_saveexec_b32 s8, s1
	s_cbranch_execz .LBB43_316
; %bb.307:
	s_and_not1_b32 vcc_lo, exec_lo, s3
	s_cbranch_vccnz .LBB43_309
; %bb.308:
	scratch_load_b32 v92, v7, off
	ds_load_b32 v93, v1
	s_wait_loadcnt_dscnt 0x0
	v_mul_f32_e32 v92, v92, v93
	s_cbranch_execz .LBB43_310
	s_branch .LBB43_311
.LBB43_309:
                                        ; implicit-def: $vgpr92
.LBB43_310:
	ds_load_b32 v92, v1
.LBB43_311:
	s_and_saveexec_b32 s9, s0
	s_cbranch_execz .LBB43_315
; %bb.312:
	v_add_nc_u32_e32 v93, -12, v0
	s_movk_i32 s10, 0xe0
	s_mov_b32 s0, 0
.LBB43_313:                             ; =>This Inner Loop Header: Depth=1
	scratch_load_b32 v94, off, s5
	v_dual_mov_b32 v95, s10 :: v_dual_add_nc_u32 v93, -1, v93
	s_add_co_i32 s10, s10, 4
	s_wait_xcnt 0x0
	s_add_co_i32 s5, s5, 4
	ds_load_b32 v95, v95
	v_cmp_eq_u32_e32 vcc_lo, 0, v93
	s_or_b32 s0, vcc_lo, s0
	s_wait_loadcnt_dscnt 0x0
	v_fmac_f32_e32 v92, v94, v95
	s_and_not1_b32 exec_lo, exec_lo, s0
	s_cbranch_execnz .LBB43_313
; %bb.314:
	s_or_b32 exec_lo, exec_lo, s0
.LBB43_315:
	s_delay_alu instid0(SALU_CYCLE_1)
	s_or_b32 exec_lo, exec_lo, s9
	v_mov_b32_e32 v93, 0
	ds_load_b32 v93, v93 offset:44
	s_wait_dscnt 0x0
	v_mul_f32_e32 v92, v92, v93
	scratch_store_b32 off, v92, off offset:44
.LBB43_316:
	s_wait_xcnt 0x0
	s_or_b32 exec_lo, exec_lo, s8
	scratch_load_b32 v92, off, off offset:40
	v_cmp_lt_u32_e64 s0, 10, v0
	s_wait_loadcnt 0x0
	ds_store_b32 v1, v92
	s_wait_storecnt_dscnt 0x0
	s_barrier_signal -1
	s_barrier_wait -1
	s_wait_xcnt 0x0
	s_and_saveexec_b32 s5, s0
	s_cbranch_execz .LBB43_326
; %bb.317:
	s_and_not1_b32 vcc_lo, exec_lo, s3
	s_cbranch_vccnz .LBB43_319
; %bb.318:
	scratch_load_b32 v92, v7, off
	ds_load_b32 v93, v1
	s_wait_loadcnt_dscnt 0x0
	v_mul_f32_e32 v92, v92, v93
	s_cbranch_execz .LBB43_320
	s_branch .LBB43_321
.LBB43_319:
                                        ; implicit-def: $vgpr92
.LBB43_320:
	ds_load_b32 v92, v1
.LBB43_321:
	s_and_saveexec_b32 s8, s1
	s_cbranch_execz .LBB43_325
; %bb.322:
	v_add_nc_u32_e32 v93, -11, v0
	s_mov_b32 s1, 44
	s_movk_i32 s10, 0xdc
	s_mov_b32 s9, 0
.LBB43_323:                             ; =>This Inner Loop Header: Depth=1
	scratch_load_b32 v94, off, s1
	v_dual_mov_b32 v95, s10 :: v_dual_add_nc_u32 v93, -1, v93
	s_add_co_i32 s10, s10, 4
	s_wait_xcnt 0x0
	s_add_co_i32 s1, s1, 4
	ds_load_b32 v95, v95
	v_cmp_eq_u32_e32 vcc_lo, 0, v93
	s_or_b32 s9, vcc_lo, s9
	s_wait_loadcnt_dscnt 0x0
	v_fmac_f32_e32 v92, v94, v95
	s_and_not1_b32 exec_lo, exec_lo, s9
	s_cbranch_execnz .LBB43_323
; %bb.324:
	s_or_b32 exec_lo, exec_lo, s9
.LBB43_325:
	s_delay_alu instid0(SALU_CYCLE_1)
	s_or_b32 exec_lo, exec_lo, s8
	v_mov_b32_e32 v93, 0
	ds_load_b32 v93, v93 offset:40
	s_wait_dscnt 0x0
	v_mul_f32_e32 v92, v92, v93
	scratch_store_b32 off, v92, off offset:40
.LBB43_326:
	s_wait_xcnt 0x0
	s_or_b32 exec_lo, exec_lo, s5
	scratch_load_b32 v92, off, off offset:36
	v_cmp_lt_u32_e64 s1, 9, v0
	s_wait_loadcnt 0x0
	ds_store_b32 v1, v92
	s_wait_storecnt_dscnt 0x0
	s_barrier_signal -1
	s_barrier_wait -1
	s_wait_xcnt 0x0
	s_and_saveexec_b32 s5, s1
	s_cbranch_execz .LBB43_336
; %bb.327:
	s_and_not1_b32 vcc_lo, exec_lo, s3
	s_cbranch_vccnz .LBB43_329
; %bb.328:
	scratch_load_b32 v92, v7, off
	ds_load_b32 v93, v1
	s_wait_loadcnt_dscnt 0x0
	v_mul_f32_e32 v92, v92, v93
	s_cbranch_execz .LBB43_330
	s_branch .LBB43_331
.LBB43_329:
                                        ; implicit-def: $vgpr92
.LBB43_330:
	ds_load_b32 v92, v1
.LBB43_331:
	s_and_saveexec_b32 s8, s0
	s_cbranch_execz .LBB43_335
; %bb.332:
	v_add_nc_u32_e32 v93, -10, v0
	s_mov_b32 s0, 40
	s_movk_i32 s10, 0xd8
	s_mov_b32 s9, 0
.LBB43_333:                             ; =>This Inner Loop Header: Depth=1
	scratch_load_b32 v94, off, s0
	v_dual_mov_b32 v95, s10 :: v_dual_add_nc_u32 v93, -1, v93
	s_add_co_i32 s10, s10, 4
	s_wait_xcnt 0x0
	s_add_co_i32 s0, s0, 4
	ds_load_b32 v95, v95
	v_cmp_eq_u32_e32 vcc_lo, 0, v93
	s_or_b32 s9, vcc_lo, s9
	s_wait_loadcnt_dscnt 0x0
	v_fmac_f32_e32 v92, v94, v95
	s_and_not1_b32 exec_lo, exec_lo, s9
	s_cbranch_execnz .LBB43_333
; %bb.334:
	s_or_b32 exec_lo, exec_lo, s9
.LBB43_335:
	s_delay_alu instid0(SALU_CYCLE_1)
	s_or_b32 exec_lo, exec_lo, s8
	v_mov_b32_e32 v93, 0
	ds_load_b32 v93, v93 offset:36
	s_wait_dscnt 0x0
	v_mul_f32_e32 v92, v92, v93
	scratch_store_b32 off, v92, off offset:36
.LBB43_336:
	;; [unrolled: 58-line block ×3, first 2 shown]
	s_wait_xcnt 0x0
	s_or_b32 exec_lo, exec_lo, s5
	scratch_load_b32 v92, off, off offset:28
	v_cmp_lt_u32_e64 s1, 7, v0
	s_wait_loadcnt 0x0
	ds_store_b32 v1, v92
	s_wait_storecnt_dscnt 0x0
	s_barrier_signal -1
	s_barrier_wait -1
	s_wait_xcnt 0x0
	s_and_saveexec_b32 s5, s1
	s_cbranch_execz .LBB43_356
; %bb.347:
	s_and_not1_b32 vcc_lo, exec_lo, s3
	s_cbranch_vccnz .LBB43_349
; %bb.348:
	scratch_load_b32 v92, v7, off
	ds_load_b32 v93, v1
	s_wait_loadcnt_dscnt 0x0
	v_mul_f32_e32 v92, v92, v93
	s_cbranch_execz .LBB43_350
	s_branch .LBB43_351
.LBB43_349:
                                        ; implicit-def: $vgpr92
.LBB43_350:
	ds_load_b32 v92, v1
.LBB43_351:
	s_and_saveexec_b32 s8, s0
	s_cbranch_execz .LBB43_355
; %bb.352:
	v_add_nc_u32_e32 v93, -8, v0
	s_movk_i32 s9, 0xd0
	s_mov_b32 s0, 0
.LBB43_353:                             ; =>This Inner Loop Header: Depth=1
	scratch_load_b32 v94, off, s2
	v_dual_mov_b32 v95, s9 :: v_dual_add_nc_u32 v93, -1, v93
	s_add_co_i32 s9, s9, 4
	s_wait_xcnt 0x0
	s_add_co_i32 s2, s2, 4
	ds_load_b32 v95, v95
	v_cmp_eq_u32_e32 vcc_lo, 0, v93
	s_or_b32 s0, vcc_lo, s0
	s_wait_loadcnt_dscnt 0x0
	v_fmac_f32_e32 v92, v94, v95
	s_and_not1_b32 exec_lo, exec_lo, s0
	s_cbranch_execnz .LBB43_353
; %bb.354:
	s_or_b32 exec_lo, exec_lo, s0
.LBB43_355:
	s_delay_alu instid0(SALU_CYCLE_1)
	s_or_b32 exec_lo, exec_lo, s8
	v_mov_b32_e32 v93, 0
	ds_load_b32 v93, v93 offset:28
	s_wait_dscnt 0x0
	v_mul_f32_e32 v92, v92, v93
	scratch_store_b32 off, v92, off offset:28
.LBB43_356:
	s_wait_xcnt 0x0
	s_or_b32 exec_lo, exec_lo, s5
	scratch_load_b32 v92, off, off offset:24
	v_cmp_lt_u32_e64 s0, 6, v0
	s_wait_loadcnt 0x0
	ds_store_b32 v1, v92
	s_wait_storecnt_dscnt 0x0
	s_barrier_signal -1
	s_barrier_wait -1
	s_wait_xcnt 0x0
	s_and_saveexec_b32 s2, s0
	s_cbranch_execz .LBB43_366
; %bb.357:
	s_and_not1_b32 vcc_lo, exec_lo, s3
	s_cbranch_vccnz .LBB43_359
; %bb.358:
	scratch_load_b32 v92, v7, off
	ds_load_b32 v93, v1
	s_wait_loadcnt_dscnt 0x0
	v_mul_f32_e32 v92, v92, v93
	s_cbranch_execz .LBB43_360
	s_branch .LBB43_361
.LBB43_359:
                                        ; implicit-def: $vgpr92
.LBB43_360:
	ds_load_b32 v92, v1
.LBB43_361:
	s_and_saveexec_b32 s5, s1
	s_cbranch_execz .LBB43_365
; %bb.362:
	v_add_nc_u32_e32 v93, -7, v0
	s_mov_b32 s1, 28
	s_movk_i32 s9, 0xcc
	s_mov_b32 s8, 0
.LBB43_363:                             ; =>This Inner Loop Header: Depth=1
	scratch_load_b32 v94, off, s1
	v_dual_mov_b32 v95, s9 :: v_dual_add_nc_u32 v93, -1, v93
	s_add_co_i32 s9, s9, 4
	s_wait_xcnt 0x0
	s_add_co_i32 s1, s1, 4
	ds_load_b32 v95, v95
	v_cmp_eq_u32_e32 vcc_lo, 0, v93
	s_or_b32 s8, vcc_lo, s8
	s_wait_loadcnt_dscnt 0x0
	v_fmac_f32_e32 v92, v94, v95
	s_and_not1_b32 exec_lo, exec_lo, s8
	s_cbranch_execnz .LBB43_363
; %bb.364:
	s_or_b32 exec_lo, exec_lo, s8
.LBB43_365:
	s_delay_alu instid0(SALU_CYCLE_1)
	s_or_b32 exec_lo, exec_lo, s5
	v_mov_b32_e32 v93, 0
	ds_load_b32 v93, v93 offset:24
	s_wait_dscnt 0x0
	v_mul_f32_e32 v92, v92, v93
	scratch_store_b32 off, v92, off offset:24
.LBB43_366:
	s_wait_xcnt 0x0
	s_or_b32 exec_lo, exec_lo, s2
	scratch_load_b32 v92, off, off offset:20
	v_cmp_lt_u32_e64 s1, 5, v0
	s_wait_loadcnt 0x0
	ds_store_b32 v1, v92
	s_wait_storecnt_dscnt 0x0
	s_barrier_signal -1
	s_barrier_wait -1
	s_wait_xcnt 0x0
	s_and_saveexec_b32 s2, s1
	s_cbranch_execz .LBB43_376
; %bb.367:
	s_and_not1_b32 vcc_lo, exec_lo, s3
	s_cbranch_vccnz .LBB43_369
; %bb.368:
	scratch_load_b32 v92, v7, off
	ds_load_b32 v93, v1
	s_wait_loadcnt_dscnt 0x0
	v_mul_f32_e32 v92, v92, v93
	s_cbranch_execz .LBB43_370
	s_branch .LBB43_371
.LBB43_369:
                                        ; implicit-def: $vgpr92
.LBB43_370:
	ds_load_b32 v92, v1
.LBB43_371:
	s_and_saveexec_b32 s5, s0
	s_cbranch_execz .LBB43_375
; %bb.372:
	v_add_nc_u32_e32 v93, -6, v0
	s_mov_b32 s0, 24
	s_movk_i32 s9, 0xc8
	s_mov_b32 s8, 0
.LBB43_373:                             ; =>This Inner Loop Header: Depth=1
	scratch_load_b32 v94, off, s0
	v_dual_mov_b32 v95, s9 :: v_dual_add_nc_u32 v93, -1, v93
	s_add_co_i32 s9, s9, 4
	s_wait_xcnt 0x0
	s_add_co_i32 s0, s0, 4
	ds_load_b32 v95, v95
	v_cmp_eq_u32_e32 vcc_lo, 0, v93
	s_or_b32 s8, vcc_lo, s8
	s_wait_loadcnt_dscnt 0x0
	v_fmac_f32_e32 v92, v94, v95
	s_and_not1_b32 exec_lo, exec_lo, s8
	s_cbranch_execnz .LBB43_373
; %bb.374:
	s_or_b32 exec_lo, exec_lo, s8
.LBB43_375:
	s_delay_alu instid0(SALU_CYCLE_1)
	s_or_b32 exec_lo, exec_lo, s5
	v_mov_b32_e32 v93, 0
	ds_load_b32 v93, v93 offset:20
	s_wait_dscnt 0x0
	v_mul_f32_e32 v92, v92, v93
	scratch_store_b32 off, v92, off offset:20
.LBB43_376:
	;; [unrolled: 58-line block ×3, first 2 shown]
	s_wait_xcnt 0x0
	s_or_b32 exec_lo, exec_lo, s2
	scratch_load_b32 v92, off, off offset:12
	v_cmp_lt_u32_e64 s2, 3, v0
	s_wait_loadcnt 0x0
	ds_store_b32 v1, v92
	s_wait_storecnt_dscnt 0x0
	s_barrier_signal -1
	s_barrier_wait -1
	s_wait_xcnt 0x0
	s_and_saveexec_b32 s1, s2
	s_cbranch_execz .LBB43_396
; %bb.387:
	s_and_not1_b32 vcc_lo, exec_lo, s3
	s_cbranch_vccnz .LBB43_389
; %bb.388:
	scratch_load_b32 v92, v7, off
	ds_load_b32 v93, v1
	s_wait_loadcnt_dscnt 0x0
	v_mul_f32_e32 v92, v92, v93
	s_cbranch_execz .LBB43_390
	s_branch .LBB43_391
.LBB43_389:
                                        ; implicit-def: $vgpr92
.LBB43_390:
	ds_load_b32 v92, v1
.LBB43_391:
	s_and_saveexec_b32 s5, s0
	s_cbranch_execz .LBB43_395
; %bb.392:
	v_add_nc_u32_e32 v93, -4, v0
	s_movk_i32 s8, 0xc0
	s_mov_b32 s0, 0
.LBB43_393:                             ; =>This Inner Loop Header: Depth=1
	scratch_load_b32 v94, off, s4
	v_dual_mov_b32 v95, s8 :: v_dual_add_nc_u32 v93, -1, v93
	s_add_co_i32 s8, s8, 4
	s_wait_xcnt 0x0
	s_add_co_i32 s4, s4, 4
	ds_load_b32 v95, v95
	v_cmp_eq_u32_e32 vcc_lo, 0, v93
	s_or_b32 s0, vcc_lo, s0
	s_wait_loadcnt_dscnt 0x0
	v_fmac_f32_e32 v92, v94, v95
	s_and_not1_b32 exec_lo, exec_lo, s0
	s_cbranch_execnz .LBB43_393
; %bb.394:
	s_or_b32 exec_lo, exec_lo, s0
.LBB43_395:
	s_delay_alu instid0(SALU_CYCLE_1)
	s_or_b32 exec_lo, exec_lo, s5
	v_mov_b32_e32 v93, 0
	ds_load_b32 v93, v93 offset:12
	s_wait_dscnt 0x0
	v_mul_f32_e32 v92, v92, v93
	scratch_store_b32 off, v92, off offset:12
.LBB43_396:
	s_wait_xcnt 0x0
	s_or_b32 exec_lo, exec_lo, s1
	scratch_load_b32 v92, off, off offset:8
	v_cmp_lt_u32_e64 s1, 2, v0
	s_wait_loadcnt 0x0
	ds_store_b32 v1, v92
	s_wait_storecnt_dscnt 0x0
	s_barrier_signal -1
	s_barrier_wait -1
	s_wait_xcnt 0x0
	s_and_saveexec_b32 s0, s1
	s_cbranch_execz .LBB43_406
; %bb.397:
	s_and_not1_b32 vcc_lo, exec_lo, s3
	s_cbranch_vccnz .LBB43_399
; %bb.398:
	scratch_load_b32 v92, v7, off
	ds_load_b32 v93, v1
	s_wait_loadcnt_dscnt 0x0
	v_mul_f32_e32 v92, v92, v93
	s_cbranch_execz .LBB43_400
	s_branch .LBB43_401
.LBB43_399:
                                        ; implicit-def: $vgpr92
.LBB43_400:
	ds_load_b32 v92, v1
.LBB43_401:
	s_and_saveexec_b32 s4, s2
	s_cbranch_execz .LBB43_405
; %bb.402:
	v_add_nc_u32_e32 v93, -3, v0
	s_or_b32 s2, 0, 12
	s_movk_i32 s8, 0xbc
	s_mov_b32 s5, 0
.LBB43_403:                             ; =>This Inner Loop Header: Depth=1
	scratch_load_b32 v94, off, s2
	v_dual_mov_b32 v95, s8 :: v_dual_add_nc_u32 v93, -1, v93
	s_add_co_i32 s8, s8, 4
	s_wait_xcnt 0x0
	s_add_co_i32 s2, s2, 4
	ds_load_b32 v95, v95
	v_cmp_eq_u32_e32 vcc_lo, 0, v93
	s_or_b32 s5, vcc_lo, s5
	s_wait_loadcnt_dscnt 0x0
	v_fmac_f32_e32 v92, v94, v95
	s_and_not1_b32 exec_lo, exec_lo, s5
	s_cbranch_execnz .LBB43_403
; %bb.404:
	s_or_b32 exec_lo, exec_lo, s5
.LBB43_405:
	s_delay_alu instid0(SALU_CYCLE_1)
	s_or_b32 exec_lo, exec_lo, s4
	v_mov_b32_e32 v93, 0
	ds_load_b32 v93, v93 offset:8
	s_wait_dscnt 0x0
	v_mul_f32_e32 v92, v92, v93
	scratch_store_b32 off, v92, off offset:8
.LBB43_406:
	s_wait_xcnt 0x0
	s_or_b32 exec_lo, exec_lo, s0
	scratch_load_b32 v92, off, off offset:4
	v_cmp_lt_u32_e64 s0, 1, v0
	s_wait_loadcnt 0x0
	ds_store_b32 v1, v92
	s_wait_storecnt_dscnt 0x0
	s_barrier_signal -1
	s_barrier_wait -1
	s_wait_xcnt 0x0
	s_and_saveexec_b32 s2, s0
	s_cbranch_execz .LBB43_416
; %bb.407:
	s_and_not1_b32 vcc_lo, exec_lo, s3
	s_cbranch_vccnz .LBB43_409
; %bb.408:
	scratch_load_b32 v92, v7, off
	ds_load_b32 v93, v1
	s_wait_loadcnt_dscnt 0x0
	v_mul_f32_e32 v92, v92, v93
	s_cbranch_execz .LBB43_410
	s_branch .LBB43_411
.LBB43_409:
                                        ; implicit-def: $vgpr92
.LBB43_410:
	ds_load_b32 v92, v1
.LBB43_411:
	s_and_saveexec_b32 s4, s1
	s_cbranch_execz .LBB43_415
; %bb.412:
	v_add_nc_u32_e32 v93, -2, v0
	s_or_b32 s1, 0, 8
	s_movk_i32 s8, 0xb8
	s_mov_b32 s5, 0
.LBB43_413:                             ; =>This Inner Loop Header: Depth=1
	scratch_load_b32 v94, off, s1
	v_dual_mov_b32 v95, s8 :: v_dual_add_nc_u32 v93, -1, v93
	s_add_co_i32 s8, s8, 4
	s_wait_xcnt 0x0
	s_add_co_i32 s1, s1, 4
	ds_load_b32 v95, v95
	v_cmp_eq_u32_e32 vcc_lo, 0, v93
	s_or_b32 s5, vcc_lo, s5
	s_wait_loadcnt_dscnt 0x0
	v_fmac_f32_e32 v92, v94, v95
	s_and_not1_b32 exec_lo, exec_lo, s5
	s_cbranch_execnz .LBB43_413
; %bb.414:
	s_or_b32 exec_lo, exec_lo, s5
.LBB43_415:
	s_delay_alu instid0(SALU_CYCLE_1)
	s_or_b32 exec_lo, exec_lo, s4
	v_mov_b32_e32 v93, 0
	ds_load_b32 v93, v93 offset:4
	s_wait_dscnt 0x0
	v_mul_f32_e32 v92, v92, v93
	scratch_store_b32 off, v92, off offset:4
.LBB43_416:
	s_wait_xcnt 0x0
	s_or_b32 exec_lo, exec_lo, s2
	scratch_load_b32 v92, off, off
	s_mov_b32 s1, 0
	s_mov_b32 s2, exec_lo
	s_wait_loadcnt 0x0
	ds_store_b32 v1, v92
	s_wait_storecnt_dscnt 0x0
	s_barrier_signal -1
	s_barrier_wait -1
	s_wait_xcnt 0x0
	v_cmpx_ne_u32_e32 0, v0
	s_cbranch_execz .LBB43_426
; %bb.417:
	s_and_not1_b32 vcc_lo, exec_lo, s3
	s_cbranch_vccnz .LBB43_419
; %bb.418:
	scratch_load_b32 v92, v7, off
	ds_load_b32 v93, v1
	s_wait_loadcnt_dscnt 0x0
	v_mul_f32_e32 v92, v92, v93
	s_cbranch_execz .LBB43_420
	s_branch .LBB43_421
.LBB43_419:
                                        ; implicit-def: $vgpr92
.LBB43_420:
	ds_load_b32 v92, v1
.LBB43_421:
	s_and_saveexec_b32 s4, s0
	s_cbranch_execz .LBB43_425
; %bb.422:
	v_add_nc_u32_e32 v93, -1, v0
	s_or_b32 s0, 0, 4
	s_movk_i32 s8, 0xb4
	s_mov_b32 s5, 0
.LBB43_423:                             ; =>This Inner Loop Header: Depth=1
	scratch_load_b32 v94, off, s0
	v_dual_mov_b32 v95, s8 :: v_dual_add_nc_u32 v93, -1, v93
	s_add_co_i32 s8, s8, 4
	s_wait_xcnt 0x0
	s_add_co_i32 s0, s0, 4
	ds_load_b32 v95, v95
	v_cmp_eq_u32_e32 vcc_lo, 0, v93
	s_or_b32 s5, vcc_lo, s5
	s_wait_loadcnt_dscnt 0x0
	v_fmac_f32_e32 v92, v94, v95
	s_and_not1_b32 exec_lo, exec_lo, s5
	s_cbranch_execnz .LBB43_423
; %bb.424:
	s_or_b32 exec_lo, exec_lo, s5
.LBB43_425:
	s_delay_alu instid0(SALU_CYCLE_1)
	s_or_b32 exec_lo, exec_lo, s4
	v_mov_b32_e32 v93, 0
	ds_load_b32 v93, v93
	s_wait_dscnt 0x0
	v_mul_f32_e32 v92, v92, v93
	scratch_store_b32 off, v92, off
.LBB43_426:
	s_wait_xcnt 0x0
	s_or_b32 exec_lo, exec_lo, s2
.LBB43_427:
	v_lshl_add_u64 v[100:101], v[8:9], 2, s[6:7]
	v_lshl_add_u64 v[102:103], v[10:11], 2, s[6:7]
	;; [unrolled: 1-line block ×42, first 2 shown]
	s_and_b32 vcc_lo, exec_lo, s1
	s_cbranch_vccz .LBB43_849
; %bb.428:
	scratch_load_b32 v80, off, off offset:4
	v_cmp_eq_u32_e64 s0, 0, v0
	s_wait_loadcnt 0x0
	ds_store_b32 v1, v80
	s_wait_storecnt_dscnt 0x0
	s_barrier_signal -1
	s_barrier_wait -1
	s_wait_xcnt 0x0
	s_and_saveexec_b32 s1, s0
	s_cbranch_execz .LBB43_434
; %bb.429:
	s_and_b32 vcc_lo, exec_lo, s3
	s_cbranch_vccz .LBB43_431
; %bb.430:
	scratch_load_b32 v80, v7, off
	ds_load_b32 v81, v1
	s_wait_loadcnt_dscnt 0x0
	v_mul_f32_e32 v80, v80, v81
	s_cbranch_execz .LBB43_432
	s_branch .LBB43_433
.LBB43_431:
                                        ; implicit-def: $vgpr80
.LBB43_432:
	ds_load_b32 v80, v1
.LBB43_433:
	v_mov_b32_e32 v81, 0
	ds_load_b32 v81, v81 offset:4
	s_wait_dscnt 0x0
	v_mul_f32_e32 v80, v80, v81
	scratch_store_b32 off, v80, off offset:4
.LBB43_434:
	s_wait_xcnt 0x0
	s_or_b32 exec_lo, exec_lo, s1
	scratch_load_b32 v81, off, off offset:8
	v_cndmask_b32_e64 v80, 0, 1, s3
	s_mov_b32 s1, exec_lo
	s_wait_loadcnt 0x0
	ds_store_b32 v1, v81
	s_wait_storecnt_dscnt 0x0
	s_barrier_signal -1
	s_barrier_wait -1
	s_wait_xcnt 0x0
	v_cmpx_gt_u32_e32 2, v0
	s_cbranch_execz .LBB43_440
; %bb.435:
	s_and_not1_b32 vcc_lo, exec_lo, s3
	s_cbranch_vccnz .LBB43_437
; %bb.436:
	scratch_load_b32 v81, v7, off
	ds_load_b32 v82, v1
	s_wait_loadcnt_dscnt 0x0
	v_mul_f32_e32 v81, v81, v82
	s_cbranch_execz .LBB43_438
	s_branch .LBB43_439
.LBB43_437:
                                        ; implicit-def: $vgpr81
.LBB43_438:
	ds_load_b32 v81, v1
.LBB43_439:
	scratch_load_b32 v84, off, off offset:4
	v_mov_b32_e32 v82, 0
	ds_load_2addr_b32 v[82:83], v82 offset0:2 offset1:45
	s_wait_loadcnt_dscnt 0x0
	v_fma_f32 v83, v84, v83, v81
	s_delay_alu instid0(VALU_DEP_1) | instskip(NEXT) | instid1(VALU_DEP_1)
	v_cndmask_b32_e64 v81, v81, v83, s0
	v_mul_f32_e32 v81, v81, v82
	scratch_store_b32 off, v81, off offset:8
.LBB43_440:
	s_wait_xcnt 0x0
	s_or_b32 exec_lo, exec_lo, s1
	scratch_load_b32 v81, off, off offset:12
	s_mov_b32 s1, exec_lo
	s_wait_loadcnt 0x0
	ds_store_b32 v1, v81
	s_wait_storecnt_dscnt 0x0
	s_barrier_signal -1
	s_barrier_wait -1
	s_wait_xcnt 0x0
	v_cmpx_gt_u32_e32 3, v0
	s_cbranch_execz .LBB43_448
; %bb.441:
	v_cmp_ne_u32_e32 vcc_lo, 1, v80
	s_cbranch_vccnz .LBB43_443
; %bb.442:
	scratch_load_b32 v81, v7, off
	ds_load_b32 v82, v1
	s_wait_loadcnt_dscnt 0x0
	v_mul_f32_e32 v81, v81, v82
	s_cbranch_execz .LBB43_444
	s_branch .LBB43_445
.LBB43_443:
                                        ; implicit-def: $vgpr81
.LBB43_444:
	ds_load_b32 v81, v1
.LBB43_445:
	s_mov_b32 s2, exec_lo
	v_cmpx_ne_u32_e32 2, v0
	s_cbranch_execz .LBB43_447
; %bb.446:
	scratch_load_b32 v82, v7, off offset:4
	scratch_load_b32 v83, off, off offset:8
	ds_load_b32 v84, v1 offset:4
	v_mov_b32_e32 v85, 0
	ds_load_b32 v85, v85 offset:184
	s_wait_loadcnt_dscnt 0x101
	v_fmac_f32_e32 v81, v82, v84
	s_wait_loadcnt_dscnt 0x0
	s_delay_alu instid0(VALU_DEP_1) | instskip(NEXT) | instid1(VALU_DEP_1)
	v_fma_f32 v82, v83, v85, v81
	v_cndmask_b32_e64 v81, v81, v82, s0
.LBB43_447:
	s_or_b32 exec_lo, exec_lo, s2
	v_mov_b32_e32 v82, 0
	ds_load_b32 v82, v82 offset:12
	s_wait_dscnt 0x0
	v_mul_f32_e32 v81, v81, v82
	scratch_store_b32 off, v81, off offset:12
.LBB43_448:
	s_wait_xcnt 0x0
	s_or_b32 exec_lo, exec_lo, s1
	scratch_load_b32 v81, off, off offset:16
	s_mov_b32 s0, exec_lo
	s_wait_loadcnt 0x0
	ds_store_b32 v1, v81
	s_wait_storecnt_dscnt 0x0
	s_barrier_signal -1
	s_barrier_wait -1
	s_wait_xcnt 0x0
	v_cmpx_gt_u32_e32 4, v0
	s_cbranch_execz .LBB43_458
; %bb.449:
	v_cmp_ne_u32_e32 vcc_lo, 1, v80
	s_cbranch_vccnz .LBB43_451
; %bb.450:
	scratch_load_b32 v81, v7, off
	ds_load_b32 v82, v1
	s_wait_loadcnt_dscnt 0x0
	v_mul_f32_e32 v81, v81, v82
	s_cbranch_execz .LBB43_452
	s_branch .LBB43_453
.LBB43_451:
                                        ; implicit-def: $vgpr81
.LBB43_452:
	ds_load_b32 v81, v1
.LBB43_453:
	s_mov_b32 s1, exec_lo
	v_cmpx_ne_u32_e32 3, v0
	s_cbranch_execz .LBB43_457
; %bb.454:
	v_add_nc_u32_e32 v82, 0xb4, v6
	v_add3_u32 v83, 0, v6, 4
	v_mov_b32_e32 v84, v0
	s_mov_b32 s2, 0
.LBB43_455:                             ; =>This Inner Loop Header: Depth=1
	scratch_load_b32 v85, v83, off
	ds_load_b32 v86, v82
	v_dual_add_nc_u32 v84, 1, v84 :: v_dual_add_nc_u32 v82, 4, v82
	s_wait_xcnt 0x0
	v_add_nc_u32_e32 v83, 4, v83
	s_delay_alu instid0(VALU_DEP_2)
	v_cmp_lt_u32_e32 vcc_lo, 2, v84
	s_or_b32 s2, vcc_lo, s2
	s_wait_loadcnt_dscnt 0x0
	v_fmac_f32_e32 v81, v85, v86
	s_and_not1_b32 exec_lo, exec_lo, s2
	s_cbranch_execnz .LBB43_455
; %bb.456:
	s_or_b32 exec_lo, exec_lo, s2
.LBB43_457:
	s_delay_alu instid0(SALU_CYCLE_1)
	s_or_b32 exec_lo, exec_lo, s1
	v_mov_b32_e32 v82, 0
	ds_load_b32 v82, v82 offset:16
	s_wait_dscnt 0x0
	v_mul_f32_e32 v81, v81, v82
	scratch_store_b32 off, v81, off offset:16
.LBB43_458:
	s_wait_xcnt 0x0
	s_or_b32 exec_lo, exec_lo, s0
	scratch_load_b32 v81, off, off offset:20
	s_mov_b32 s0, exec_lo
	s_wait_loadcnt 0x0
	ds_store_b32 v1, v81
	s_wait_storecnt_dscnt 0x0
	s_barrier_signal -1
	s_barrier_wait -1
	s_wait_xcnt 0x0
	v_cmpx_gt_u32_e32 5, v0
	s_cbranch_execz .LBB43_468
; %bb.459:
	v_cmp_ne_u32_e32 vcc_lo, 1, v80
	s_cbranch_vccnz .LBB43_461
; %bb.460:
	scratch_load_b32 v81, v7, off
	ds_load_b32 v82, v1
	s_wait_loadcnt_dscnt 0x0
	v_mul_f32_e32 v81, v81, v82
	s_cbranch_execz .LBB43_462
	s_branch .LBB43_463
.LBB43_461:
                                        ; implicit-def: $vgpr81
.LBB43_462:
	ds_load_b32 v81, v1
.LBB43_463:
	s_mov_b32 s1, exec_lo
	v_cmpx_ne_u32_e32 4, v0
	s_cbranch_execz .LBB43_467
; %bb.464:
	v_add_nc_u32_e32 v82, 0xb4, v6
	v_add3_u32 v83, 0, v6, 4
	v_mov_b32_e32 v84, v0
	s_mov_b32 s2, 0
.LBB43_465:                             ; =>This Inner Loop Header: Depth=1
	scratch_load_b32 v85, v83, off
	ds_load_b32 v86, v82
	v_dual_add_nc_u32 v84, 1, v84 :: v_dual_add_nc_u32 v82, 4, v82
	s_wait_xcnt 0x0
	v_add_nc_u32_e32 v83, 4, v83
	s_delay_alu instid0(VALU_DEP_2)
	v_cmp_lt_u32_e32 vcc_lo, 3, v84
	s_or_b32 s2, vcc_lo, s2
	s_wait_loadcnt_dscnt 0x0
	v_fmac_f32_e32 v81, v85, v86
	s_and_not1_b32 exec_lo, exec_lo, s2
	s_cbranch_execnz .LBB43_465
; %bb.466:
	s_or_b32 exec_lo, exec_lo, s2
.LBB43_467:
	s_delay_alu instid0(SALU_CYCLE_1)
	s_or_b32 exec_lo, exec_lo, s1
	v_mov_b32_e32 v82, 0
	ds_load_b32 v82, v82 offset:20
	s_wait_dscnt 0x0
	v_mul_f32_e32 v81, v81, v82
	scratch_store_b32 off, v81, off offset:20
.LBB43_468:
	s_wait_xcnt 0x0
	s_or_b32 exec_lo, exec_lo, s0
	scratch_load_b32 v81, off, off offset:24
	s_mov_b32 s0, exec_lo
	s_wait_loadcnt 0x0
	ds_store_b32 v1, v81
	s_wait_storecnt_dscnt 0x0
	s_barrier_signal -1
	s_barrier_wait -1
	s_wait_xcnt 0x0
	v_cmpx_gt_u32_e32 6, v0
	s_cbranch_execz .LBB43_478
; %bb.469:
	v_cmp_ne_u32_e32 vcc_lo, 1, v80
	s_cbranch_vccnz .LBB43_471
; %bb.470:
	scratch_load_b32 v81, v7, off
	ds_load_b32 v82, v1
	s_wait_loadcnt_dscnt 0x0
	v_mul_f32_e32 v81, v81, v82
	s_cbranch_execz .LBB43_472
	s_branch .LBB43_473
.LBB43_471:
                                        ; implicit-def: $vgpr81
.LBB43_472:
	ds_load_b32 v81, v1
.LBB43_473:
	s_mov_b32 s1, exec_lo
	v_cmpx_ne_u32_e32 5, v0
	s_cbranch_execz .LBB43_477
; %bb.474:
	v_add_nc_u32_e32 v82, 0xb4, v6
	v_add3_u32 v83, 0, v6, 4
	v_mov_b32_e32 v84, v0
	s_mov_b32 s2, 0
.LBB43_475:                             ; =>This Inner Loop Header: Depth=1
	scratch_load_b32 v85, v83, off
	ds_load_b32 v86, v82
	v_dual_add_nc_u32 v84, 1, v84 :: v_dual_add_nc_u32 v82, 4, v82
	s_wait_xcnt 0x0
	v_add_nc_u32_e32 v83, 4, v83
	s_delay_alu instid0(VALU_DEP_2)
	v_cmp_lt_u32_e32 vcc_lo, 4, v84
	s_or_b32 s2, vcc_lo, s2
	s_wait_loadcnt_dscnt 0x0
	v_fmac_f32_e32 v81, v85, v86
	s_and_not1_b32 exec_lo, exec_lo, s2
	s_cbranch_execnz .LBB43_475
; %bb.476:
	s_or_b32 exec_lo, exec_lo, s2
.LBB43_477:
	s_delay_alu instid0(SALU_CYCLE_1)
	s_or_b32 exec_lo, exec_lo, s1
	v_mov_b32_e32 v82, 0
	ds_load_b32 v82, v82 offset:24
	s_wait_dscnt 0x0
	v_mul_f32_e32 v81, v81, v82
	scratch_store_b32 off, v81, off offset:24
.LBB43_478:
	s_wait_xcnt 0x0
	s_or_b32 exec_lo, exec_lo, s0
	scratch_load_b32 v81, off, off offset:28
	s_mov_b32 s0, exec_lo
	s_wait_loadcnt 0x0
	ds_store_b32 v1, v81
	s_wait_storecnt_dscnt 0x0
	s_barrier_signal -1
	s_barrier_wait -1
	s_wait_xcnt 0x0
	v_cmpx_gt_u32_e32 7, v0
	s_cbranch_execz .LBB43_488
; %bb.479:
	v_cmp_ne_u32_e32 vcc_lo, 1, v80
	s_cbranch_vccnz .LBB43_481
; %bb.480:
	scratch_load_b32 v81, v7, off
	ds_load_b32 v82, v1
	s_wait_loadcnt_dscnt 0x0
	v_mul_f32_e32 v81, v81, v82
	s_cbranch_execz .LBB43_482
	s_branch .LBB43_483
.LBB43_481:
                                        ; implicit-def: $vgpr81
.LBB43_482:
	ds_load_b32 v81, v1
.LBB43_483:
	s_mov_b32 s1, exec_lo
	v_cmpx_ne_u32_e32 6, v0
	s_cbranch_execz .LBB43_487
; %bb.484:
	v_add_nc_u32_e32 v82, 0xb4, v6
	v_add3_u32 v83, 0, v6, 4
	v_mov_b32_e32 v84, v0
	s_mov_b32 s2, 0
.LBB43_485:                             ; =>This Inner Loop Header: Depth=1
	scratch_load_b32 v85, v83, off
	ds_load_b32 v86, v82
	v_dual_add_nc_u32 v84, 1, v84 :: v_dual_add_nc_u32 v82, 4, v82
	s_wait_xcnt 0x0
	v_add_nc_u32_e32 v83, 4, v83
	s_delay_alu instid0(VALU_DEP_2)
	v_cmp_lt_u32_e32 vcc_lo, 5, v84
	s_or_b32 s2, vcc_lo, s2
	s_wait_loadcnt_dscnt 0x0
	v_fmac_f32_e32 v81, v85, v86
	s_and_not1_b32 exec_lo, exec_lo, s2
	s_cbranch_execnz .LBB43_485
; %bb.486:
	s_or_b32 exec_lo, exec_lo, s2
.LBB43_487:
	s_delay_alu instid0(SALU_CYCLE_1)
	s_or_b32 exec_lo, exec_lo, s1
	v_mov_b32_e32 v82, 0
	ds_load_b32 v82, v82 offset:28
	s_wait_dscnt 0x0
	v_mul_f32_e32 v81, v81, v82
	scratch_store_b32 off, v81, off offset:28
.LBB43_488:
	s_wait_xcnt 0x0
	s_or_b32 exec_lo, exec_lo, s0
	scratch_load_b32 v81, off, off offset:32
	s_mov_b32 s0, exec_lo
	s_wait_loadcnt 0x0
	ds_store_b32 v1, v81
	s_wait_storecnt_dscnt 0x0
	s_barrier_signal -1
	s_barrier_wait -1
	s_wait_xcnt 0x0
	v_cmpx_gt_u32_e32 8, v0
	s_cbranch_execz .LBB43_498
; %bb.489:
	v_cmp_ne_u32_e32 vcc_lo, 1, v80
	s_cbranch_vccnz .LBB43_491
; %bb.490:
	scratch_load_b32 v81, v7, off
	ds_load_b32 v82, v1
	s_wait_loadcnt_dscnt 0x0
	v_mul_f32_e32 v81, v81, v82
	s_cbranch_execz .LBB43_492
	s_branch .LBB43_493
.LBB43_491:
                                        ; implicit-def: $vgpr81
.LBB43_492:
	ds_load_b32 v81, v1
.LBB43_493:
	s_mov_b32 s1, exec_lo
	v_cmpx_ne_u32_e32 7, v0
	s_cbranch_execz .LBB43_497
; %bb.494:
	v_add_nc_u32_e32 v82, 0xb4, v6
	v_add3_u32 v83, 0, v6, 4
	v_mov_b32_e32 v84, v0
	s_mov_b32 s2, 0
.LBB43_495:                             ; =>This Inner Loop Header: Depth=1
	scratch_load_b32 v85, v83, off
	ds_load_b32 v86, v82
	v_dual_add_nc_u32 v84, 1, v84 :: v_dual_add_nc_u32 v82, 4, v82
	s_wait_xcnt 0x0
	v_add_nc_u32_e32 v83, 4, v83
	s_delay_alu instid0(VALU_DEP_2)
	v_cmp_lt_u32_e32 vcc_lo, 6, v84
	s_or_b32 s2, vcc_lo, s2
	s_wait_loadcnt_dscnt 0x0
	v_fmac_f32_e32 v81, v85, v86
	s_and_not1_b32 exec_lo, exec_lo, s2
	s_cbranch_execnz .LBB43_495
; %bb.496:
	s_or_b32 exec_lo, exec_lo, s2
.LBB43_497:
	s_delay_alu instid0(SALU_CYCLE_1)
	s_or_b32 exec_lo, exec_lo, s1
	v_mov_b32_e32 v82, 0
	ds_load_b32 v82, v82 offset:32
	s_wait_dscnt 0x0
	v_mul_f32_e32 v81, v81, v82
	scratch_store_b32 off, v81, off offset:32
.LBB43_498:
	s_wait_xcnt 0x0
	s_or_b32 exec_lo, exec_lo, s0
	scratch_load_b32 v81, off, off offset:36
	s_mov_b32 s0, exec_lo
	s_wait_loadcnt 0x0
	ds_store_b32 v1, v81
	s_wait_storecnt_dscnt 0x0
	s_barrier_signal -1
	s_barrier_wait -1
	s_wait_xcnt 0x0
	v_cmpx_gt_u32_e32 9, v0
	s_cbranch_execz .LBB43_508
; %bb.499:
	v_cmp_ne_u32_e32 vcc_lo, 1, v80
	s_cbranch_vccnz .LBB43_501
; %bb.500:
	scratch_load_b32 v81, v7, off
	ds_load_b32 v82, v1
	s_wait_loadcnt_dscnt 0x0
	v_mul_f32_e32 v81, v81, v82
	s_cbranch_execz .LBB43_502
	s_branch .LBB43_503
.LBB43_501:
                                        ; implicit-def: $vgpr81
.LBB43_502:
	ds_load_b32 v81, v1
.LBB43_503:
	s_mov_b32 s1, exec_lo
	v_cmpx_ne_u32_e32 8, v0
	s_cbranch_execz .LBB43_507
; %bb.504:
	v_add_nc_u32_e32 v82, 0xb4, v6
	v_add3_u32 v83, 0, v6, 4
	v_mov_b32_e32 v84, v0
	s_mov_b32 s2, 0
.LBB43_505:                             ; =>This Inner Loop Header: Depth=1
	scratch_load_b32 v85, v83, off
	ds_load_b32 v86, v82
	v_dual_add_nc_u32 v84, 1, v84 :: v_dual_add_nc_u32 v82, 4, v82
	s_wait_xcnt 0x0
	v_add_nc_u32_e32 v83, 4, v83
	s_delay_alu instid0(VALU_DEP_2)
	v_cmp_lt_u32_e32 vcc_lo, 7, v84
	s_or_b32 s2, vcc_lo, s2
	s_wait_loadcnt_dscnt 0x0
	v_fmac_f32_e32 v81, v85, v86
	s_and_not1_b32 exec_lo, exec_lo, s2
	s_cbranch_execnz .LBB43_505
; %bb.506:
	s_or_b32 exec_lo, exec_lo, s2
.LBB43_507:
	s_delay_alu instid0(SALU_CYCLE_1)
	s_or_b32 exec_lo, exec_lo, s1
	v_mov_b32_e32 v82, 0
	ds_load_b32 v82, v82 offset:36
	s_wait_dscnt 0x0
	v_mul_f32_e32 v81, v81, v82
	scratch_store_b32 off, v81, off offset:36
.LBB43_508:
	s_wait_xcnt 0x0
	s_or_b32 exec_lo, exec_lo, s0
	scratch_load_b32 v81, off, off offset:40
	s_mov_b32 s0, exec_lo
	s_wait_loadcnt 0x0
	ds_store_b32 v1, v81
	s_wait_storecnt_dscnt 0x0
	s_barrier_signal -1
	s_barrier_wait -1
	s_wait_xcnt 0x0
	v_cmpx_gt_u32_e32 10, v0
	s_cbranch_execz .LBB43_518
; %bb.509:
	v_cmp_ne_u32_e32 vcc_lo, 1, v80
	s_cbranch_vccnz .LBB43_511
; %bb.510:
	scratch_load_b32 v81, v7, off
	ds_load_b32 v82, v1
	s_wait_loadcnt_dscnt 0x0
	v_mul_f32_e32 v81, v81, v82
	s_cbranch_execz .LBB43_512
	s_branch .LBB43_513
.LBB43_511:
                                        ; implicit-def: $vgpr81
.LBB43_512:
	ds_load_b32 v81, v1
.LBB43_513:
	s_mov_b32 s1, exec_lo
	v_cmpx_ne_u32_e32 9, v0
	s_cbranch_execz .LBB43_517
; %bb.514:
	v_add_nc_u32_e32 v82, 0xb4, v6
	v_add3_u32 v83, 0, v6, 4
	v_mov_b32_e32 v84, v0
	s_mov_b32 s2, 0
.LBB43_515:                             ; =>This Inner Loop Header: Depth=1
	scratch_load_b32 v85, v83, off
	ds_load_b32 v86, v82
	v_dual_add_nc_u32 v84, 1, v84 :: v_dual_add_nc_u32 v82, 4, v82
	s_wait_xcnt 0x0
	v_add_nc_u32_e32 v83, 4, v83
	s_delay_alu instid0(VALU_DEP_2)
	v_cmp_lt_u32_e32 vcc_lo, 8, v84
	s_or_b32 s2, vcc_lo, s2
	s_wait_loadcnt_dscnt 0x0
	v_fmac_f32_e32 v81, v85, v86
	s_and_not1_b32 exec_lo, exec_lo, s2
	s_cbranch_execnz .LBB43_515
; %bb.516:
	s_or_b32 exec_lo, exec_lo, s2
.LBB43_517:
	s_delay_alu instid0(SALU_CYCLE_1)
	s_or_b32 exec_lo, exec_lo, s1
	v_mov_b32_e32 v82, 0
	ds_load_b32 v82, v82 offset:40
	s_wait_dscnt 0x0
	v_mul_f32_e32 v81, v81, v82
	scratch_store_b32 off, v81, off offset:40
.LBB43_518:
	s_wait_xcnt 0x0
	s_or_b32 exec_lo, exec_lo, s0
	scratch_load_b32 v81, off, off offset:44
	s_mov_b32 s0, exec_lo
	s_wait_loadcnt 0x0
	ds_store_b32 v1, v81
	s_wait_storecnt_dscnt 0x0
	s_barrier_signal -1
	s_barrier_wait -1
	s_wait_xcnt 0x0
	v_cmpx_gt_u32_e32 11, v0
	s_cbranch_execz .LBB43_528
; %bb.519:
	v_cmp_ne_u32_e32 vcc_lo, 1, v80
	s_cbranch_vccnz .LBB43_521
; %bb.520:
	scratch_load_b32 v81, v7, off
	ds_load_b32 v82, v1
	s_wait_loadcnt_dscnt 0x0
	v_mul_f32_e32 v81, v81, v82
	s_cbranch_execz .LBB43_522
	s_branch .LBB43_523
.LBB43_521:
                                        ; implicit-def: $vgpr81
.LBB43_522:
	ds_load_b32 v81, v1
.LBB43_523:
	s_mov_b32 s1, exec_lo
	v_cmpx_ne_u32_e32 10, v0
	s_cbranch_execz .LBB43_527
; %bb.524:
	v_add_nc_u32_e32 v82, 0xb4, v6
	v_add3_u32 v83, 0, v6, 4
	v_mov_b32_e32 v84, v0
	s_mov_b32 s2, 0
.LBB43_525:                             ; =>This Inner Loop Header: Depth=1
	scratch_load_b32 v85, v83, off
	ds_load_b32 v86, v82
	v_dual_add_nc_u32 v84, 1, v84 :: v_dual_add_nc_u32 v82, 4, v82
	s_wait_xcnt 0x0
	v_add_nc_u32_e32 v83, 4, v83
	s_delay_alu instid0(VALU_DEP_2)
	v_cmp_lt_u32_e32 vcc_lo, 9, v84
	s_or_b32 s2, vcc_lo, s2
	s_wait_loadcnt_dscnt 0x0
	v_fmac_f32_e32 v81, v85, v86
	s_and_not1_b32 exec_lo, exec_lo, s2
	s_cbranch_execnz .LBB43_525
; %bb.526:
	s_or_b32 exec_lo, exec_lo, s2
.LBB43_527:
	s_delay_alu instid0(SALU_CYCLE_1)
	s_or_b32 exec_lo, exec_lo, s1
	v_mov_b32_e32 v82, 0
	ds_load_b32 v82, v82 offset:44
	s_wait_dscnt 0x0
	v_mul_f32_e32 v81, v81, v82
	scratch_store_b32 off, v81, off offset:44
.LBB43_528:
	s_wait_xcnt 0x0
	s_or_b32 exec_lo, exec_lo, s0
	scratch_load_b32 v81, off, off offset:48
	s_mov_b32 s0, exec_lo
	s_wait_loadcnt 0x0
	ds_store_b32 v1, v81
	s_wait_storecnt_dscnt 0x0
	s_barrier_signal -1
	s_barrier_wait -1
	s_wait_xcnt 0x0
	v_cmpx_gt_u32_e32 12, v0
	s_cbranch_execz .LBB43_538
; %bb.529:
	v_cmp_ne_u32_e32 vcc_lo, 1, v80
	s_cbranch_vccnz .LBB43_531
; %bb.530:
	scratch_load_b32 v81, v7, off
	ds_load_b32 v82, v1
	s_wait_loadcnt_dscnt 0x0
	v_mul_f32_e32 v81, v81, v82
	s_cbranch_execz .LBB43_532
	s_branch .LBB43_533
.LBB43_531:
                                        ; implicit-def: $vgpr81
.LBB43_532:
	ds_load_b32 v81, v1
.LBB43_533:
	s_mov_b32 s1, exec_lo
	v_cmpx_ne_u32_e32 11, v0
	s_cbranch_execz .LBB43_537
; %bb.534:
	v_add_nc_u32_e32 v82, 0xb4, v6
	v_add3_u32 v83, 0, v6, 4
	v_mov_b32_e32 v84, v0
	s_mov_b32 s2, 0
.LBB43_535:                             ; =>This Inner Loop Header: Depth=1
	scratch_load_b32 v85, v83, off
	ds_load_b32 v86, v82
	v_dual_add_nc_u32 v84, 1, v84 :: v_dual_add_nc_u32 v82, 4, v82
	s_wait_xcnt 0x0
	v_add_nc_u32_e32 v83, 4, v83
	s_delay_alu instid0(VALU_DEP_2)
	v_cmp_lt_u32_e32 vcc_lo, 10, v84
	s_or_b32 s2, vcc_lo, s2
	s_wait_loadcnt_dscnt 0x0
	v_fmac_f32_e32 v81, v85, v86
	s_and_not1_b32 exec_lo, exec_lo, s2
	s_cbranch_execnz .LBB43_535
; %bb.536:
	s_or_b32 exec_lo, exec_lo, s2
.LBB43_537:
	s_delay_alu instid0(SALU_CYCLE_1)
	s_or_b32 exec_lo, exec_lo, s1
	v_mov_b32_e32 v82, 0
	ds_load_b32 v82, v82 offset:48
	s_wait_dscnt 0x0
	v_mul_f32_e32 v81, v81, v82
	scratch_store_b32 off, v81, off offset:48
.LBB43_538:
	s_wait_xcnt 0x0
	s_or_b32 exec_lo, exec_lo, s0
	scratch_load_b32 v81, off, off offset:52
	s_mov_b32 s0, exec_lo
	s_wait_loadcnt 0x0
	ds_store_b32 v1, v81
	s_wait_storecnt_dscnt 0x0
	s_barrier_signal -1
	s_barrier_wait -1
	s_wait_xcnt 0x0
	v_cmpx_gt_u32_e32 13, v0
	s_cbranch_execz .LBB43_548
; %bb.539:
	v_cmp_ne_u32_e32 vcc_lo, 1, v80
	s_cbranch_vccnz .LBB43_541
; %bb.540:
	scratch_load_b32 v81, v7, off
	ds_load_b32 v82, v1
	s_wait_loadcnt_dscnt 0x0
	v_mul_f32_e32 v81, v81, v82
	s_cbranch_execz .LBB43_542
	s_branch .LBB43_543
.LBB43_541:
                                        ; implicit-def: $vgpr81
.LBB43_542:
	ds_load_b32 v81, v1
.LBB43_543:
	s_mov_b32 s1, exec_lo
	v_cmpx_ne_u32_e32 12, v0
	s_cbranch_execz .LBB43_547
; %bb.544:
	v_add_nc_u32_e32 v82, 0xb4, v6
	v_add3_u32 v83, 0, v6, 4
	v_mov_b32_e32 v84, v0
	s_mov_b32 s2, 0
.LBB43_545:                             ; =>This Inner Loop Header: Depth=1
	scratch_load_b32 v85, v83, off
	ds_load_b32 v86, v82
	v_dual_add_nc_u32 v84, 1, v84 :: v_dual_add_nc_u32 v82, 4, v82
	s_wait_xcnt 0x0
	v_add_nc_u32_e32 v83, 4, v83
	s_delay_alu instid0(VALU_DEP_2)
	v_cmp_lt_u32_e32 vcc_lo, 11, v84
	s_or_b32 s2, vcc_lo, s2
	s_wait_loadcnt_dscnt 0x0
	v_fmac_f32_e32 v81, v85, v86
	s_and_not1_b32 exec_lo, exec_lo, s2
	s_cbranch_execnz .LBB43_545
; %bb.546:
	s_or_b32 exec_lo, exec_lo, s2
.LBB43_547:
	s_delay_alu instid0(SALU_CYCLE_1)
	s_or_b32 exec_lo, exec_lo, s1
	v_mov_b32_e32 v82, 0
	ds_load_b32 v82, v82 offset:52
	s_wait_dscnt 0x0
	v_mul_f32_e32 v81, v81, v82
	scratch_store_b32 off, v81, off offset:52
.LBB43_548:
	s_wait_xcnt 0x0
	s_or_b32 exec_lo, exec_lo, s0
	scratch_load_b32 v81, off, off offset:56
	s_mov_b32 s0, exec_lo
	s_wait_loadcnt 0x0
	ds_store_b32 v1, v81
	s_wait_storecnt_dscnt 0x0
	s_barrier_signal -1
	s_barrier_wait -1
	s_wait_xcnt 0x0
	v_cmpx_gt_u32_e32 14, v0
	s_cbranch_execz .LBB43_558
; %bb.549:
	v_cmp_ne_u32_e32 vcc_lo, 1, v80
	s_cbranch_vccnz .LBB43_551
; %bb.550:
	scratch_load_b32 v81, v7, off
	ds_load_b32 v82, v1
	s_wait_loadcnt_dscnt 0x0
	v_mul_f32_e32 v81, v81, v82
	s_cbranch_execz .LBB43_552
	s_branch .LBB43_553
.LBB43_551:
                                        ; implicit-def: $vgpr81
.LBB43_552:
	ds_load_b32 v81, v1
.LBB43_553:
	s_mov_b32 s1, exec_lo
	v_cmpx_ne_u32_e32 13, v0
	s_cbranch_execz .LBB43_557
; %bb.554:
	v_add_nc_u32_e32 v82, 0xb4, v6
	v_add3_u32 v83, 0, v6, 4
	v_mov_b32_e32 v84, v0
	s_mov_b32 s2, 0
.LBB43_555:                             ; =>This Inner Loop Header: Depth=1
	scratch_load_b32 v85, v83, off
	ds_load_b32 v86, v82
	v_dual_add_nc_u32 v84, 1, v84 :: v_dual_add_nc_u32 v82, 4, v82
	s_wait_xcnt 0x0
	v_add_nc_u32_e32 v83, 4, v83
	s_delay_alu instid0(VALU_DEP_2)
	v_cmp_lt_u32_e32 vcc_lo, 12, v84
	s_or_b32 s2, vcc_lo, s2
	s_wait_loadcnt_dscnt 0x0
	v_fmac_f32_e32 v81, v85, v86
	s_and_not1_b32 exec_lo, exec_lo, s2
	s_cbranch_execnz .LBB43_555
; %bb.556:
	s_or_b32 exec_lo, exec_lo, s2
.LBB43_557:
	s_delay_alu instid0(SALU_CYCLE_1)
	s_or_b32 exec_lo, exec_lo, s1
	v_mov_b32_e32 v82, 0
	ds_load_b32 v82, v82 offset:56
	s_wait_dscnt 0x0
	v_mul_f32_e32 v81, v81, v82
	scratch_store_b32 off, v81, off offset:56
.LBB43_558:
	s_wait_xcnt 0x0
	s_or_b32 exec_lo, exec_lo, s0
	scratch_load_b32 v81, off, off offset:60
	s_mov_b32 s0, exec_lo
	s_wait_loadcnt 0x0
	ds_store_b32 v1, v81
	s_wait_storecnt_dscnt 0x0
	s_barrier_signal -1
	s_barrier_wait -1
	s_wait_xcnt 0x0
	v_cmpx_gt_u32_e32 15, v0
	s_cbranch_execz .LBB43_568
; %bb.559:
	v_cmp_ne_u32_e32 vcc_lo, 1, v80
	s_cbranch_vccnz .LBB43_561
; %bb.560:
	scratch_load_b32 v81, v7, off
	ds_load_b32 v82, v1
	s_wait_loadcnt_dscnt 0x0
	v_mul_f32_e32 v81, v81, v82
	s_cbranch_execz .LBB43_562
	s_branch .LBB43_563
.LBB43_561:
                                        ; implicit-def: $vgpr81
.LBB43_562:
	ds_load_b32 v81, v1
.LBB43_563:
	s_mov_b32 s1, exec_lo
	v_cmpx_ne_u32_e32 14, v0
	s_cbranch_execz .LBB43_567
; %bb.564:
	v_add_nc_u32_e32 v82, 0xb4, v6
	v_add3_u32 v83, 0, v6, 4
	v_mov_b32_e32 v84, v0
	s_mov_b32 s2, 0
.LBB43_565:                             ; =>This Inner Loop Header: Depth=1
	scratch_load_b32 v85, v83, off
	ds_load_b32 v86, v82
	v_dual_add_nc_u32 v84, 1, v84 :: v_dual_add_nc_u32 v82, 4, v82
	s_wait_xcnt 0x0
	v_add_nc_u32_e32 v83, 4, v83
	s_delay_alu instid0(VALU_DEP_2)
	v_cmp_lt_u32_e32 vcc_lo, 13, v84
	s_or_b32 s2, vcc_lo, s2
	s_wait_loadcnt_dscnt 0x0
	v_fmac_f32_e32 v81, v85, v86
	s_and_not1_b32 exec_lo, exec_lo, s2
	s_cbranch_execnz .LBB43_565
; %bb.566:
	s_or_b32 exec_lo, exec_lo, s2
.LBB43_567:
	s_delay_alu instid0(SALU_CYCLE_1)
	s_or_b32 exec_lo, exec_lo, s1
	v_mov_b32_e32 v82, 0
	ds_load_b32 v82, v82 offset:60
	s_wait_dscnt 0x0
	v_mul_f32_e32 v81, v81, v82
	scratch_store_b32 off, v81, off offset:60
.LBB43_568:
	s_wait_xcnt 0x0
	s_or_b32 exec_lo, exec_lo, s0
	scratch_load_b32 v81, off, off offset:64
	s_mov_b32 s0, exec_lo
	s_wait_loadcnt 0x0
	ds_store_b32 v1, v81
	s_wait_storecnt_dscnt 0x0
	s_barrier_signal -1
	s_barrier_wait -1
	s_wait_xcnt 0x0
	v_cmpx_gt_u32_e32 16, v0
	s_cbranch_execz .LBB43_578
; %bb.569:
	v_cmp_ne_u32_e32 vcc_lo, 1, v80
	s_cbranch_vccnz .LBB43_571
; %bb.570:
	scratch_load_b32 v81, v7, off
	ds_load_b32 v82, v1
	s_wait_loadcnt_dscnt 0x0
	v_mul_f32_e32 v81, v81, v82
	s_cbranch_execz .LBB43_572
	s_branch .LBB43_573
.LBB43_571:
                                        ; implicit-def: $vgpr81
.LBB43_572:
	ds_load_b32 v81, v1
.LBB43_573:
	s_mov_b32 s1, exec_lo
	v_cmpx_ne_u32_e32 15, v0
	s_cbranch_execz .LBB43_577
; %bb.574:
	v_add_nc_u32_e32 v82, 0xb4, v6
	v_add3_u32 v83, 0, v6, 4
	v_mov_b32_e32 v84, v0
	s_mov_b32 s2, 0
.LBB43_575:                             ; =>This Inner Loop Header: Depth=1
	scratch_load_b32 v85, v83, off
	ds_load_b32 v86, v82
	v_dual_add_nc_u32 v84, 1, v84 :: v_dual_add_nc_u32 v82, 4, v82
	s_wait_xcnt 0x0
	v_add_nc_u32_e32 v83, 4, v83
	s_delay_alu instid0(VALU_DEP_2)
	v_cmp_lt_u32_e32 vcc_lo, 14, v84
	s_or_b32 s2, vcc_lo, s2
	s_wait_loadcnt_dscnt 0x0
	v_fmac_f32_e32 v81, v85, v86
	s_and_not1_b32 exec_lo, exec_lo, s2
	s_cbranch_execnz .LBB43_575
; %bb.576:
	s_or_b32 exec_lo, exec_lo, s2
.LBB43_577:
	s_delay_alu instid0(SALU_CYCLE_1)
	s_or_b32 exec_lo, exec_lo, s1
	v_mov_b32_e32 v82, 0
	ds_load_b32 v82, v82 offset:64
	s_wait_dscnt 0x0
	v_mul_f32_e32 v81, v81, v82
	scratch_store_b32 off, v81, off offset:64
.LBB43_578:
	s_wait_xcnt 0x0
	s_or_b32 exec_lo, exec_lo, s0
	scratch_load_b32 v81, off, off offset:68
	s_mov_b32 s0, exec_lo
	s_wait_loadcnt 0x0
	ds_store_b32 v1, v81
	s_wait_storecnt_dscnt 0x0
	s_barrier_signal -1
	s_barrier_wait -1
	s_wait_xcnt 0x0
	v_cmpx_gt_u32_e32 17, v0
	s_cbranch_execz .LBB43_588
; %bb.579:
	v_cmp_ne_u32_e32 vcc_lo, 1, v80
	s_cbranch_vccnz .LBB43_581
; %bb.580:
	scratch_load_b32 v81, v7, off
	ds_load_b32 v82, v1
	s_wait_loadcnt_dscnt 0x0
	v_mul_f32_e32 v81, v81, v82
	s_cbranch_execz .LBB43_582
	s_branch .LBB43_583
.LBB43_581:
                                        ; implicit-def: $vgpr81
.LBB43_582:
	ds_load_b32 v81, v1
.LBB43_583:
	s_mov_b32 s1, exec_lo
	v_cmpx_ne_u32_e32 16, v0
	s_cbranch_execz .LBB43_587
; %bb.584:
	v_add_nc_u32_e32 v82, 0xb4, v6
	v_add3_u32 v83, 0, v6, 4
	v_mov_b32_e32 v84, v0
	s_mov_b32 s2, 0
.LBB43_585:                             ; =>This Inner Loop Header: Depth=1
	scratch_load_b32 v85, v83, off
	ds_load_b32 v86, v82
	v_dual_add_nc_u32 v84, 1, v84 :: v_dual_add_nc_u32 v82, 4, v82
	s_wait_xcnt 0x0
	v_add_nc_u32_e32 v83, 4, v83
	s_delay_alu instid0(VALU_DEP_2)
	v_cmp_lt_u32_e32 vcc_lo, 15, v84
	s_or_b32 s2, vcc_lo, s2
	s_wait_loadcnt_dscnt 0x0
	v_fmac_f32_e32 v81, v85, v86
	s_and_not1_b32 exec_lo, exec_lo, s2
	s_cbranch_execnz .LBB43_585
; %bb.586:
	s_or_b32 exec_lo, exec_lo, s2
.LBB43_587:
	s_delay_alu instid0(SALU_CYCLE_1)
	s_or_b32 exec_lo, exec_lo, s1
	v_mov_b32_e32 v82, 0
	ds_load_b32 v82, v82 offset:68
	s_wait_dscnt 0x0
	v_mul_f32_e32 v81, v81, v82
	scratch_store_b32 off, v81, off offset:68
.LBB43_588:
	s_wait_xcnt 0x0
	s_or_b32 exec_lo, exec_lo, s0
	scratch_load_b32 v81, off, off offset:72
	s_mov_b32 s0, exec_lo
	s_wait_loadcnt 0x0
	ds_store_b32 v1, v81
	s_wait_storecnt_dscnt 0x0
	s_barrier_signal -1
	s_barrier_wait -1
	s_wait_xcnt 0x0
	v_cmpx_gt_u32_e32 18, v0
	s_cbranch_execz .LBB43_598
; %bb.589:
	v_cmp_ne_u32_e32 vcc_lo, 1, v80
	s_cbranch_vccnz .LBB43_591
; %bb.590:
	scratch_load_b32 v81, v7, off
	ds_load_b32 v82, v1
	s_wait_loadcnt_dscnt 0x0
	v_mul_f32_e32 v81, v81, v82
	s_cbranch_execz .LBB43_592
	s_branch .LBB43_593
.LBB43_591:
                                        ; implicit-def: $vgpr81
.LBB43_592:
	ds_load_b32 v81, v1
.LBB43_593:
	s_mov_b32 s1, exec_lo
	v_cmpx_ne_u32_e32 17, v0
	s_cbranch_execz .LBB43_597
; %bb.594:
	v_add_nc_u32_e32 v82, 0xb4, v6
	v_add3_u32 v83, 0, v6, 4
	v_mov_b32_e32 v84, v0
	s_mov_b32 s2, 0
.LBB43_595:                             ; =>This Inner Loop Header: Depth=1
	scratch_load_b32 v85, v83, off
	ds_load_b32 v86, v82
	v_dual_add_nc_u32 v84, 1, v84 :: v_dual_add_nc_u32 v82, 4, v82
	s_wait_xcnt 0x0
	v_add_nc_u32_e32 v83, 4, v83
	s_delay_alu instid0(VALU_DEP_2)
	v_cmp_lt_u32_e32 vcc_lo, 16, v84
	s_or_b32 s2, vcc_lo, s2
	s_wait_loadcnt_dscnt 0x0
	v_fmac_f32_e32 v81, v85, v86
	s_and_not1_b32 exec_lo, exec_lo, s2
	s_cbranch_execnz .LBB43_595
; %bb.596:
	s_or_b32 exec_lo, exec_lo, s2
.LBB43_597:
	s_delay_alu instid0(SALU_CYCLE_1)
	s_or_b32 exec_lo, exec_lo, s1
	v_mov_b32_e32 v82, 0
	ds_load_b32 v82, v82 offset:72
	s_wait_dscnt 0x0
	v_mul_f32_e32 v81, v81, v82
	scratch_store_b32 off, v81, off offset:72
.LBB43_598:
	s_wait_xcnt 0x0
	s_or_b32 exec_lo, exec_lo, s0
	scratch_load_b32 v81, off, off offset:76
	s_mov_b32 s0, exec_lo
	s_wait_loadcnt 0x0
	ds_store_b32 v1, v81
	s_wait_storecnt_dscnt 0x0
	s_barrier_signal -1
	s_barrier_wait -1
	s_wait_xcnt 0x0
	v_cmpx_gt_u32_e32 19, v0
	s_cbranch_execz .LBB43_608
; %bb.599:
	v_cmp_ne_u32_e32 vcc_lo, 1, v80
	s_cbranch_vccnz .LBB43_601
; %bb.600:
	scratch_load_b32 v81, v7, off
	ds_load_b32 v82, v1
	s_wait_loadcnt_dscnt 0x0
	v_mul_f32_e32 v81, v81, v82
	s_cbranch_execz .LBB43_602
	s_branch .LBB43_603
.LBB43_601:
                                        ; implicit-def: $vgpr81
.LBB43_602:
	ds_load_b32 v81, v1
.LBB43_603:
	s_mov_b32 s1, exec_lo
	v_cmpx_ne_u32_e32 18, v0
	s_cbranch_execz .LBB43_607
; %bb.604:
	v_add_nc_u32_e32 v82, 0xb4, v6
	v_add3_u32 v83, 0, v6, 4
	v_mov_b32_e32 v84, v0
	s_mov_b32 s2, 0
.LBB43_605:                             ; =>This Inner Loop Header: Depth=1
	scratch_load_b32 v85, v83, off
	ds_load_b32 v86, v82
	v_dual_add_nc_u32 v84, 1, v84 :: v_dual_add_nc_u32 v82, 4, v82
	s_wait_xcnt 0x0
	v_add_nc_u32_e32 v83, 4, v83
	s_delay_alu instid0(VALU_DEP_2)
	v_cmp_lt_u32_e32 vcc_lo, 17, v84
	s_or_b32 s2, vcc_lo, s2
	s_wait_loadcnt_dscnt 0x0
	v_fmac_f32_e32 v81, v85, v86
	s_and_not1_b32 exec_lo, exec_lo, s2
	s_cbranch_execnz .LBB43_605
; %bb.606:
	s_or_b32 exec_lo, exec_lo, s2
.LBB43_607:
	s_delay_alu instid0(SALU_CYCLE_1)
	s_or_b32 exec_lo, exec_lo, s1
	v_mov_b32_e32 v82, 0
	ds_load_b32 v82, v82 offset:76
	s_wait_dscnt 0x0
	v_mul_f32_e32 v81, v81, v82
	scratch_store_b32 off, v81, off offset:76
.LBB43_608:
	s_wait_xcnt 0x0
	s_or_b32 exec_lo, exec_lo, s0
	scratch_load_b32 v81, off, off offset:80
	s_mov_b32 s0, exec_lo
	s_wait_loadcnt 0x0
	ds_store_b32 v1, v81
	s_wait_storecnt_dscnt 0x0
	s_barrier_signal -1
	s_barrier_wait -1
	s_wait_xcnt 0x0
	v_cmpx_gt_u32_e32 20, v0
	s_cbranch_execz .LBB43_618
; %bb.609:
	v_cmp_ne_u32_e32 vcc_lo, 1, v80
	s_cbranch_vccnz .LBB43_611
; %bb.610:
	scratch_load_b32 v81, v7, off
	ds_load_b32 v82, v1
	s_wait_loadcnt_dscnt 0x0
	v_mul_f32_e32 v81, v81, v82
	s_cbranch_execz .LBB43_612
	s_branch .LBB43_613
.LBB43_611:
                                        ; implicit-def: $vgpr81
.LBB43_612:
	ds_load_b32 v81, v1
.LBB43_613:
	s_mov_b32 s1, exec_lo
	v_cmpx_ne_u32_e32 19, v0
	s_cbranch_execz .LBB43_617
; %bb.614:
	v_add_nc_u32_e32 v82, 0xb4, v6
	v_add3_u32 v83, 0, v6, 4
	v_mov_b32_e32 v84, v0
	s_mov_b32 s2, 0
.LBB43_615:                             ; =>This Inner Loop Header: Depth=1
	scratch_load_b32 v85, v83, off
	ds_load_b32 v86, v82
	v_dual_add_nc_u32 v84, 1, v84 :: v_dual_add_nc_u32 v82, 4, v82
	s_wait_xcnt 0x0
	v_add_nc_u32_e32 v83, 4, v83
	s_delay_alu instid0(VALU_DEP_2)
	v_cmp_lt_u32_e32 vcc_lo, 18, v84
	s_or_b32 s2, vcc_lo, s2
	s_wait_loadcnt_dscnt 0x0
	v_fmac_f32_e32 v81, v85, v86
	s_and_not1_b32 exec_lo, exec_lo, s2
	s_cbranch_execnz .LBB43_615
; %bb.616:
	s_or_b32 exec_lo, exec_lo, s2
.LBB43_617:
	s_delay_alu instid0(SALU_CYCLE_1)
	s_or_b32 exec_lo, exec_lo, s1
	v_mov_b32_e32 v82, 0
	ds_load_b32 v82, v82 offset:80
	s_wait_dscnt 0x0
	v_mul_f32_e32 v81, v81, v82
	scratch_store_b32 off, v81, off offset:80
.LBB43_618:
	s_wait_xcnt 0x0
	s_or_b32 exec_lo, exec_lo, s0
	scratch_load_b32 v81, off, off offset:84
	s_mov_b32 s0, exec_lo
	s_wait_loadcnt 0x0
	ds_store_b32 v1, v81
	s_wait_storecnt_dscnt 0x0
	s_barrier_signal -1
	s_barrier_wait -1
	s_wait_xcnt 0x0
	v_cmpx_gt_u32_e32 21, v0
	s_cbranch_execz .LBB43_628
; %bb.619:
	v_cmp_ne_u32_e32 vcc_lo, 1, v80
	s_cbranch_vccnz .LBB43_621
; %bb.620:
	scratch_load_b32 v81, v7, off
	ds_load_b32 v82, v1
	s_wait_loadcnt_dscnt 0x0
	v_mul_f32_e32 v81, v81, v82
	s_cbranch_execz .LBB43_622
	s_branch .LBB43_623
.LBB43_621:
                                        ; implicit-def: $vgpr81
.LBB43_622:
	ds_load_b32 v81, v1
.LBB43_623:
	s_mov_b32 s1, exec_lo
	v_cmpx_ne_u32_e32 20, v0
	s_cbranch_execz .LBB43_627
; %bb.624:
	v_add_nc_u32_e32 v82, 0xb4, v6
	v_add3_u32 v83, 0, v6, 4
	v_mov_b32_e32 v84, v0
	s_mov_b32 s2, 0
.LBB43_625:                             ; =>This Inner Loop Header: Depth=1
	scratch_load_b32 v85, v83, off
	ds_load_b32 v86, v82
	v_dual_add_nc_u32 v84, 1, v84 :: v_dual_add_nc_u32 v82, 4, v82
	s_wait_xcnt 0x0
	v_add_nc_u32_e32 v83, 4, v83
	s_delay_alu instid0(VALU_DEP_2)
	v_cmp_lt_u32_e32 vcc_lo, 19, v84
	s_or_b32 s2, vcc_lo, s2
	s_wait_loadcnt_dscnt 0x0
	v_fmac_f32_e32 v81, v85, v86
	s_and_not1_b32 exec_lo, exec_lo, s2
	s_cbranch_execnz .LBB43_625
; %bb.626:
	s_or_b32 exec_lo, exec_lo, s2
.LBB43_627:
	s_delay_alu instid0(SALU_CYCLE_1)
	s_or_b32 exec_lo, exec_lo, s1
	v_mov_b32_e32 v82, 0
	ds_load_b32 v82, v82 offset:84
	s_wait_dscnt 0x0
	v_mul_f32_e32 v81, v81, v82
	scratch_store_b32 off, v81, off offset:84
.LBB43_628:
	s_wait_xcnt 0x0
	s_or_b32 exec_lo, exec_lo, s0
	scratch_load_b32 v81, off, off offset:88
	s_mov_b32 s0, exec_lo
	s_wait_loadcnt 0x0
	ds_store_b32 v1, v81
	s_wait_storecnt_dscnt 0x0
	s_barrier_signal -1
	s_barrier_wait -1
	s_wait_xcnt 0x0
	v_cmpx_gt_u32_e32 22, v0
	s_cbranch_execz .LBB43_638
; %bb.629:
	v_cmp_ne_u32_e32 vcc_lo, 1, v80
	s_cbranch_vccnz .LBB43_631
; %bb.630:
	scratch_load_b32 v81, v7, off
	ds_load_b32 v82, v1
	s_wait_loadcnt_dscnt 0x0
	v_mul_f32_e32 v81, v81, v82
	s_cbranch_execz .LBB43_632
	s_branch .LBB43_633
.LBB43_631:
                                        ; implicit-def: $vgpr81
.LBB43_632:
	ds_load_b32 v81, v1
.LBB43_633:
	s_mov_b32 s1, exec_lo
	v_cmpx_ne_u32_e32 21, v0
	s_cbranch_execz .LBB43_637
; %bb.634:
	v_add_nc_u32_e32 v82, 0xb4, v6
	v_add3_u32 v83, 0, v6, 4
	v_mov_b32_e32 v84, v0
	s_mov_b32 s2, 0
.LBB43_635:                             ; =>This Inner Loop Header: Depth=1
	scratch_load_b32 v85, v83, off
	ds_load_b32 v86, v82
	v_dual_add_nc_u32 v84, 1, v84 :: v_dual_add_nc_u32 v82, 4, v82
	s_wait_xcnt 0x0
	v_add_nc_u32_e32 v83, 4, v83
	s_delay_alu instid0(VALU_DEP_2)
	v_cmp_lt_u32_e32 vcc_lo, 20, v84
	s_or_b32 s2, vcc_lo, s2
	s_wait_loadcnt_dscnt 0x0
	v_fmac_f32_e32 v81, v85, v86
	s_and_not1_b32 exec_lo, exec_lo, s2
	s_cbranch_execnz .LBB43_635
; %bb.636:
	s_or_b32 exec_lo, exec_lo, s2
.LBB43_637:
	s_delay_alu instid0(SALU_CYCLE_1)
	s_or_b32 exec_lo, exec_lo, s1
	v_mov_b32_e32 v82, 0
	ds_load_b32 v82, v82 offset:88
	s_wait_dscnt 0x0
	v_mul_f32_e32 v81, v81, v82
	scratch_store_b32 off, v81, off offset:88
.LBB43_638:
	s_wait_xcnt 0x0
	s_or_b32 exec_lo, exec_lo, s0
	scratch_load_b32 v81, off, off offset:92
	s_mov_b32 s0, exec_lo
	s_wait_loadcnt 0x0
	ds_store_b32 v1, v81
	s_wait_storecnt_dscnt 0x0
	s_barrier_signal -1
	s_barrier_wait -1
	s_wait_xcnt 0x0
	v_cmpx_gt_u32_e32 23, v0
	s_cbranch_execz .LBB43_648
; %bb.639:
	v_cmp_ne_u32_e32 vcc_lo, 1, v80
	s_cbranch_vccnz .LBB43_641
; %bb.640:
	scratch_load_b32 v81, v7, off
	ds_load_b32 v82, v1
	s_wait_loadcnt_dscnt 0x0
	v_mul_f32_e32 v81, v81, v82
	s_cbranch_execz .LBB43_642
	s_branch .LBB43_643
.LBB43_641:
                                        ; implicit-def: $vgpr81
.LBB43_642:
	ds_load_b32 v81, v1
.LBB43_643:
	s_mov_b32 s1, exec_lo
	v_cmpx_ne_u32_e32 22, v0
	s_cbranch_execz .LBB43_647
; %bb.644:
	v_add_nc_u32_e32 v82, 0xb4, v6
	v_add3_u32 v83, 0, v6, 4
	v_mov_b32_e32 v84, v0
	s_mov_b32 s2, 0
.LBB43_645:                             ; =>This Inner Loop Header: Depth=1
	scratch_load_b32 v85, v83, off
	ds_load_b32 v86, v82
	v_dual_add_nc_u32 v84, 1, v84 :: v_dual_add_nc_u32 v82, 4, v82
	s_wait_xcnt 0x0
	v_add_nc_u32_e32 v83, 4, v83
	s_delay_alu instid0(VALU_DEP_2)
	v_cmp_lt_u32_e32 vcc_lo, 21, v84
	s_or_b32 s2, vcc_lo, s2
	s_wait_loadcnt_dscnt 0x0
	v_fmac_f32_e32 v81, v85, v86
	s_and_not1_b32 exec_lo, exec_lo, s2
	s_cbranch_execnz .LBB43_645
; %bb.646:
	s_or_b32 exec_lo, exec_lo, s2
.LBB43_647:
	s_delay_alu instid0(SALU_CYCLE_1)
	s_or_b32 exec_lo, exec_lo, s1
	v_mov_b32_e32 v82, 0
	ds_load_b32 v82, v82 offset:92
	s_wait_dscnt 0x0
	v_mul_f32_e32 v81, v81, v82
	scratch_store_b32 off, v81, off offset:92
.LBB43_648:
	s_wait_xcnt 0x0
	s_or_b32 exec_lo, exec_lo, s0
	scratch_load_b32 v81, off, off offset:96
	s_mov_b32 s0, exec_lo
	s_wait_loadcnt 0x0
	ds_store_b32 v1, v81
	s_wait_storecnt_dscnt 0x0
	s_barrier_signal -1
	s_barrier_wait -1
	s_wait_xcnt 0x0
	v_cmpx_gt_u32_e32 24, v0
	s_cbranch_execz .LBB43_658
; %bb.649:
	v_cmp_ne_u32_e32 vcc_lo, 1, v80
	s_cbranch_vccnz .LBB43_651
; %bb.650:
	scratch_load_b32 v81, v7, off
	ds_load_b32 v82, v1
	s_wait_loadcnt_dscnt 0x0
	v_mul_f32_e32 v81, v81, v82
	s_cbranch_execz .LBB43_652
	s_branch .LBB43_653
.LBB43_651:
                                        ; implicit-def: $vgpr81
.LBB43_652:
	ds_load_b32 v81, v1
.LBB43_653:
	s_mov_b32 s1, exec_lo
	v_cmpx_ne_u32_e32 23, v0
	s_cbranch_execz .LBB43_657
; %bb.654:
	v_add_nc_u32_e32 v82, 0xb4, v6
	v_add3_u32 v83, 0, v6, 4
	v_mov_b32_e32 v84, v0
	s_mov_b32 s2, 0
.LBB43_655:                             ; =>This Inner Loop Header: Depth=1
	scratch_load_b32 v85, v83, off
	ds_load_b32 v86, v82
	v_dual_add_nc_u32 v84, 1, v84 :: v_dual_add_nc_u32 v82, 4, v82
	s_wait_xcnt 0x0
	v_add_nc_u32_e32 v83, 4, v83
	s_delay_alu instid0(VALU_DEP_2)
	v_cmp_lt_u32_e32 vcc_lo, 22, v84
	s_or_b32 s2, vcc_lo, s2
	s_wait_loadcnt_dscnt 0x0
	v_fmac_f32_e32 v81, v85, v86
	s_and_not1_b32 exec_lo, exec_lo, s2
	s_cbranch_execnz .LBB43_655
; %bb.656:
	s_or_b32 exec_lo, exec_lo, s2
.LBB43_657:
	s_delay_alu instid0(SALU_CYCLE_1)
	s_or_b32 exec_lo, exec_lo, s1
	v_mov_b32_e32 v82, 0
	ds_load_b32 v82, v82 offset:96
	s_wait_dscnt 0x0
	v_mul_f32_e32 v81, v81, v82
	scratch_store_b32 off, v81, off offset:96
.LBB43_658:
	s_wait_xcnt 0x0
	s_or_b32 exec_lo, exec_lo, s0
	scratch_load_b32 v81, off, off offset:100
	s_mov_b32 s0, exec_lo
	s_wait_loadcnt 0x0
	ds_store_b32 v1, v81
	s_wait_storecnt_dscnt 0x0
	s_barrier_signal -1
	s_barrier_wait -1
	s_wait_xcnt 0x0
	v_cmpx_gt_u32_e32 25, v0
	s_cbranch_execz .LBB43_668
; %bb.659:
	v_cmp_ne_u32_e32 vcc_lo, 1, v80
	s_cbranch_vccnz .LBB43_661
; %bb.660:
	scratch_load_b32 v81, v7, off
	ds_load_b32 v82, v1
	s_wait_loadcnt_dscnt 0x0
	v_mul_f32_e32 v81, v81, v82
	s_cbranch_execz .LBB43_662
	s_branch .LBB43_663
.LBB43_661:
                                        ; implicit-def: $vgpr81
.LBB43_662:
	ds_load_b32 v81, v1
.LBB43_663:
	s_mov_b32 s1, exec_lo
	v_cmpx_ne_u32_e32 24, v0
	s_cbranch_execz .LBB43_667
; %bb.664:
	v_add_nc_u32_e32 v82, 0xb4, v6
	v_add3_u32 v83, 0, v6, 4
	v_mov_b32_e32 v84, v0
	s_mov_b32 s2, 0
.LBB43_665:                             ; =>This Inner Loop Header: Depth=1
	scratch_load_b32 v85, v83, off
	ds_load_b32 v86, v82
	v_dual_add_nc_u32 v84, 1, v84 :: v_dual_add_nc_u32 v82, 4, v82
	s_wait_xcnt 0x0
	v_add_nc_u32_e32 v83, 4, v83
	s_delay_alu instid0(VALU_DEP_2)
	v_cmp_lt_u32_e32 vcc_lo, 23, v84
	s_or_b32 s2, vcc_lo, s2
	s_wait_loadcnt_dscnt 0x0
	v_fmac_f32_e32 v81, v85, v86
	s_and_not1_b32 exec_lo, exec_lo, s2
	s_cbranch_execnz .LBB43_665
; %bb.666:
	s_or_b32 exec_lo, exec_lo, s2
.LBB43_667:
	s_delay_alu instid0(SALU_CYCLE_1)
	s_or_b32 exec_lo, exec_lo, s1
	v_mov_b32_e32 v82, 0
	ds_load_b32 v82, v82 offset:100
	s_wait_dscnt 0x0
	v_mul_f32_e32 v81, v81, v82
	scratch_store_b32 off, v81, off offset:100
.LBB43_668:
	s_wait_xcnt 0x0
	s_or_b32 exec_lo, exec_lo, s0
	scratch_load_b32 v81, off, off offset:104
	s_mov_b32 s0, exec_lo
	s_wait_loadcnt 0x0
	ds_store_b32 v1, v81
	s_wait_storecnt_dscnt 0x0
	s_barrier_signal -1
	s_barrier_wait -1
	s_wait_xcnt 0x0
	v_cmpx_gt_u32_e32 26, v0
	s_cbranch_execz .LBB43_678
; %bb.669:
	v_cmp_ne_u32_e32 vcc_lo, 1, v80
	s_cbranch_vccnz .LBB43_671
; %bb.670:
	scratch_load_b32 v81, v7, off
	ds_load_b32 v82, v1
	s_wait_loadcnt_dscnt 0x0
	v_mul_f32_e32 v81, v81, v82
	s_cbranch_execz .LBB43_672
	s_branch .LBB43_673
.LBB43_671:
                                        ; implicit-def: $vgpr81
.LBB43_672:
	ds_load_b32 v81, v1
.LBB43_673:
	s_mov_b32 s1, exec_lo
	v_cmpx_ne_u32_e32 25, v0
	s_cbranch_execz .LBB43_677
; %bb.674:
	v_add_nc_u32_e32 v82, 0xb4, v6
	v_add3_u32 v83, 0, v6, 4
	v_mov_b32_e32 v84, v0
	s_mov_b32 s2, 0
.LBB43_675:                             ; =>This Inner Loop Header: Depth=1
	scratch_load_b32 v85, v83, off
	ds_load_b32 v86, v82
	v_dual_add_nc_u32 v84, 1, v84 :: v_dual_add_nc_u32 v82, 4, v82
	s_wait_xcnt 0x0
	v_add_nc_u32_e32 v83, 4, v83
	s_delay_alu instid0(VALU_DEP_2)
	v_cmp_lt_u32_e32 vcc_lo, 24, v84
	s_or_b32 s2, vcc_lo, s2
	s_wait_loadcnt_dscnt 0x0
	v_fmac_f32_e32 v81, v85, v86
	s_and_not1_b32 exec_lo, exec_lo, s2
	s_cbranch_execnz .LBB43_675
; %bb.676:
	s_or_b32 exec_lo, exec_lo, s2
.LBB43_677:
	s_delay_alu instid0(SALU_CYCLE_1)
	s_or_b32 exec_lo, exec_lo, s1
	v_mov_b32_e32 v82, 0
	ds_load_b32 v82, v82 offset:104
	s_wait_dscnt 0x0
	v_mul_f32_e32 v81, v81, v82
	scratch_store_b32 off, v81, off offset:104
.LBB43_678:
	s_wait_xcnt 0x0
	s_or_b32 exec_lo, exec_lo, s0
	scratch_load_b32 v81, off, off offset:108
	s_mov_b32 s0, exec_lo
	s_wait_loadcnt 0x0
	ds_store_b32 v1, v81
	s_wait_storecnt_dscnt 0x0
	s_barrier_signal -1
	s_barrier_wait -1
	s_wait_xcnt 0x0
	v_cmpx_gt_u32_e32 27, v0
	s_cbranch_execz .LBB43_688
; %bb.679:
	v_cmp_ne_u32_e32 vcc_lo, 1, v80
	s_cbranch_vccnz .LBB43_681
; %bb.680:
	scratch_load_b32 v81, v7, off
	ds_load_b32 v82, v1
	s_wait_loadcnt_dscnt 0x0
	v_mul_f32_e32 v81, v81, v82
	s_cbranch_execz .LBB43_682
	s_branch .LBB43_683
.LBB43_681:
                                        ; implicit-def: $vgpr81
.LBB43_682:
	ds_load_b32 v81, v1
.LBB43_683:
	s_mov_b32 s1, exec_lo
	v_cmpx_ne_u32_e32 26, v0
	s_cbranch_execz .LBB43_687
; %bb.684:
	v_add_nc_u32_e32 v82, 0xb4, v6
	v_add3_u32 v83, 0, v6, 4
	v_mov_b32_e32 v84, v0
	s_mov_b32 s2, 0
.LBB43_685:                             ; =>This Inner Loop Header: Depth=1
	scratch_load_b32 v85, v83, off
	ds_load_b32 v86, v82
	v_dual_add_nc_u32 v84, 1, v84 :: v_dual_add_nc_u32 v82, 4, v82
	s_wait_xcnt 0x0
	v_add_nc_u32_e32 v83, 4, v83
	s_delay_alu instid0(VALU_DEP_2)
	v_cmp_lt_u32_e32 vcc_lo, 25, v84
	s_or_b32 s2, vcc_lo, s2
	s_wait_loadcnt_dscnt 0x0
	v_fmac_f32_e32 v81, v85, v86
	s_and_not1_b32 exec_lo, exec_lo, s2
	s_cbranch_execnz .LBB43_685
; %bb.686:
	s_or_b32 exec_lo, exec_lo, s2
.LBB43_687:
	s_delay_alu instid0(SALU_CYCLE_1)
	s_or_b32 exec_lo, exec_lo, s1
	v_mov_b32_e32 v82, 0
	ds_load_b32 v82, v82 offset:108
	s_wait_dscnt 0x0
	v_mul_f32_e32 v81, v81, v82
	scratch_store_b32 off, v81, off offset:108
.LBB43_688:
	s_wait_xcnt 0x0
	s_or_b32 exec_lo, exec_lo, s0
	scratch_load_b32 v81, off, off offset:112
	s_mov_b32 s0, exec_lo
	s_wait_loadcnt 0x0
	ds_store_b32 v1, v81
	s_wait_storecnt_dscnt 0x0
	s_barrier_signal -1
	s_barrier_wait -1
	s_wait_xcnt 0x0
	v_cmpx_gt_u32_e32 28, v0
	s_cbranch_execz .LBB43_698
; %bb.689:
	v_cmp_ne_u32_e32 vcc_lo, 1, v80
	s_cbranch_vccnz .LBB43_691
; %bb.690:
	scratch_load_b32 v81, v7, off
	ds_load_b32 v82, v1
	s_wait_loadcnt_dscnt 0x0
	v_mul_f32_e32 v81, v81, v82
	s_cbranch_execz .LBB43_692
	s_branch .LBB43_693
.LBB43_691:
                                        ; implicit-def: $vgpr81
.LBB43_692:
	ds_load_b32 v81, v1
.LBB43_693:
	s_mov_b32 s1, exec_lo
	v_cmpx_ne_u32_e32 27, v0
	s_cbranch_execz .LBB43_697
; %bb.694:
	v_add_nc_u32_e32 v82, 0xb4, v6
	v_add3_u32 v83, 0, v6, 4
	v_mov_b32_e32 v84, v0
	s_mov_b32 s2, 0
.LBB43_695:                             ; =>This Inner Loop Header: Depth=1
	scratch_load_b32 v85, v83, off
	ds_load_b32 v86, v82
	v_dual_add_nc_u32 v84, 1, v84 :: v_dual_add_nc_u32 v82, 4, v82
	s_wait_xcnt 0x0
	v_add_nc_u32_e32 v83, 4, v83
	s_delay_alu instid0(VALU_DEP_2)
	v_cmp_lt_u32_e32 vcc_lo, 26, v84
	s_or_b32 s2, vcc_lo, s2
	s_wait_loadcnt_dscnt 0x0
	v_fmac_f32_e32 v81, v85, v86
	s_and_not1_b32 exec_lo, exec_lo, s2
	s_cbranch_execnz .LBB43_695
; %bb.696:
	s_or_b32 exec_lo, exec_lo, s2
.LBB43_697:
	s_delay_alu instid0(SALU_CYCLE_1)
	s_or_b32 exec_lo, exec_lo, s1
	v_mov_b32_e32 v82, 0
	ds_load_b32 v82, v82 offset:112
	s_wait_dscnt 0x0
	v_mul_f32_e32 v81, v81, v82
	scratch_store_b32 off, v81, off offset:112
.LBB43_698:
	s_wait_xcnt 0x0
	s_or_b32 exec_lo, exec_lo, s0
	scratch_load_b32 v81, off, off offset:116
	s_mov_b32 s0, exec_lo
	s_wait_loadcnt 0x0
	ds_store_b32 v1, v81
	s_wait_storecnt_dscnt 0x0
	s_barrier_signal -1
	s_barrier_wait -1
	s_wait_xcnt 0x0
	v_cmpx_gt_u32_e32 29, v0
	s_cbranch_execz .LBB43_708
; %bb.699:
	v_cmp_ne_u32_e32 vcc_lo, 1, v80
	s_cbranch_vccnz .LBB43_701
; %bb.700:
	scratch_load_b32 v81, v7, off
	ds_load_b32 v82, v1
	s_wait_loadcnt_dscnt 0x0
	v_mul_f32_e32 v81, v81, v82
	s_cbranch_execz .LBB43_702
	s_branch .LBB43_703
.LBB43_701:
                                        ; implicit-def: $vgpr81
.LBB43_702:
	ds_load_b32 v81, v1
.LBB43_703:
	s_mov_b32 s1, exec_lo
	v_cmpx_ne_u32_e32 28, v0
	s_cbranch_execz .LBB43_707
; %bb.704:
	v_add_nc_u32_e32 v82, 0xb4, v6
	v_add3_u32 v83, 0, v6, 4
	v_mov_b32_e32 v84, v0
	s_mov_b32 s2, 0
.LBB43_705:                             ; =>This Inner Loop Header: Depth=1
	scratch_load_b32 v85, v83, off
	ds_load_b32 v86, v82
	v_dual_add_nc_u32 v84, 1, v84 :: v_dual_add_nc_u32 v82, 4, v82
	s_wait_xcnt 0x0
	v_add_nc_u32_e32 v83, 4, v83
	s_delay_alu instid0(VALU_DEP_2)
	v_cmp_lt_u32_e32 vcc_lo, 27, v84
	s_or_b32 s2, vcc_lo, s2
	s_wait_loadcnt_dscnt 0x0
	v_fmac_f32_e32 v81, v85, v86
	s_and_not1_b32 exec_lo, exec_lo, s2
	s_cbranch_execnz .LBB43_705
; %bb.706:
	s_or_b32 exec_lo, exec_lo, s2
.LBB43_707:
	s_delay_alu instid0(SALU_CYCLE_1)
	s_or_b32 exec_lo, exec_lo, s1
	v_mov_b32_e32 v82, 0
	ds_load_b32 v82, v82 offset:116
	s_wait_dscnt 0x0
	v_mul_f32_e32 v81, v81, v82
	scratch_store_b32 off, v81, off offset:116
.LBB43_708:
	s_wait_xcnt 0x0
	s_or_b32 exec_lo, exec_lo, s0
	scratch_load_b32 v81, off, off offset:120
	s_mov_b32 s0, exec_lo
	s_wait_loadcnt 0x0
	ds_store_b32 v1, v81
	s_wait_storecnt_dscnt 0x0
	s_barrier_signal -1
	s_barrier_wait -1
	s_wait_xcnt 0x0
	v_cmpx_gt_u32_e32 30, v0
	s_cbranch_execz .LBB43_718
; %bb.709:
	v_cmp_ne_u32_e32 vcc_lo, 1, v80
	s_cbranch_vccnz .LBB43_711
; %bb.710:
	scratch_load_b32 v81, v7, off
	ds_load_b32 v82, v1
	s_wait_loadcnt_dscnt 0x0
	v_mul_f32_e32 v81, v81, v82
	s_cbranch_execz .LBB43_712
	s_branch .LBB43_713
.LBB43_711:
                                        ; implicit-def: $vgpr81
.LBB43_712:
	ds_load_b32 v81, v1
.LBB43_713:
	s_mov_b32 s1, exec_lo
	v_cmpx_ne_u32_e32 29, v0
	s_cbranch_execz .LBB43_717
; %bb.714:
	v_add_nc_u32_e32 v82, 0xb4, v6
	v_add3_u32 v83, 0, v6, 4
	v_mov_b32_e32 v84, v0
	s_mov_b32 s2, 0
.LBB43_715:                             ; =>This Inner Loop Header: Depth=1
	scratch_load_b32 v85, v83, off
	ds_load_b32 v86, v82
	v_dual_add_nc_u32 v84, 1, v84 :: v_dual_add_nc_u32 v82, 4, v82
	s_wait_xcnt 0x0
	v_add_nc_u32_e32 v83, 4, v83
	s_delay_alu instid0(VALU_DEP_2)
	v_cmp_lt_u32_e32 vcc_lo, 28, v84
	s_or_b32 s2, vcc_lo, s2
	s_wait_loadcnt_dscnt 0x0
	v_fmac_f32_e32 v81, v85, v86
	s_and_not1_b32 exec_lo, exec_lo, s2
	s_cbranch_execnz .LBB43_715
; %bb.716:
	s_or_b32 exec_lo, exec_lo, s2
.LBB43_717:
	s_delay_alu instid0(SALU_CYCLE_1)
	s_or_b32 exec_lo, exec_lo, s1
	v_mov_b32_e32 v82, 0
	ds_load_b32 v82, v82 offset:120
	s_wait_dscnt 0x0
	v_mul_f32_e32 v81, v81, v82
	scratch_store_b32 off, v81, off offset:120
.LBB43_718:
	s_wait_xcnt 0x0
	s_or_b32 exec_lo, exec_lo, s0
	scratch_load_b32 v81, off, off offset:124
	s_mov_b32 s0, exec_lo
	s_wait_loadcnt 0x0
	ds_store_b32 v1, v81
	s_wait_storecnt_dscnt 0x0
	s_barrier_signal -1
	s_barrier_wait -1
	s_wait_xcnt 0x0
	v_cmpx_gt_u32_e32 31, v0
	s_cbranch_execz .LBB43_728
; %bb.719:
	v_cmp_ne_u32_e32 vcc_lo, 1, v80
	s_cbranch_vccnz .LBB43_721
; %bb.720:
	scratch_load_b32 v81, v7, off
	ds_load_b32 v82, v1
	s_wait_loadcnt_dscnt 0x0
	v_mul_f32_e32 v81, v81, v82
	s_cbranch_execz .LBB43_722
	s_branch .LBB43_723
.LBB43_721:
                                        ; implicit-def: $vgpr81
.LBB43_722:
	ds_load_b32 v81, v1
.LBB43_723:
	s_mov_b32 s1, exec_lo
	v_cmpx_ne_u32_e32 30, v0
	s_cbranch_execz .LBB43_727
; %bb.724:
	v_add_nc_u32_e32 v82, 0xb4, v6
	v_add3_u32 v83, 0, v6, 4
	v_mov_b32_e32 v84, v0
	s_mov_b32 s2, 0
.LBB43_725:                             ; =>This Inner Loop Header: Depth=1
	scratch_load_b32 v85, v83, off
	ds_load_b32 v86, v82
	v_dual_add_nc_u32 v84, 1, v84 :: v_dual_add_nc_u32 v82, 4, v82
	s_wait_xcnt 0x0
	v_add_nc_u32_e32 v83, 4, v83
	s_delay_alu instid0(VALU_DEP_2)
	v_cmp_lt_u32_e32 vcc_lo, 29, v84
	s_or_b32 s2, vcc_lo, s2
	s_wait_loadcnt_dscnt 0x0
	v_fmac_f32_e32 v81, v85, v86
	s_and_not1_b32 exec_lo, exec_lo, s2
	s_cbranch_execnz .LBB43_725
; %bb.726:
	s_or_b32 exec_lo, exec_lo, s2
.LBB43_727:
	s_delay_alu instid0(SALU_CYCLE_1)
	s_or_b32 exec_lo, exec_lo, s1
	v_mov_b32_e32 v82, 0
	ds_load_b32 v82, v82 offset:124
	s_wait_dscnt 0x0
	v_mul_f32_e32 v81, v81, v82
	scratch_store_b32 off, v81, off offset:124
.LBB43_728:
	s_wait_xcnt 0x0
	s_or_b32 exec_lo, exec_lo, s0
	scratch_load_b32 v81, off, off offset:128
	s_mov_b32 s0, exec_lo
	s_wait_loadcnt 0x0
	ds_store_b32 v1, v81
	s_wait_storecnt_dscnt 0x0
	s_barrier_signal -1
	s_barrier_wait -1
	s_wait_xcnt 0x0
	v_cmpx_gt_u32_e32 32, v0
	s_cbranch_execz .LBB43_738
; %bb.729:
	v_cmp_ne_u32_e32 vcc_lo, 1, v80
	s_cbranch_vccnz .LBB43_731
; %bb.730:
	scratch_load_b32 v81, v7, off
	ds_load_b32 v82, v1
	s_wait_loadcnt_dscnt 0x0
	v_mul_f32_e32 v81, v81, v82
	s_cbranch_execz .LBB43_732
	s_branch .LBB43_733
.LBB43_731:
                                        ; implicit-def: $vgpr81
.LBB43_732:
	ds_load_b32 v81, v1
.LBB43_733:
	s_mov_b32 s1, exec_lo
	v_cmpx_ne_u32_e32 31, v0
	s_cbranch_execz .LBB43_737
; %bb.734:
	v_add_nc_u32_e32 v82, 0xb4, v6
	v_add3_u32 v83, 0, v6, 4
	v_mov_b32_e32 v84, v0
	s_mov_b32 s2, 0
.LBB43_735:                             ; =>This Inner Loop Header: Depth=1
	scratch_load_b32 v85, v83, off
	ds_load_b32 v86, v82
	v_dual_add_nc_u32 v84, 1, v84 :: v_dual_add_nc_u32 v82, 4, v82
	s_wait_xcnt 0x0
	v_add_nc_u32_e32 v83, 4, v83
	s_delay_alu instid0(VALU_DEP_2)
	v_cmp_lt_u32_e32 vcc_lo, 30, v84
	s_or_b32 s2, vcc_lo, s2
	s_wait_loadcnt_dscnt 0x0
	v_fmac_f32_e32 v81, v85, v86
	s_and_not1_b32 exec_lo, exec_lo, s2
	s_cbranch_execnz .LBB43_735
; %bb.736:
	s_or_b32 exec_lo, exec_lo, s2
.LBB43_737:
	s_delay_alu instid0(SALU_CYCLE_1)
	s_or_b32 exec_lo, exec_lo, s1
	v_mov_b32_e32 v82, 0
	ds_load_b32 v82, v82 offset:128
	s_wait_dscnt 0x0
	v_mul_f32_e32 v81, v81, v82
	scratch_store_b32 off, v81, off offset:128
.LBB43_738:
	s_wait_xcnt 0x0
	s_or_b32 exec_lo, exec_lo, s0
	scratch_load_b32 v81, off, off offset:132
	s_mov_b32 s0, exec_lo
	s_wait_loadcnt 0x0
	ds_store_b32 v1, v81
	s_wait_storecnt_dscnt 0x0
	s_barrier_signal -1
	s_barrier_wait -1
	s_wait_xcnt 0x0
	v_cmpx_gt_u32_e32 33, v0
	s_cbranch_execz .LBB43_748
; %bb.739:
	v_cmp_ne_u32_e32 vcc_lo, 1, v80
	s_cbranch_vccnz .LBB43_741
; %bb.740:
	scratch_load_b32 v81, v7, off
	ds_load_b32 v82, v1
	s_wait_loadcnt_dscnt 0x0
	v_mul_f32_e32 v81, v81, v82
	s_cbranch_execz .LBB43_742
	s_branch .LBB43_743
.LBB43_741:
                                        ; implicit-def: $vgpr81
.LBB43_742:
	ds_load_b32 v81, v1
.LBB43_743:
	s_mov_b32 s1, exec_lo
	v_cmpx_ne_u32_e32 32, v0
	s_cbranch_execz .LBB43_747
; %bb.744:
	v_add_nc_u32_e32 v82, 0xb4, v6
	v_add3_u32 v83, 0, v6, 4
	v_mov_b32_e32 v84, v0
	s_mov_b32 s2, 0
.LBB43_745:                             ; =>This Inner Loop Header: Depth=1
	scratch_load_b32 v85, v83, off
	ds_load_b32 v86, v82
	v_dual_add_nc_u32 v84, 1, v84 :: v_dual_add_nc_u32 v82, 4, v82
	s_wait_xcnt 0x0
	v_add_nc_u32_e32 v83, 4, v83
	s_delay_alu instid0(VALU_DEP_2)
	v_cmp_lt_u32_e32 vcc_lo, 31, v84
	s_or_b32 s2, vcc_lo, s2
	s_wait_loadcnt_dscnt 0x0
	v_fmac_f32_e32 v81, v85, v86
	s_and_not1_b32 exec_lo, exec_lo, s2
	s_cbranch_execnz .LBB43_745
; %bb.746:
	s_or_b32 exec_lo, exec_lo, s2
.LBB43_747:
	s_delay_alu instid0(SALU_CYCLE_1)
	s_or_b32 exec_lo, exec_lo, s1
	v_mov_b32_e32 v82, 0
	ds_load_b32 v82, v82 offset:132
	s_wait_dscnt 0x0
	v_mul_f32_e32 v81, v81, v82
	scratch_store_b32 off, v81, off offset:132
.LBB43_748:
	s_wait_xcnt 0x0
	s_or_b32 exec_lo, exec_lo, s0
	scratch_load_b32 v81, off, off offset:136
	s_mov_b32 s0, exec_lo
	s_wait_loadcnt 0x0
	ds_store_b32 v1, v81
	s_wait_storecnt_dscnt 0x0
	s_barrier_signal -1
	s_barrier_wait -1
	s_wait_xcnt 0x0
	v_cmpx_gt_u32_e32 34, v0
	s_cbranch_execz .LBB43_758
; %bb.749:
	v_cmp_ne_u32_e32 vcc_lo, 1, v80
	s_cbranch_vccnz .LBB43_751
; %bb.750:
	scratch_load_b32 v81, v7, off
	ds_load_b32 v82, v1
	s_wait_loadcnt_dscnt 0x0
	v_mul_f32_e32 v81, v81, v82
	s_cbranch_execz .LBB43_752
	s_branch .LBB43_753
.LBB43_751:
                                        ; implicit-def: $vgpr81
.LBB43_752:
	ds_load_b32 v81, v1
.LBB43_753:
	s_mov_b32 s1, exec_lo
	v_cmpx_ne_u32_e32 33, v0
	s_cbranch_execz .LBB43_757
; %bb.754:
	v_add_nc_u32_e32 v82, 0xb4, v6
	v_add3_u32 v83, 0, v6, 4
	v_mov_b32_e32 v84, v0
	s_mov_b32 s2, 0
.LBB43_755:                             ; =>This Inner Loop Header: Depth=1
	scratch_load_b32 v85, v83, off
	ds_load_b32 v86, v82
	v_dual_add_nc_u32 v84, 1, v84 :: v_dual_add_nc_u32 v82, 4, v82
	s_wait_xcnt 0x0
	v_add_nc_u32_e32 v83, 4, v83
	s_delay_alu instid0(VALU_DEP_2)
	v_cmp_lt_u32_e32 vcc_lo, 32, v84
	s_or_b32 s2, vcc_lo, s2
	s_wait_loadcnt_dscnt 0x0
	v_fmac_f32_e32 v81, v85, v86
	s_and_not1_b32 exec_lo, exec_lo, s2
	s_cbranch_execnz .LBB43_755
; %bb.756:
	s_or_b32 exec_lo, exec_lo, s2
.LBB43_757:
	s_delay_alu instid0(SALU_CYCLE_1)
	s_or_b32 exec_lo, exec_lo, s1
	v_mov_b32_e32 v82, 0
	ds_load_b32 v82, v82 offset:136
	s_wait_dscnt 0x0
	v_mul_f32_e32 v81, v81, v82
	scratch_store_b32 off, v81, off offset:136
.LBB43_758:
	s_wait_xcnt 0x0
	s_or_b32 exec_lo, exec_lo, s0
	scratch_load_b32 v81, off, off offset:140
	s_mov_b32 s0, exec_lo
	s_wait_loadcnt 0x0
	ds_store_b32 v1, v81
	s_wait_storecnt_dscnt 0x0
	s_barrier_signal -1
	s_barrier_wait -1
	s_wait_xcnt 0x0
	v_cmpx_gt_u32_e32 35, v0
	s_cbranch_execz .LBB43_768
; %bb.759:
	v_cmp_ne_u32_e32 vcc_lo, 1, v80
	s_cbranch_vccnz .LBB43_761
; %bb.760:
	scratch_load_b32 v81, v7, off
	ds_load_b32 v82, v1
	s_wait_loadcnt_dscnt 0x0
	v_mul_f32_e32 v81, v81, v82
	s_cbranch_execz .LBB43_762
	s_branch .LBB43_763
.LBB43_761:
                                        ; implicit-def: $vgpr81
.LBB43_762:
	ds_load_b32 v81, v1
.LBB43_763:
	s_mov_b32 s1, exec_lo
	v_cmpx_ne_u32_e32 34, v0
	s_cbranch_execz .LBB43_767
; %bb.764:
	v_add_nc_u32_e32 v82, 0xb4, v6
	v_add3_u32 v83, 0, v6, 4
	v_mov_b32_e32 v84, v0
	s_mov_b32 s2, 0
.LBB43_765:                             ; =>This Inner Loop Header: Depth=1
	scratch_load_b32 v85, v83, off
	ds_load_b32 v86, v82
	v_dual_add_nc_u32 v84, 1, v84 :: v_dual_add_nc_u32 v82, 4, v82
	s_wait_xcnt 0x0
	v_add_nc_u32_e32 v83, 4, v83
	s_delay_alu instid0(VALU_DEP_2)
	v_cmp_lt_u32_e32 vcc_lo, 33, v84
	s_or_b32 s2, vcc_lo, s2
	s_wait_loadcnt_dscnt 0x0
	v_fmac_f32_e32 v81, v85, v86
	s_and_not1_b32 exec_lo, exec_lo, s2
	s_cbranch_execnz .LBB43_765
; %bb.766:
	s_or_b32 exec_lo, exec_lo, s2
.LBB43_767:
	s_delay_alu instid0(SALU_CYCLE_1)
	s_or_b32 exec_lo, exec_lo, s1
	v_mov_b32_e32 v82, 0
	ds_load_b32 v82, v82 offset:140
	s_wait_dscnt 0x0
	v_mul_f32_e32 v81, v81, v82
	scratch_store_b32 off, v81, off offset:140
.LBB43_768:
	s_wait_xcnt 0x0
	s_or_b32 exec_lo, exec_lo, s0
	scratch_load_b32 v81, off, off offset:144
	s_mov_b32 s0, exec_lo
	s_wait_loadcnt 0x0
	ds_store_b32 v1, v81
	s_wait_storecnt_dscnt 0x0
	s_barrier_signal -1
	s_barrier_wait -1
	s_wait_xcnt 0x0
	v_cmpx_gt_u32_e32 36, v0
	s_cbranch_execz .LBB43_778
; %bb.769:
	v_cmp_ne_u32_e32 vcc_lo, 1, v80
	s_cbranch_vccnz .LBB43_771
; %bb.770:
	scratch_load_b32 v81, v7, off
	ds_load_b32 v82, v1
	s_wait_loadcnt_dscnt 0x0
	v_mul_f32_e32 v81, v81, v82
	s_cbranch_execz .LBB43_772
	s_branch .LBB43_773
.LBB43_771:
                                        ; implicit-def: $vgpr81
.LBB43_772:
	ds_load_b32 v81, v1
.LBB43_773:
	s_mov_b32 s1, exec_lo
	v_cmpx_ne_u32_e32 35, v0
	s_cbranch_execz .LBB43_777
; %bb.774:
	v_add_nc_u32_e32 v82, 0xb4, v6
	v_add3_u32 v83, 0, v6, 4
	v_mov_b32_e32 v84, v0
	s_mov_b32 s2, 0
.LBB43_775:                             ; =>This Inner Loop Header: Depth=1
	scratch_load_b32 v85, v83, off
	ds_load_b32 v86, v82
	v_dual_add_nc_u32 v84, 1, v84 :: v_dual_add_nc_u32 v82, 4, v82
	s_wait_xcnt 0x0
	v_add_nc_u32_e32 v83, 4, v83
	s_delay_alu instid0(VALU_DEP_2)
	v_cmp_lt_u32_e32 vcc_lo, 34, v84
	s_or_b32 s2, vcc_lo, s2
	s_wait_loadcnt_dscnt 0x0
	v_fmac_f32_e32 v81, v85, v86
	s_and_not1_b32 exec_lo, exec_lo, s2
	s_cbranch_execnz .LBB43_775
; %bb.776:
	s_or_b32 exec_lo, exec_lo, s2
.LBB43_777:
	s_delay_alu instid0(SALU_CYCLE_1)
	s_or_b32 exec_lo, exec_lo, s1
	v_mov_b32_e32 v82, 0
	ds_load_b32 v82, v82 offset:144
	s_wait_dscnt 0x0
	v_mul_f32_e32 v81, v81, v82
	scratch_store_b32 off, v81, off offset:144
.LBB43_778:
	s_wait_xcnt 0x0
	s_or_b32 exec_lo, exec_lo, s0
	scratch_load_b32 v81, off, off offset:148
	s_mov_b32 s0, exec_lo
	s_wait_loadcnt 0x0
	ds_store_b32 v1, v81
	s_wait_storecnt_dscnt 0x0
	s_barrier_signal -1
	s_barrier_wait -1
	s_wait_xcnt 0x0
	v_cmpx_gt_u32_e32 37, v0
	s_cbranch_execz .LBB43_788
; %bb.779:
	v_cmp_ne_u32_e32 vcc_lo, 1, v80
	s_cbranch_vccnz .LBB43_781
; %bb.780:
	scratch_load_b32 v81, v7, off
	ds_load_b32 v82, v1
	s_wait_loadcnt_dscnt 0x0
	v_mul_f32_e32 v81, v81, v82
	s_cbranch_execz .LBB43_782
	s_branch .LBB43_783
.LBB43_781:
                                        ; implicit-def: $vgpr81
.LBB43_782:
	ds_load_b32 v81, v1
.LBB43_783:
	s_mov_b32 s1, exec_lo
	v_cmpx_ne_u32_e32 36, v0
	s_cbranch_execz .LBB43_787
; %bb.784:
	v_add_nc_u32_e32 v82, 0xb4, v6
	v_add3_u32 v83, 0, v6, 4
	v_mov_b32_e32 v84, v0
	s_mov_b32 s2, 0
.LBB43_785:                             ; =>This Inner Loop Header: Depth=1
	scratch_load_b32 v85, v83, off
	ds_load_b32 v86, v82
	v_dual_add_nc_u32 v84, 1, v84 :: v_dual_add_nc_u32 v82, 4, v82
	s_wait_xcnt 0x0
	v_add_nc_u32_e32 v83, 4, v83
	s_delay_alu instid0(VALU_DEP_2)
	v_cmp_lt_u32_e32 vcc_lo, 35, v84
	s_or_b32 s2, vcc_lo, s2
	s_wait_loadcnt_dscnt 0x0
	v_fmac_f32_e32 v81, v85, v86
	s_and_not1_b32 exec_lo, exec_lo, s2
	s_cbranch_execnz .LBB43_785
; %bb.786:
	s_or_b32 exec_lo, exec_lo, s2
.LBB43_787:
	s_delay_alu instid0(SALU_CYCLE_1)
	s_or_b32 exec_lo, exec_lo, s1
	v_mov_b32_e32 v82, 0
	ds_load_b32 v82, v82 offset:148
	s_wait_dscnt 0x0
	v_mul_f32_e32 v81, v81, v82
	scratch_store_b32 off, v81, off offset:148
.LBB43_788:
	s_wait_xcnt 0x0
	s_or_b32 exec_lo, exec_lo, s0
	scratch_load_b32 v81, off, off offset:152
	s_mov_b32 s0, exec_lo
	s_wait_loadcnt 0x0
	ds_store_b32 v1, v81
	s_wait_storecnt_dscnt 0x0
	s_barrier_signal -1
	s_barrier_wait -1
	s_wait_xcnt 0x0
	v_cmpx_gt_u32_e32 38, v0
	s_cbranch_execz .LBB43_798
; %bb.789:
	v_cmp_ne_u32_e32 vcc_lo, 1, v80
	s_cbranch_vccnz .LBB43_791
; %bb.790:
	scratch_load_b32 v81, v7, off
	ds_load_b32 v82, v1
	s_wait_loadcnt_dscnt 0x0
	v_mul_f32_e32 v81, v81, v82
	s_cbranch_execz .LBB43_792
	s_branch .LBB43_793
.LBB43_791:
                                        ; implicit-def: $vgpr81
.LBB43_792:
	ds_load_b32 v81, v1
.LBB43_793:
	s_mov_b32 s1, exec_lo
	v_cmpx_ne_u32_e32 37, v0
	s_cbranch_execz .LBB43_797
; %bb.794:
	v_add_nc_u32_e32 v82, 0xb4, v6
	v_add3_u32 v83, 0, v6, 4
	v_mov_b32_e32 v84, v0
	s_mov_b32 s2, 0
.LBB43_795:                             ; =>This Inner Loop Header: Depth=1
	scratch_load_b32 v85, v83, off
	ds_load_b32 v86, v82
	v_dual_add_nc_u32 v84, 1, v84 :: v_dual_add_nc_u32 v82, 4, v82
	s_wait_xcnt 0x0
	v_add_nc_u32_e32 v83, 4, v83
	s_delay_alu instid0(VALU_DEP_2)
	v_cmp_lt_u32_e32 vcc_lo, 36, v84
	s_or_b32 s2, vcc_lo, s2
	s_wait_loadcnt_dscnt 0x0
	v_fmac_f32_e32 v81, v85, v86
	s_and_not1_b32 exec_lo, exec_lo, s2
	s_cbranch_execnz .LBB43_795
; %bb.796:
	s_or_b32 exec_lo, exec_lo, s2
.LBB43_797:
	s_delay_alu instid0(SALU_CYCLE_1)
	s_or_b32 exec_lo, exec_lo, s1
	v_mov_b32_e32 v82, 0
	ds_load_b32 v82, v82 offset:152
	s_wait_dscnt 0x0
	v_mul_f32_e32 v81, v81, v82
	scratch_store_b32 off, v81, off offset:152
.LBB43_798:
	s_wait_xcnt 0x0
	s_or_b32 exec_lo, exec_lo, s0
	scratch_load_b32 v81, off, off offset:156
	s_mov_b32 s0, exec_lo
	s_wait_loadcnt 0x0
	ds_store_b32 v1, v81
	s_wait_storecnt_dscnt 0x0
	s_barrier_signal -1
	s_barrier_wait -1
	s_wait_xcnt 0x0
	v_cmpx_gt_u32_e32 39, v0
	s_cbranch_execz .LBB43_808
; %bb.799:
	v_cmp_ne_u32_e32 vcc_lo, 1, v80
	s_cbranch_vccnz .LBB43_801
; %bb.800:
	scratch_load_b32 v81, v7, off
	ds_load_b32 v82, v1
	s_wait_loadcnt_dscnt 0x0
	v_mul_f32_e32 v81, v81, v82
	s_cbranch_execz .LBB43_802
	s_branch .LBB43_803
.LBB43_801:
                                        ; implicit-def: $vgpr81
.LBB43_802:
	ds_load_b32 v81, v1
.LBB43_803:
	s_mov_b32 s1, exec_lo
	v_cmpx_ne_u32_e32 38, v0
	s_cbranch_execz .LBB43_807
; %bb.804:
	v_add_nc_u32_e32 v82, 0xb4, v6
	v_add3_u32 v83, 0, v6, 4
	v_mov_b32_e32 v84, v0
	s_mov_b32 s2, 0
.LBB43_805:                             ; =>This Inner Loop Header: Depth=1
	scratch_load_b32 v85, v83, off
	ds_load_b32 v86, v82
	v_dual_add_nc_u32 v84, 1, v84 :: v_dual_add_nc_u32 v82, 4, v82
	s_wait_xcnt 0x0
	v_add_nc_u32_e32 v83, 4, v83
	s_delay_alu instid0(VALU_DEP_2)
	v_cmp_lt_u32_e32 vcc_lo, 37, v84
	s_or_b32 s2, vcc_lo, s2
	s_wait_loadcnt_dscnt 0x0
	v_fmac_f32_e32 v81, v85, v86
	s_and_not1_b32 exec_lo, exec_lo, s2
	s_cbranch_execnz .LBB43_805
; %bb.806:
	s_or_b32 exec_lo, exec_lo, s2
.LBB43_807:
	s_delay_alu instid0(SALU_CYCLE_1)
	s_or_b32 exec_lo, exec_lo, s1
	v_mov_b32_e32 v82, 0
	ds_load_b32 v82, v82 offset:156
	s_wait_dscnt 0x0
	v_mul_f32_e32 v81, v81, v82
	scratch_store_b32 off, v81, off offset:156
.LBB43_808:
	s_wait_xcnt 0x0
	s_or_b32 exec_lo, exec_lo, s0
	scratch_load_b32 v81, off, off offset:160
	s_mov_b32 s0, exec_lo
	s_wait_loadcnt 0x0
	ds_store_b32 v1, v81
	s_wait_storecnt_dscnt 0x0
	s_barrier_signal -1
	s_barrier_wait -1
	s_wait_xcnt 0x0
	v_cmpx_gt_u32_e32 40, v0
	s_cbranch_execz .LBB43_818
; %bb.809:
	v_cmp_ne_u32_e32 vcc_lo, 1, v80
	s_cbranch_vccnz .LBB43_811
; %bb.810:
	scratch_load_b32 v81, v7, off
	ds_load_b32 v82, v1
	s_wait_loadcnt_dscnt 0x0
	v_mul_f32_e32 v81, v81, v82
	s_cbranch_execz .LBB43_812
	s_branch .LBB43_813
.LBB43_811:
                                        ; implicit-def: $vgpr81
.LBB43_812:
	ds_load_b32 v81, v1
.LBB43_813:
	s_mov_b32 s1, exec_lo
	v_cmpx_ne_u32_e32 39, v0
	s_cbranch_execz .LBB43_817
; %bb.814:
	v_add_nc_u32_e32 v82, 0xb4, v6
	v_add3_u32 v83, 0, v6, 4
	v_mov_b32_e32 v84, v0
	s_mov_b32 s2, 0
.LBB43_815:                             ; =>This Inner Loop Header: Depth=1
	scratch_load_b32 v85, v83, off
	ds_load_b32 v86, v82
	v_dual_add_nc_u32 v84, 1, v84 :: v_dual_add_nc_u32 v82, 4, v82
	s_wait_xcnt 0x0
	v_add_nc_u32_e32 v83, 4, v83
	s_delay_alu instid0(VALU_DEP_2)
	v_cmp_lt_u32_e32 vcc_lo, 38, v84
	s_or_b32 s2, vcc_lo, s2
	s_wait_loadcnt_dscnt 0x0
	v_fmac_f32_e32 v81, v85, v86
	s_and_not1_b32 exec_lo, exec_lo, s2
	s_cbranch_execnz .LBB43_815
; %bb.816:
	s_or_b32 exec_lo, exec_lo, s2
.LBB43_817:
	s_delay_alu instid0(SALU_CYCLE_1)
	s_or_b32 exec_lo, exec_lo, s1
	v_mov_b32_e32 v82, 0
	ds_load_b32 v82, v82 offset:160
	s_wait_dscnt 0x0
	v_mul_f32_e32 v81, v81, v82
	scratch_store_b32 off, v81, off offset:160
.LBB43_818:
	s_wait_xcnt 0x0
	s_or_b32 exec_lo, exec_lo, s0
	scratch_load_b32 v81, off, off offset:164
	s_mov_b32 s0, exec_lo
	s_wait_loadcnt 0x0
	ds_store_b32 v1, v81
	s_wait_storecnt_dscnt 0x0
	s_barrier_signal -1
	s_barrier_wait -1
	s_wait_xcnt 0x0
	v_cmpx_gt_u32_e32 41, v0
	s_cbranch_execz .LBB43_828
; %bb.819:
	v_cmp_ne_u32_e32 vcc_lo, 1, v80
	s_cbranch_vccnz .LBB43_821
; %bb.820:
	scratch_load_b32 v81, v7, off
	ds_load_b32 v82, v1
	s_wait_loadcnt_dscnt 0x0
	v_mul_f32_e32 v81, v81, v82
	s_cbranch_execz .LBB43_822
	s_branch .LBB43_823
.LBB43_821:
                                        ; implicit-def: $vgpr81
.LBB43_822:
	ds_load_b32 v81, v1
.LBB43_823:
	s_mov_b32 s1, exec_lo
	v_cmpx_ne_u32_e32 40, v0
	s_cbranch_execz .LBB43_827
; %bb.824:
	v_add_nc_u32_e32 v82, 0xb4, v6
	v_add3_u32 v83, 0, v6, 4
	v_mov_b32_e32 v84, v0
	s_mov_b32 s2, 0
.LBB43_825:                             ; =>This Inner Loop Header: Depth=1
	scratch_load_b32 v85, v83, off
	ds_load_b32 v86, v82
	v_dual_add_nc_u32 v84, 1, v84 :: v_dual_add_nc_u32 v82, 4, v82
	s_wait_xcnt 0x0
	v_add_nc_u32_e32 v83, 4, v83
	s_delay_alu instid0(VALU_DEP_2)
	v_cmp_lt_u32_e32 vcc_lo, 39, v84
	s_or_b32 s2, vcc_lo, s2
	s_wait_loadcnt_dscnt 0x0
	v_fmac_f32_e32 v81, v85, v86
	s_and_not1_b32 exec_lo, exec_lo, s2
	s_cbranch_execnz .LBB43_825
; %bb.826:
	s_or_b32 exec_lo, exec_lo, s2
.LBB43_827:
	s_delay_alu instid0(SALU_CYCLE_1)
	s_or_b32 exec_lo, exec_lo, s1
	v_mov_b32_e32 v82, 0
	ds_load_b32 v82, v82 offset:164
	s_wait_dscnt 0x0
	v_mul_f32_e32 v81, v81, v82
	scratch_store_b32 off, v81, off offset:164
.LBB43_828:
	s_wait_xcnt 0x0
	s_or_b32 exec_lo, exec_lo, s0
	scratch_load_b32 v81, off, off offset:168
	v_cmp_gt_u32_e64 s0, 42, v0
	s_wait_loadcnt 0x0
	ds_store_b32 v1, v81
	s_wait_storecnt_dscnt 0x0
	s_barrier_signal -1
	s_barrier_wait -1
	s_wait_xcnt 0x0
	s_and_saveexec_b32 s1, s0
	s_cbranch_execz .LBB43_838
; %bb.829:
	v_cmp_ne_u32_e32 vcc_lo, 1, v80
	s_cbranch_vccnz .LBB43_831
; %bb.830:
	scratch_load_b32 v81, v7, off
	ds_load_b32 v82, v1
	s_wait_loadcnt_dscnt 0x0
	v_mul_f32_e32 v81, v81, v82
	s_cbranch_execz .LBB43_832
	s_branch .LBB43_833
.LBB43_831:
                                        ; implicit-def: $vgpr81
.LBB43_832:
	ds_load_b32 v81, v1
.LBB43_833:
	s_mov_b32 s2, exec_lo
	v_cmpx_ne_u32_e32 41, v0
	s_cbranch_execz .LBB43_837
; %bb.834:
	v_add_nc_u32_e32 v82, 0xb4, v6
	v_add3_u32 v83, 0, v6, 4
	v_mov_b32_e32 v84, v0
	s_mov_b32 s3, 0
.LBB43_835:                             ; =>This Inner Loop Header: Depth=1
	scratch_load_b32 v85, v83, off
	ds_load_b32 v86, v82
	v_dual_add_nc_u32 v84, 1, v84 :: v_dual_add_nc_u32 v82, 4, v82
	s_wait_xcnt 0x0
	v_add_nc_u32_e32 v83, 4, v83
	s_delay_alu instid0(VALU_DEP_2)
	v_cmp_lt_u32_e32 vcc_lo, 40, v84
	s_or_b32 s3, vcc_lo, s3
	s_wait_loadcnt_dscnt 0x0
	v_fmac_f32_e32 v81, v85, v86
	s_and_not1_b32 exec_lo, exec_lo, s3
	s_cbranch_execnz .LBB43_835
; %bb.836:
	s_or_b32 exec_lo, exec_lo, s3
.LBB43_837:
	s_delay_alu instid0(SALU_CYCLE_1)
	s_or_b32 exec_lo, exec_lo, s2
	v_mov_b32_e32 v82, 0
	ds_load_b32 v82, v82 offset:168
	s_wait_dscnt 0x0
	v_mul_f32_e32 v81, v81, v82
	scratch_store_b32 off, v81, off offset:168
.LBB43_838:
	s_wait_xcnt 0x0
	s_or_b32 exec_lo, exec_lo, s1
	scratch_load_b32 v81, off, off offset:172
	s_mov_b32 s1, exec_lo
	s_wait_loadcnt 0x0
	ds_store_b32 v1, v81
	s_wait_storecnt_dscnt 0x0
	s_barrier_signal -1
	s_barrier_wait -1
	s_wait_xcnt 0x0
	v_cmpx_ne_u32_e32 43, v0
	s_cbranch_execz .LBB43_848
; %bb.839:
	v_cmp_ne_u32_e32 vcc_lo, 1, v80
	s_cbranch_vccnz .LBB43_841
; %bb.840:
	scratch_load_b32 v7, v7, off
	ds_load_b32 v80, v1
	s_wait_loadcnt_dscnt 0x0
	v_mul_f32_e32 v7, v7, v80
	s_cbranch_execz .LBB43_842
	s_branch .LBB43_843
.LBB43_841:
                                        ; implicit-def: $vgpr7
.LBB43_842:
	ds_load_b32 v7, v1
.LBB43_843:
	s_and_saveexec_b32 s2, s0
	s_cbranch_execz .LBB43_847
; %bb.844:
	v_add_nc_u32_e32 v1, 0xb4, v6
	v_add3_u32 v6, 0, v6, 4
	s_mov_b32 s0, 0
.LBB43_845:                             ; =>This Inner Loop Header: Depth=1
	scratch_load_b32 v80, v6, off
	ds_load_b32 v81, v1
	v_dual_add_nc_u32 v0, 1, v0 :: v_dual_add_nc_u32 v1, 4, v1
	s_wait_xcnt 0x0
	v_add_nc_u32_e32 v6, 4, v6
	s_delay_alu instid0(VALU_DEP_2)
	v_cmp_lt_u32_e32 vcc_lo, 41, v0
	s_or_b32 s0, vcc_lo, s0
	s_wait_loadcnt_dscnt 0x0
	v_fmac_f32_e32 v7, v80, v81
	s_and_not1_b32 exec_lo, exec_lo, s0
	s_cbranch_execnz .LBB43_845
; %bb.846:
	s_or_b32 exec_lo, exec_lo, s0
.LBB43_847:
	s_delay_alu instid0(SALU_CYCLE_1)
	s_or_b32 exec_lo, exec_lo, s2
	v_mov_b32_e32 v0, 0
	ds_load_b32 v0, v0 offset:172
	s_wait_dscnt 0x0
	v_mul_f32_e32 v0, v7, v0
	scratch_store_b32 off, v0, off offset:172
.LBB43_848:
	s_wait_xcnt 0x0
	s_or_b32 exec_lo, exec_lo, s1
.LBB43_849:
	s_clause 0x4
	scratch_load_b128 v[80:83], off, off
	scratch_load_b128 v[84:87], off, off offset:16
	scratch_load_b128 v[88:91], off, off offset:32
	;; [unrolled: 1-line block ×4, first 2 shown]
	s_wait_loadcnt 0x4
	s_clause 0x1
	global_store_b32 v[2:3], v80, off
	global_store_b32 v[4:5], v81, off
	scratch_load_b128 v[0:3], off, off offset:80
	s_clause 0x1
	global_store_b32 v[100:101], v82, off
	global_store_b32 v[102:103], v83, off
	s_clause 0x1
	scratch_load_b128 v[4:7], off, off offset:96
	scratch_load_b128 v[80:83], off, off offset:112
	s_wait_loadcnt 0x6
	s_clause 0x1
	global_store_b32 v[96:97], v84, off
	global_store_b32 v[98:99], v85, off
	scratch_load_b128 v[96:99], off, off offset:128
	s_clause 0x1
	global_store_b32 v[92:93], v86, off
	global_store_b32 v[94:95], v87, off
	s_clause 0x1
	scratch_load_b128 v[84:87], off, off offset:144
	scratch_load_b128 v[92:95], off, off offset:160
	s_wait_loadcnt 0x8
	s_clause 0x3
	global_store_b32 v[8:9], v88, off
	global_store_b32 v[10:11], v89, off
	global_store_b32 v[12:13], v90, off
	global_store_b32 v[14:15], v91, off
	s_wait_loadcnt 0x7
	s_clause 0x3
	global_store_b32 v[16:17], v104, off
	global_store_b32 v[18:19], v105, off
	global_store_b32 v[20:21], v106, off
	global_store_b32 v[22:23], v107, off
	;; [unrolled: 6-line block ×9, first 2 shown]
.LBB43_850:
	s_sendmsg sendmsg(MSG_DEALLOC_VGPRS)
	s_endpgm
	.section	.rodata,"a",@progbits
	.p2align	6, 0x0
	.amdhsa_kernel _ZN9rocsolver6v33100L18trti2_kernel_smallILi44EfPfEEv13rocblas_fill_17rocblas_diagonal_T1_iil
		.amdhsa_group_segment_fixed_size 352
		.amdhsa_private_segment_fixed_size 192
		.amdhsa_kernarg_size 32
		.amdhsa_user_sgpr_count 2
		.amdhsa_user_sgpr_dispatch_ptr 0
		.amdhsa_user_sgpr_queue_ptr 0
		.amdhsa_user_sgpr_kernarg_segment_ptr 1
		.amdhsa_user_sgpr_dispatch_id 0
		.amdhsa_user_sgpr_kernarg_preload_length 0
		.amdhsa_user_sgpr_kernarg_preload_offset 0
		.amdhsa_user_sgpr_private_segment_size 0
		.amdhsa_wavefront_size32 1
		.amdhsa_uses_dynamic_stack 0
		.amdhsa_enable_private_segment 1
		.amdhsa_system_sgpr_workgroup_id_x 1
		.amdhsa_system_sgpr_workgroup_id_y 0
		.amdhsa_system_sgpr_workgroup_id_z 0
		.amdhsa_system_sgpr_workgroup_info 0
		.amdhsa_system_vgpr_workitem_id 0
		.amdhsa_next_free_vgpr 112
		.amdhsa_next_free_sgpr 19
		.amdhsa_named_barrier_count 0
		.amdhsa_reserve_vcc 1
		.amdhsa_float_round_mode_32 0
		.amdhsa_float_round_mode_16_64 0
		.amdhsa_float_denorm_mode_32 3
		.amdhsa_float_denorm_mode_16_64 3
		.amdhsa_fp16_overflow 0
		.amdhsa_memory_ordered 1
		.amdhsa_forward_progress 1
		.amdhsa_inst_pref_size 191
		.amdhsa_round_robin_scheduling 0
		.amdhsa_exception_fp_ieee_invalid_op 0
		.amdhsa_exception_fp_denorm_src 0
		.amdhsa_exception_fp_ieee_div_zero 0
		.amdhsa_exception_fp_ieee_overflow 0
		.amdhsa_exception_fp_ieee_underflow 0
		.amdhsa_exception_fp_ieee_inexact 0
		.amdhsa_exception_int_div_zero 0
	.end_amdhsa_kernel
	.section	.text._ZN9rocsolver6v33100L18trti2_kernel_smallILi44EfPfEEv13rocblas_fill_17rocblas_diagonal_T1_iil,"axG",@progbits,_ZN9rocsolver6v33100L18trti2_kernel_smallILi44EfPfEEv13rocblas_fill_17rocblas_diagonal_T1_iil,comdat
.Lfunc_end43:
	.size	_ZN9rocsolver6v33100L18trti2_kernel_smallILi44EfPfEEv13rocblas_fill_17rocblas_diagonal_T1_iil, .Lfunc_end43-_ZN9rocsolver6v33100L18trti2_kernel_smallILi44EfPfEEv13rocblas_fill_17rocblas_diagonal_T1_iil
                                        ; -- End function
	.set _ZN9rocsolver6v33100L18trti2_kernel_smallILi44EfPfEEv13rocblas_fill_17rocblas_diagonal_T1_iil.num_vgpr, 112
	.set _ZN9rocsolver6v33100L18trti2_kernel_smallILi44EfPfEEv13rocblas_fill_17rocblas_diagonal_T1_iil.num_agpr, 0
	.set _ZN9rocsolver6v33100L18trti2_kernel_smallILi44EfPfEEv13rocblas_fill_17rocblas_diagonal_T1_iil.numbered_sgpr, 19
	.set _ZN9rocsolver6v33100L18trti2_kernel_smallILi44EfPfEEv13rocblas_fill_17rocblas_diagonal_T1_iil.num_named_barrier, 0
	.set _ZN9rocsolver6v33100L18trti2_kernel_smallILi44EfPfEEv13rocblas_fill_17rocblas_diagonal_T1_iil.private_seg_size, 192
	.set _ZN9rocsolver6v33100L18trti2_kernel_smallILi44EfPfEEv13rocblas_fill_17rocblas_diagonal_T1_iil.uses_vcc, 1
	.set _ZN9rocsolver6v33100L18trti2_kernel_smallILi44EfPfEEv13rocblas_fill_17rocblas_diagonal_T1_iil.uses_flat_scratch, 1
	.set _ZN9rocsolver6v33100L18trti2_kernel_smallILi44EfPfEEv13rocblas_fill_17rocblas_diagonal_T1_iil.has_dyn_sized_stack, 0
	.set _ZN9rocsolver6v33100L18trti2_kernel_smallILi44EfPfEEv13rocblas_fill_17rocblas_diagonal_T1_iil.has_recursion, 0
	.set _ZN9rocsolver6v33100L18trti2_kernel_smallILi44EfPfEEv13rocblas_fill_17rocblas_diagonal_T1_iil.has_indirect_call, 0
	.section	.AMDGPU.csdata,"",@progbits
; Kernel info:
; codeLenInByte = 24340
; TotalNumSgprs: 21
; NumVgprs: 112
; ScratchSize: 192
; MemoryBound: 0
; FloatMode: 240
; IeeeMode: 1
; LDSByteSize: 352 bytes/workgroup (compile time only)
; SGPRBlocks: 0
; VGPRBlocks: 6
; NumSGPRsForWavesPerEU: 21
; NumVGPRsForWavesPerEU: 112
; NamedBarCnt: 0
; Occupancy: 9
; WaveLimiterHint : 0
; COMPUTE_PGM_RSRC2:SCRATCH_EN: 1
; COMPUTE_PGM_RSRC2:USER_SGPR: 2
; COMPUTE_PGM_RSRC2:TRAP_HANDLER: 0
; COMPUTE_PGM_RSRC2:TGID_X_EN: 1
; COMPUTE_PGM_RSRC2:TGID_Y_EN: 0
; COMPUTE_PGM_RSRC2:TGID_Z_EN: 0
; COMPUTE_PGM_RSRC2:TIDIG_COMP_CNT: 0
	.section	.text._ZN9rocsolver6v33100L18trti2_kernel_smallILi45EfPfEEv13rocblas_fill_17rocblas_diagonal_T1_iil,"axG",@progbits,_ZN9rocsolver6v33100L18trti2_kernel_smallILi45EfPfEEv13rocblas_fill_17rocblas_diagonal_T1_iil,comdat
	.globl	_ZN9rocsolver6v33100L18trti2_kernel_smallILi45EfPfEEv13rocblas_fill_17rocblas_diagonal_T1_iil ; -- Begin function _ZN9rocsolver6v33100L18trti2_kernel_smallILi45EfPfEEv13rocblas_fill_17rocblas_diagonal_T1_iil
	.p2align	8
	.type	_ZN9rocsolver6v33100L18trti2_kernel_smallILi45EfPfEEv13rocblas_fill_17rocblas_diagonal_T1_iil,@function
_ZN9rocsolver6v33100L18trti2_kernel_smallILi45EfPfEEv13rocblas_fill_17rocblas_diagonal_T1_iil: ; @_ZN9rocsolver6v33100L18trti2_kernel_smallILi45EfPfEEv13rocblas_fill_17rocblas_diagonal_T1_iil
; %bb.0:
	s_mov_b32 s2, exec_lo
	v_cmpx_gt_u32_e32 45, v0
	s_cbranch_execz .LBB44_870
; %bb.1:
	s_load_b256 s[4:11], s[0:1], 0x0
	s_wait_xcnt 0x0
	s_bfe_u32 s0, ttmp6, 0x4000c
	s_and_b32 s1, ttmp6, 15
	s_add_co_i32 s0, s0, 1
	s_getreg_b32 s2, hwreg(HW_REG_IB_STS2, 6, 4)
	s_mul_i32 s0, ttmp9, s0
	v_lshlrev_b32_e32 v6, 2, v0
	s_add_co_i32 s0, s1, s0
	v_mov_b32_e32 v7, 0
	s_wait_kmcnt 0x0
	v_add3_u32 v8, s9, s9, v0
	s_ashr_i32 s1, s8, 31
	s_cmp_eq_u32 s2, 0
	s_cselect_b32 s2, ttmp9, s0
	s_delay_alu instid0(VALU_DEP_1)
	v_add_nc_u32_e32 v10, s9, v8
	s_ashr_i32 s3, s2, 31
	s_mov_b32 s0, s8
	s_mul_u64 s[2:3], s[10:11], s[2:3]
	s_lshl_b64 s[0:1], s[0:1], 2
	v_add_nc_u32_e32 v12, s9, v10
	s_lshl_b64 s[2:3], s[2:3], 2
	v_ashrrev_i32_e32 v9, 31, v8
	s_add_nc_u64 s[2:3], s[6:7], s[2:3]
	s_delay_alu instid0(VALU_DEP_2)
	v_add_nc_u32_e32 v14, s9, v12
	s_add_nc_u64 s[6:7], s[2:3], s[0:1]
	s_mov_b32 s0, s9
	v_add_nc_u64_e32 v[2:3], s[6:7], v[6:7]
	s_ashr_i32 s1, s9, 31
	v_add_nc_u32_e32 v16, s9, v14
	v_ashrrev_i32_e32 v11, 31, v10
	s_cmp_lg_u32 s5, 0x84
	s_cselect_b32 s3, -1, 0
	s_delay_alu instid0(VALU_DEP_2)
	v_add_nc_u32_e32 v18, s9, v16
	v_lshl_add_u64 v[4:5], s[0:1], 2, v[2:3]
	s_clause 0x3
	global_load_b32 v76, v0, s[6:7] scale_offset
	global_load_b32 v77, v[4:5], off
	global_load_b32 v78, v8, s[6:7] scale_offset
	global_load_b32 v79, v10, s[6:7] scale_offset
	v_add_nc_u32_e32 v20, s9, v18
	s_clause 0x3
	global_load_b32 v80, v12, s[6:7] scale_offset
	global_load_b32 v81, v14, s[6:7] scale_offset
	;; [unrolled: 1-line block ×4, first 2 shown]
	v_dual_ashrrev_i32 v13, 31, v12 :: v_dual_ashrrev_i32 v15, 31, v14
	v_dual_ashrrev_i32 v17, 31, v16 :: v_dual_ashrrev_i32 v19, 31, v18
	v_add_nc_u32_e32 v22, s9, v20
	s_cmp_eq_u32 s5, 0x84
	s_delay_alu instid0(VALU_DEP_1) | instskip(NEXT) | instid1(VALU_DEP_1)
	v_add_nc_u32_e32 v24, s9, v22
	v_add_nc_u32_e32 v26, s9, v24
	s_delay_alu instid0(VALU_DEP_1) | instskip(NEXT) | instid1(VALU_DEP_1)
	v_dual_add_nc_u32 v28, s9, v26 :: v_dual_ashrrev_i32 v21, 31, v20
	v_dual_ashrrev_i32 v23, 31, v22 :: v_dual_add_nc_u32 v30, s9, v28
	s_delay_alu instid0(VALU_DEP_1) | instskip(SKIP_1) | instid1(VALU_DEP_1)
	v_dual_ashrrev_i32 v29, 31, v28 :: v_dual_ashrrev_i32 v31, 31, v30
	v_dual_add_nc_u32 v32, s9, v30 :: v_dual_ashrrev_i32 v25, 31, v24
	v_dual_ashrrev_i32 v27, 31, v26 :: v_dual_add_nc_u32 v34, s9, v32
	s_delay_alu instid0(VALU_DEP_1) | instskip(NEXT) | instid1(VALU_DEP_1)
	v_add_nc_u32_e32 v36, s9, v34
	v_dual_add_nc_u32 v38, s9, v36 :: v_dual_ashrrev_i32 v37, 31, v36
	s_delay_alu instid0(VALU_DEP_1)
	v_dual_ashrrev_i32 v39, 31, v38 :: v_dual_add_nc_u32 v40, s9, v38
	s_clause 0x7
	global_load_b32 v84, v20, s[6:7] scale_offset
	global_load_b32 v85, v22, s[6:7] scale_offset
	;; [unrolled: 1-line block ×8, first 2 shown]
	v_dual_ashrrev_i32 v33, 31, v32 :: v_dual_ashrrev_i32 v35, 31, v34
	v_add_nc_u32_e32 v42, s9, v40
	s_delay_alu instid0(VALU_DEP_1) | instskip(NEXT) | instid1(VALU_DEP_1)
	v_add_nc_u32_e32 v44, s9, v42
	v_add_nc_u32_e32 v46, s9, v44
	s_delay_alu instid0(VALU_DEP_1)
	v_add_nc_u32_e32 v48, s9, v46
	s_clause 0x3
	global_load_b32 v92, v36, s[6:7] scale_offset
	global_load_b32 v93, v38, s[6:7] scale_offset
	global_load_b32 v94, v40, s[6:7] scale_offset
	global_load_b32 v95, v42, s[6:7] scale_offset
	v_dual_ashrrev_i32 v41, 31, v40 :: v_dual_ashrrev_i32 v43, 31, v42
	v_dual_add_nc_u32 v50, s9, v48 :: v_dual_ashrrev_i32 v49, 31, v48
	s_delay_alu instid0(VALU_DEP_1)
	v_dual_ashrrev_i32 v51, 31, v50 :: v_dual_add_nc_u32 v52, s9, v50
	s_clause 0x3
	global_load_b32 v96, v44, s[6:7] scale_offset
	global_load_b32 v97, v46, s[6:7] scale_offset
	global_load_b32 v98, v48, s[6:7] scale_offset
	global_load_b32 v99, v50, s[6:7] scale_offset
	v_dual_ashrrev_i32 v45, 31, v44 :: v_dual_ashrrev_i32 v47, 31, v46
	v_add_nc_u32_e32 v54, s9, v52
	s_delay_alu instid0(VALU_DEP_1) | instskip(NEXT) | instid1(VALU_DEP_1)
	v_add_nc_u32_e32 v56, s9, v54
	v_add_nc_u32_e32 v58, s9, v56
	s_delay_alu instid0(VALU_DEP_1) | instskip(NEXT) | instid1(VALU_DEP_1)
	v_dual_add_nc_u32 v60, s9, v58 :: v_dual_ashrrev_i32 v53, 31, v52
	v_dual_ashrrev_i32 v55, 31, v54 :: v_dual_add_nc_u32 v62, s9, v60
	s_delay_alu instid0(VALU_DEP_1) | instskip(SKIP_1) | instid1(VALU_DEP_1)
	v_dual_ashrrev_i32 v61, 31, v60 :: v_dual_ashrrev_i32 v63, 31, v62
	v_dual_add_nc_u32 v64, s9, v62 :: v_dual_ashrrev_i32 v57, 31, v56
	v_dual_ashrrev_i32 v59, 31, v58 :: v_dual_add_nc_u32 v66, s9, v64
	s_delay_alu instid0(VALU_DEP_1) | instskip(NEXT) | instid1(VALU_DEP_1)
	v_add_nc_u32_e32 v68, s9, v66
	v_add_nc_u32_e32 v70, s9, v68
	s_delay_alu instid0(VALU_DEP_1)
	v_add_nc_u32_e32 v72, s9, v70
	s_clause 0x7
	global_load_b32 v100, v52, s[6:7] scale_offset
	global_load_b32 v101, v54, s[6:7] scale_offset
	;; [unrolled: 1-line block ×8, first 2 shown]
	v_dual_ashrrev_i32 v65, 31, v64 :: v_dual_ashrrev_i32 v67, 31, v66
	v_dual_add_nc_u32 v74, s9, v72 :: v_dual_ashrrev_i32 v73, 31, v72
	s_delay_alu instid0(VALU_DEP_1)
	v_ashrrev_i32_e32 v75, 31, v74
	s_wait_loadcnt 0x1c
	scratch_store_b128 off, v[76:79], off
	s_wait_xcnt 0x0
	v_add_nc_u32_e32 v76, s9, v74
	s_wait_loadcnt 0x18
	scratch_store_b128 off, v[80:83], off offset:16
	v_dual_ashrrev_i32 v69, 31, v68 :: v_dual_ashrrev_i32 v71, 31, v70
	v_add_nc_u32_e32 v78, s9, v76
	s_wait_xcnt 0x0
	s_delay_alu instid0(VALU_DEP_1) | instskip(NEXT) | instid1(VALU_DEP_1)
	v_add_nc_u32_e32 v80, s9, v78
	v_add_nc_u32_e32 v82, s9, v80
	s_wait_loadcnt 0x14
	scratch_store_b128 off, v[84:87], off offset:32
	s_wait_xcnt 0x0
	v_add_nc_u32_e32 v84, s9, v82
	s_wait_loadcnt 0x10
	scratch_store_b128 off, v[88:91], off offset:48
	s_wait_loadcnt 0xc
	scratch_store_b128 off, v[92:95], off offset:64
	v_add_nc_u32_e32 v86, s9, v84
	v_dual_ashrrev_i32 v77, 31, v76 :: v_dual_ashrrev_i32 v79, 31, v78
	s_wait_xcnt 0x0
	v_dual_mov_b32 v94, -1.0 :: v_dual_ashrrev_i32 v85, 31, v84
	s_delay_alu instid0(VALU_DEP_3)
	v_add_nc_u32_e32 v88, s9, v86
	s_clause 0x7
	global_load_b32 v108, v68, s[6:7] scale_offset
	global_load_b32 v109, v70, s[6:7] scale_offset
	global_load_b32 v110, v72, s[6:7] scale_offset
	global_load_b32 v111, v74, s[6:7] scale_offset
	global_load_b32 v112, v76, s[6:7] scale_offset
	global_load_b32 v113, v78, s[6:7] scale_offset
	global_load_b32 v114, v80, s[6:7] scale_offset
	global_load_b32 v115, v82, s[6:7] scale_offset
	v_dual_ashrrev_i32 v81, 31, v80 :: v_dual_ashrrev_i32 v83, 31, v82
	v_dual_ashrrev_i32 v87, 31, v86 :: v_dual_add_nc_u32 v90, s9, v88
	s_wait_loadcnt 0x10
	scratch_store_b128 off, v[96:99], off offset:80
	v_dual_ashrrev_i32 v89, 31, v88 :: v_dual_ashrrev_i32 v91, 31, v90
	v_add_nc_u32_e32 v92, s9, v90
	s_delay_alu instid0(VALU_DEP_1)
	v_ashrrev_i32_e32 v93, 31, v92
	s_wait_loadcnt 0xc
	scratch_store_b128 off, v[100:103], off offset:96
	s_wait_loadcnt 0x8
	scratch_store_b128 off, v[104:107], off offset:112
	s_clause 0x4
	global_load_b32 v96, v84, s[6:7] scale_offset
	global_load_b32 v97, v86, s[6:7] scale_offset
	;; [unrolled: 1-line block ×5, first 2 shown]
	s_wait_loadcnt 0x9
	scratch_store_b128 off, v[108:111], off offset:128
	s_wait_loadcnt 0x5
	scratch_store_b128 off, v[112:115], off offset:144
	s_wait_loadcnt 0x1
	scratch_store_b128 off, v[96:99], off offset:160
	s_wait_loadcnt 0x0
	scratch_store_b32 off, v1, off offset:176
	s_cbranch_scc1 .LBB44_3
; %bb.2:
	scratch_load_b32 v1, v0, off scale_offset
	s_wait_loadcnt 0x0
	v_div_scale_f32 v7, null, v1, v1, 1.0
	s_delay_alu instid0(VALU_DEP_1) | instskip(SKIP_1) | instid1(TRANS32_DEP_1)
	v_rcp_f32_e32 v94, v7
	v_nop
	v_fma_f32 v95, -v7, v94, 1.0
	s_delay_alu instid0(VALU_DEP_1) | instskip(SKIP_1) | instid1(VALU_DEP_1)
	v_fmac_f32_e32 v94, v95, v94
	v_div_scale_f32 v95, vcc_lo, 1.0, v1, 1.0
	v_mul_f32_e32 v96, v95, v94
	s_delay_alu instid0(VALU_DEP_1) | instskip(NEXT) | instid1(VALU_DEP_1)
	v_fma_f32 v97, -v7, v96, v95
	v_fmac_f32_e32 v96, v97, v94
	s_delay_alu instid0(VALU_DEP_1) | instskip(NEXT) | instid1(VALU_DEP_1)
	v_fma_f32 v7, -v7, v96, v95
	v_div_fmas_f32 v7, v7, v94, v96
	s_delay_alu instid0(VALU_DEP_1) | instskip(NEXT) | instid1(VALU_DEP_1)
	v_div_fixup_f32 v1, v7, v1, 1.0
	v_xor_b32_e32 v94, 0x80000000, v1
	scratch_store_b32 v0, v1, off scale_offset
.LBB44_3:
	s_wait_xcnt 0x0
	v_add_nc_u32_e32 v1, 0xc0, v6
	v_mov_b32_e32 v7, v6
	s_cmp_eq_u32 s4, 0x79
	s_mov_b32 s1, -1
	ds_store_b32 v6, v94
	s_cbranch_scc1 .LBB44_437
; %bb.4:
	scratch_load_b32 v94, off, off offset:172
	v_cmp_eq_u32_e64 s0, 44, v0
	s_movk_i32 s1, 0x50
	s_movk_i32 s2, 0x60
	;; [unrolled: 1-line block ×6, first 2 shown]
	s_wait_loadcnt 0x0
	ds_store_b32 v1, v94
	s_wait_storecnt_dscnt 0x0
	s_barrier_signal -1
	s_barrier_wait -1
	s_wait_xcnt 0x0
	s_and_saveexec_b32 s4, s0
	s_cbranch_execz .LBB44_10
; %bb.5:
	s_and_b32 vcc_lo, exec_lo, s3
	s_cbranch_vccz .LBB44_7
; %bb.6:
	scratch_load_b32 v94, v7, off
	ds_load_b32 v95, v1
	s_wait_loadcnt_dscnt 0x0
	v_mul_f32_e32 v94, v94, v95
	s_cbranch_execz .LBB44_8
	s_branch .LBB44_9
.LBB44_7:
                                        ; implicit-def: $vgpr94
.LBB44_8:
	ds_load_b32 v94, v1
.LBB44_9:
	v_mov_b32_e32 v95, 0
	ds_load_b32 v95, v95 offset:172
	s_wait_dscnt 0x0
	v_mul_f32_e32 v94, v94, v95
	scratch_store_b32 off, v94, off offset:172
.LBB44_10:
	s_wait_xcnt 0x0
	s_or_b32 exec_lo, exec_lo, s4
	scratch_load_b32 v94, off, off offset:168
	s_mov_b32 s10, s1
	v_cmp_lt_u32_e64 s1, 42, v0
	s_mov_b32 s4, 16
	s_mov_b32 s5, 32
	s_mov_b32 s8, 48
	s_mov_b32 s9, 64
	s_mov_b32 s11, s2
	s_wait_loadcnt 0x0
	ds_store_b32 v1, v94
	s_wait_storecnt_dscnt 0x0
	s_barrier_signal -1
	s_barrier_wait -1
	s_wait_xcnt 0x0
	s_and_saveexec_b32 s2, s1
	s_cbranch_execz .LBB44_16
; %bb.11:
	s_and_not1_b32 vcc_lo, exec_lo, s3
	s_cbranch_vccnz .LBB44_13
; %bb.12:
	scratch_load_b32 v94, v7, off
	ds_load_b32 v95, v1
	s_wait_loadcnt_dscnt 0x0
	v_mul_f32_e32 v94, v94, v95
	s_cbranch_execz .LBB44_14
	s_branch .LBB44_15
.LBB44_13:
                                        ; implicit-def: $vgpr94
.LBB44_14:
	ds_load_b32 v94, v1
.LBB44_15:
	scratch_load_b32 v95, off, off offset:172
	v_mov_b32_e32 v96, 0
	ds_load_2addr_b32 v[96:97], v96 offset0:42 offset1:91
	s_wait_loadcnt_dscnt 0x0
	v_fma_f32 v95, v95, v97, v94
	s_delay_alu instid0(VALU_DEP_1) | instskip(NEXT) | instid1(VALU_DEP_1)
	v_cndmask_b32_e64 v94, v94, v95, s0
	v_mul_f32_e32 v94, v94, v96
	scratch_store_b32 off, v94, off offset:168
.LBB44_16:
	s_wait_xcnt 0x0
	s_or_b32 exec_lo, exec_lo, s2
	scratch_load_b32 v94, off, off offset:164
	v_cmp_lt_u32_e64 s0, 41, v0
	s_wait_loadcnt 0x0
	ds_store_b32 v1, v94
	s_wait_storecnt_dscnt 0x0
	s_barrier_signal -1
	s_barrier_wait -1
	s_wait_xcnt 0x0
	s_and_saveexec_b32 s2, s0
	s_cbranch_execz .LBB44_26
; %bb.17:
	s_and_not1_b32 vcc_lo, exec_lo, s3
	s_cbranch_vccnz .LBB44_19
; %bb.18:
	scratch_load_b32 v94, v7, off
	ds_load_b32 v95, v1
	s_wait_loadcnt_dscnt 0x0
	v_mul_f32_e32 v94, v94, v95
	s_cbranch_execz .LBB44_20
	s_branch .LBB44_21
.LBB44_19:
                                        ; implicit-def: $vgpr94
.LBB44_20:
	ds_load_b32 v94, v1
.LBB44_21:
	s_and_saveexec_b32 s16, s1
	s_cbranch_execz .LBB44_25
; %bb.22:
	v_subrev_nc_u32_e32 v95, 42, v0
	s_movk_i32 s1, 0xa8
	s_movk_i32 s18, 0x168
	s_mov_b32 s17, 0
.LBB44_23:                              ; =>This Inner Loop Header: Depth=1
	scratch_load_b32 v96, off, s1
	v_dual_mov_b32 v97, s18 :: v_dual_add_nc_u32 v95, -1, v95
	s_add_co_i32 s18, s18, 4
	s_wait_xcnt 0x0
	s_add_co_i32 s1, s1, 4
	ds_load_b32 v97, v97
	v_cmp_eq_u32_e32 vcc_lo, 0, v95
	s_or_b32 s17, vcc_lo, s17
	s_wait_loadcnt_dscnt 0x0
	v_fmac_f32_e32 v94, v96, v97
	s_and_not1_b32 exec_lo, exec_lo, s17
	s_cbranch_execnz .LBB44_23
; %bb.24:
	s_or_b32 exec_lo, exec_lo, s17
.LBB44_25:
	s_delay_alu instid0(SALU_CYCLE_1)
	s_or_b32 exec_lo, exec_lo, s16
	v_mov_b32_e32 v95, 0
	ds_load_b32 v95, v95 offset:164
	s_wait_dscnt 0x0
	v_mul_f32_e32 v94, v94, v95
	scratch_store_b32 off, v94, off offset:164
.LBB44_26:
	s_wait_xcnt 0x0
	s_or_b32 exec_lo, exec_lo, s2
	scratch_load_b32 v94, off, off offset:160
	v_cmp_lt_u32_e64 s1, 40, v0
	s_wait_loadcnt 0x0
	ds_store_b32 v1, v94
	s_wait_storecnt_dscnt 0x0
	s_barrier_signal -1
	s_barrier_wait -1
	s_wait_xcnt 0x0
	s_and_saveexec_b32 s2, s1
	s_cbranch_execz .LBB44_36
; %bb.27:
	s_and_not1_b32 vcc_lo, exec_lo, s3
	s_cbranch_vccnz .LBB44_29
; %bb.28:
	scratch_load_b32 v94, v7, off
	ds_load_b32 v95, v1
	s_wait_loadcnt_dscnt 0x0
	v_mul_f32_e32 v94, v94, v95
	s_cbranch_execz .LBB44_30
	s_branch .LBB44_31
.LBB44_29:
                                        ; implicit-def: $vgpr94
.LBB44_30:
	ds_load_b32 v94, v1
.LBB44_31:
	s_and_saveexec_b32 s16, s0
	s_cbranch_execz .LBB44_35
; %bb.32:
	v_subrev_nc_u32_e32 v95, 41, v0
	s_movk_i32 s0, 0xa4
	s_movk_i32 s18, 0x164
	s_mov_b32 s17, 0
.LBB44_33:                              ; =>This Inner Loop Header: Depth=1
	scratch_load_b32 v96, off, s0
	v_dual_mov_b32 v97, s18 :: v_dual_add_nc_u32 v95, -1, v95
	s_add_co_i32 s18, s18, 4
	s_wait_xcnt 0x0
	s_add_co_i32 s0, s0, 4
	ds_load_b32 v97, v97
	v_cmp_eq_u32_e32 vcc_lo, 0, v95
	s_or_b32 s17, vcc_lo, s17
	s_wait_loadcnt_dscnt 0x0
	v_fmac_f32_e32 v94, v96, v97
	s_and_not1_b32 exec_lo, exec_lo, s17
	s_cbranch_execnz .LBB44_33
; %bb.34:
	s_or_b32 exec_lo, exec_lo, s17
.LBB44_35:
	s_delay_alu instid0(SALU_CYCLE_1)
	s_or_b32 exec_lo, exec_lo, s16
	v_mov_b32_e32 v95, 0
	ds_load_b32 v95, v95 offset:160
	s_wait_dscnt 0x0
	v_mul_f32_e32 v94, v94, v95
	scratch_store_b32 off, v94, off offset:160
.LBB44_36:
	s_wait_xcnt 0x0
	s_or_b32 exec_lo, exec_lo, s2
	scratch_load_b32 v94, off, off offset:156
	v_cmp_lt_u32_e64 s2, 39, v0
	s_wait_loadcnt 0x0
	ds_store_b32 v1, v94
	s_wait_storecnt_dscnt 0x0
	s_barrier_signal -1
	s_barrier_wait -1
	s_wait_xcnt 0x0
	s_and_saveexec_b32 s0, s2
	s_cbranch_execz .LBB44_46
; %bb.37:
	s_and_not1_b32 vcc_lo, exec_lo, s3
	s_cbranch_vccnz .LBB44_39
; %bb.38:
	scratch_load_b32 v94, v7, off
	ds_load_b32 v95, v1
	s_wait_loadcnt_dscnt 0x0
	v_mul_f32_e32 v94, v94, v95
	s_cbranch_execz .LBB44_40
	s_branch .LBB44_41
.LBB44_39:
                                        ; implicit-def: $vgpr94
.LBB44_40:
	ds_load_b32 v94, v1
.LBB44_41:
	s_and_saveexec_b32 s16, s1
	s_cbranch_execz .LBB44_45
; %bb.42:
	v_subrev_nc_u32_e32 v95, 40, v0
	s_movk_i32 s17, 0x160
	s_mov_b32 s1, 0
.LBB44_43:                              ; =>This Inner Loop Header: Depth=1
	scratch_load_b32 v96, off, s15
	v_dual_mov_b32 v97, s17 :: v_dual_add_nc_u32 v95, -1, v95
	s_add_co_i32 s17, s17, 4
	s_wait_xcnt 0x0
	s_add_co_i32 s15, s15, 4
	ds_load_b32 v97, v97
	v_cmp_eq_u32_e32 vcc_lo, 0, v95
	s_or_b32 s1, vcc_lo, s1
	s_wait_loadcnt_dscnt 0x0
	v_fmac_f32_e32 v94, v96, v97
	s_and_not1_b32 exec_lo, exec_lo, s1
	s_cbranch_execnz .LBB44_43
; %bb.44:
	s_or_b32 exec_lo, exec_lo, s1
.LBB44_45:
	s_delay_alu instid0(SALU_CYCLE_1)
	s_or_b32 exec_lo, exec_lo, s16
	v_mov_b32_e32 v95, 0
	ds_load_b32 v95, v95 offset:156
	s_wait_dscnt 0x0
	v_mul_f32_e32 v94, v94, v95
	scratch_store_b32 off, v94, off offset:156
.LBB44_46:
	s_wait_xcnt 0x0
	s_or_b32 exec_lo, exec_lo, s0
	scratch_load_b32 v94, off, off offset:152
	v_cmp_lt_u32_e64 s0, 38, v0
	s_wait_loadcnt 0x0
	ds_store_b32 v1, v94
	s_wait_storecnt_dscnt 0x0
	s_barrier_signal -1
	s_barrier_wait -1
	s_wait_xcnt 0x0
	s_and_saveexec_b32 s1, s0
	s_cbranch_execz .LBB44_56
; %bb.47:
	s_and_not1_b32 vcc_lo, exec_lo, s3
	s_cbranch_vccnz .LBB44_49
; %bb.48:
	scratch_load_b32 v94, v7, off
	ds_load_b32 v95, v1
	s_wait_loadcnt_dscnt 0x0
	v_mul_f32_e32 v94, v94, v95
	s_cbranch_execz .LBB44_50
	s_branch .LBB44_51
.LBB44_49:
                                        ; implicit-def: $vgpr94
.LBB44_50:
	ds_load_b32 v94, v1
.LBB44_51:
	s_and_saveexec_b32 s15, s2
	s_cbranch_execz .LBB44_55
; %bb.52:
	v_subrev_nc_u32_e32 v95, 39, v0
	s_movk_i32 s2, 0x9c
	s_movk_i32 s17, 0x15c
	s_mov_b32 s16, 0
.LBB44_53:                              ; =>This Inner Loop Header: Depth=1
	scratch_load_b32 v96, off, s2
	v_dual_mov_b32 v97, s17 :: v_dual_add_nc_u32 v95, -1, v95
	s_add_co_i32 s17, s17, 4
	s_wait_xcnt 0x0
	s_add_co_i32 s2, s2, 4
	ds_load_b32 v97, v97
	v_cmp_eq_u32_e32 vcc_lo, 0, v95
	s_or_b32 s16, vcc_lo, s16
	s_wait_loadcnt_dscnt 0x0
	v_fmac_f32_e32 v94, v96, v97
	s_and_not1_b32 exec_lo, exec_lo, s16
	s_cbranch_execnz .LBB44_53
; %bb.54:
	s_or_b32 exec_lo, exec_lo, s16
.LBB44_55:
	s_delay_alu instid0(SALU_CYCLE_1)
	s_or_b32 exec_lo, exec_lo, s15
	v_mov_b32_e32 v95, 0
	ds_load_b32 v95, v95 offset:152
	s_wait_dscnt 0x0
	v_mul_f32_e32 v94, v94, v95
	scratch_store_b32 off, v94, off offset:152
.LBB44_56:
	s_wait_xcnt 0x0
	s_or_b32 exec_lo, exec_lo, s1
	scratch_load_b32 v94, off, off offset:148
	v_cmp_lt_u32_e64 s1, 37, v0
	s_wait_loadcnt 0x0
	ds_store_b32 v1, v94
	s_wait_storecnt_dscnt 0x0
	s_barrier_signal -1
	s_barrier_wait -1
	s_wait_xcnt 0x0
	s_and_saveexec_b32 s2, s1
	s_cbranch_execz .LBB44_66
; %bb.57:
	s_and_not1_b32 vcc_lo, exec_lo, s3
	s_cbranch_vccnz .LBB44_59
; %bb.58:
	scratch_load_b32 v94, v7, off
	ds_load_b32 v95, v1
	s_wait_loadcnt_dscnt 0x0
	v_mul_f32_e32 v94, v94, v95
	s_cbranch_execz .LBB44_60
	s_branch .LBB44_61
.LBB44_59:
                                        ; implicit-def: $vgpr94
.LBB44_60:
	ds_load_b32 v94, v1
.LBB44_61:
	s_and_saveexec_b32 s15, s0
	s_cbranch_execz .LBB44_65
; %bb.62:
	v_subrev_nc_u32_e32 v95, 38, v0
	s_movk_i32 s0, 0x98
	s_movk_i32 s17, 0x158
	s_mov_b32 s16, 0
.LBB44_63:                              ; =>This Inner Loop Header: Depth=1
	scratch_load_b32 v96, off, s0
	v_dual_mov_b32 v97, s17 :: v_dual_add_nc_u32 v95, -1, v95
	s_add_co_i32 s17, s17, 4
	s_wait_xcnt 0x0
	s_add_co_i32 s0, s0, 4
	ds_load_b32 v97, v97
	v_cmp_eq_u32_e32 vcc_lo, 0, v95
	s_or_b32 s16, vcc_lo, s16
	s_wait_loadcnt_dscnt 0x0
	v_fmac_f32_e32 v94, v96, v97
	s_and_not1_b32 exec_lo, exec_lo, s16
	s_cbranch_execnz .LBB44_63
; %bb.64:
	s_or_b32 exec_lo, exec_lo, s16
.LBB44_65:
	s_delay_alu instid0(SALU_CYCLE_1)
	s_or_b32 exec_lo, exec_lo, s15
	v_mov_b32_e32 v95, 0
	ds_load_b32 v95, v95 offset:148
	s_wait_dscnt 0x0
	v_mul_f32_e32 v94, v94, v95
	scratch_store_b32 off, v94, off offset:148
.LBB44_66:
	s_wait_xcnt 0x0
	s_or_b32 exec_lo, exec_lo, s2
	scratch_load_b32 v94, off, off offset:144
	v_cmp_lt_u32_e64 s0, 36, v0
	s_wait_loadcnt 0x0
	ds_store_b32 v1, v94
	s_wait_storecnt_dscnt 0x0
	s_barrier_signal -1
	s_barrier_wait -1
	s_wait_xcnt 0x0
	s_and_saveexec_b32 s2, s0
	s_cbranch_execz .LBB44_76
; %bb.67:
	s_and_not1_b32 vcc_lo, exec_lo, s3
	s_cbranch_vccnz .LBB44_69
; %bb.68:
	scratch_load_b32 v94, v7, off
	ds_load_b32 v95, v1
	s_wait_loadcnt_dscnt 0x0
	v_mul_f32_e32 v94, v94, v95
	s_cbranch_execz .LBB44_70
	s_branch .LBB44_71
.LBB44_69:
                                        ; implicit-def: $vgpr94
.LBB44_70:
	ds_load_b32 v94, v1
.LBB44_71:
	s_and_saveexec_b32 s15, s1
	s_cbranch_execz .LBB44_75
; %bb.72:
	v_subrev_nc_u32_e32 v95, 37, v0
	s_movk_i32 s1, 0x94
	s_movk_i32 s17, 0x154
	s_mov_b32 s16, 0
.LBB44_73:                              ; =>This Inner Loop Header: Depth=1
	scratch_load_b32 v96, off, s1
	v_dual_mov_b32 v97, s17 :: v_dual_add_nc_u32 v95, -1, v95
	s_add_co_i32 s17, s17, 4
	s_wait_xcnt 0x0
	s_add_co_i32 s1, s1, 4
	ds_load_b32 v97, v97
	v_cmp_eq_u32_e32 vcc_lo, 0, v95
	s_or_b32 s16, vcc_lo, s16
	s_wait_loadcnt_dscnt 0x0
	v_fmac_f32_e32 v94, v96, v97
	s_and_not1_b32 exec_lo, exec_lo, s16
	s_cbranch_execnz .LBB44_73
; %bb.74:
	s_or_b32 exec_lo, exec_lo, s16
.LBB44_75:
	s_delay_alu instid0(SALU_CYCLE_1)
	s_or_b32 exec_lo, exec_lo, s15
	v_mov_b32_e32 v95, 0
	ds_load_b32 v95, v95 offset:144
	s_wait_dscnt 0x0
	v_mul_f32_e32 v94, v94, v95
	scratch_store_b32 off, v94, off offset:144
.LBB44_76:
	s_wait_xcnt 0x0
	s_or_b32 exec_lo, exec_lo, s2
	scratch_load_b32 v94, off, off offset:140
	v_cmp_lt_u32_e64 s1, 35, v0
	s_wait_loadcnt 0x0
	ds_store_b32 v1, v94
	s_wait_storecnt_dscnt 0x0
	s_barrier_signal -1
	s_barrier_wait -1
	s_wait_xcnt 0x0
	s_and_saveexec_b32 s2, s1
	s_cbranch_execz .LBB44_86
; %bb.77:
	s_and_not1_b32 vcc_lo, exec_lo, s3
	s_cbranch_vccnz .LBB44_79
; %bb.78:
	scratch_load_b32 v94, v7, off
	ds_load_b32 v95, v1
	s_wait_loadcnt_dscnt 0x0
	v_mul_f32_e32 v94, v94, v95
	s_cbranch_execz .LBB44_80
	s_branch .LBB44_81
.LBB44_79:
                                        ; implicit-def: $vgpr94
.LBB44_80:
	ds_load_b32 v94, v1
.LBB44_81:
	s_and_saveexec_b32 s15, s0
	s_cbranch_execz .LBB44_85
; %bb.82:
	v_subrev_nc_u32_e32 v95, 36, v0
	s_movk_i32 s16, 0x150
	s_mov_b32 s0, 0
.LBB44_83:                              ; =>This Inner Loop Header: Depth=1
	scratch_load_b32 v96, off, s14
	v_dual_mov_b32 v97, s16 :: v_dual_add_nc_u32 v95, -1, v95
	s_add_co_i32 s16, s16, 4
	s_wait_xcnt 0x0
	s_add_co_i32 s14, s14, 4
	ds_load_b32 v97, v97
	v_cmp_eq_u32_e32 vcc_lo, 0, v95
	s_or_b32 s0, vcc_lo, s0
	s_wait_loadcnt_dscnt 0x0
	v_fmac_f32_e32 v94, v96, v97
	s_and_not1_b32 exec_lo, exec_lo, s0
	s_cbranch_execnz .LBB44_83
; %bb.84:
	s_or_b32 exec_lo, exec_lo, s0
.LBB44_85:
	s_delay_alu instid0(SALU_CYCLE_1)
	s_or_b32 exec_lo, exec_lo, s15
	v_mov_b32_e32 v95, 0
	ds_load_b32 v95, v95 offset:140
	s_wait_dscnt 0x0
	v_mul_f32_e32 v94, v94, v95
	scratch_store_b32 off, v94, off offset:140
.LBB44_86:
	s_wait_xcnt 0x0
	s_or_b32 exec_lo, exec_lo, s2
	scratch_load_b32 v94, off, off offset:136
	v_cmp_lt_u32_e64 s0, 34, v0
	s_wait_loadcnt 0x0
	ds_store_b32 v1, v94
	s_wait_storecnt_dscnt 0x0
	s_barrier_signal -1
	s_barrier_wait -1
	s_wait_xcnt 0x0
	s_and_saveexec_b32 s2, s0
	s_cbranch_execz .LBB44_96
; %bb.87:
	s_and_not1_b32 vcc_lo, exec_lo, s3
	s_cbranch_vccnz .LBB44_89
; %bb.88:
	scratch_load_b32 v94, v7, off
	ds_load_b32 v95, v1
	s_wait_loadcnt_dscnt 0x0
	v_mul_f32_e32 v94, v94, v95
	s_cbranch_execz .LBB44_90
	s_branch .LBB44_91
.LBB44_89:
                                        ; implicit-def: $vgpr94
.LBB44_90:
	ds_load_b32 v94, v1
.LBB44_91:
	s_and_saveexec_b32 s14, s1
	s_cbranch_execz .LBB44_95
; %bb.92:
	v_subrev_nc_u32_e32 v95, 35, v0
	s_movk_i32 s1, 0x8c
	s_movk_i32 s16, 0x14c
	s_mov_b32 s15, 0
.LBB44_93:                              ; =>This Inner Loop Header: Depth=1
	scratch_load_b32 v96, off, s1
	v_dual_mov_b32 v97, s16 :: v_dual_add_nc_u32 v95, -1, v95
	s_add_co_i32 s16, s16, 4
	s_wait_xcnt 0x0
	s_add_co_i32 s1, s1, 4
	ds_load_b32 v97, v97
	v_cmp_eq_u32_e32 vcc_lo, 0, v95
	s_or_b32 s15, vcc_lo, s15
	s_wait_loadcnt_dscnt 0x0
	v_fmac_f32_e32 v94, v96, v97
	s_and_not1_b32 exec_lo, exec_lo, s15
	s_cbranch_execnz .LBB44_93
; %bb.94:
	s_or_b32 exec_lo, exec_lo, s15
.LBB44_95:
	s_delay_alu instid0(SALU_CYCLE_1)
	s_or_b32 exec_lo, exec_lo, s14
	v_mov_b32_e32 v95, 0
	ds_load_b32 v95, v95 offset:136
	s_wait_dscnt 0x0
	v_mul_f32_e32 v94, v94, v95
	scratch_store_b32 off, v94, off offset:136
.LBB44_96:
	s_wait_xcnt 0x0
	s_or_b32 exec_lo, exec_lo, s2
	scratch_load_b32 v94, off, off offset:132
	v_cmp_lt_u32_e64 s1, 33, v0
	s_wait_loadcnt 0x0
	ds_store_b32 v1, v94
	s_wait_storecnt_dscnt 0x0
	s_barrier_signal -1
	s_barrier_wait -1
	s_wait_xcnt 0x0
	s_and_saveexec_b32 s2, s1
	s_cbranch_execz .LBB44_106
; %bb.97:
	s_and_not1_b32 vcc_lo, exec_lo, s3
	s_cbranch_vccnz .LBB44_99
; %bb.98:
	scratch_load_b32 v94, v7, off
	ds_load_b32 v95, v1
	s_wait_loadcnt_dscnt 0x0
	v_mul_f32_e32 v94, v94, v95
	s_cbranch_execz .LBB44_100
	s_branch .LBB44_101
.LBB44_99:
                                        ; implicit-def: $vgpr94
.LBB44_100:
	ds_load_b32 v94, v1
.LBB44_101:
	s_and_saveexec_b32 s14, s0
	s_cbranch_execz .LBB44_105
; %bb.102:
	v_subrev_nc_u32_e32 v95, 34, v0
	s_movk_i32 s0, 0x88
	s_movk_i32 s16, 0x148
	s_mov_b32 s15, 0
.LBB44_103:                             ; =>This Inner Loop Header: Depth=1
	scratch_load_b32 v96, off, s0
	v_dual_mov_b32 v97, s16 :: v_dual_add_nc_u32 v95, -1, v95
	s_add_co_i32 s16, s16, 4
	s_wait_xcnt 0x0
	s_add_co_i32 s0, s0, 4
	ds_load_b32 v97, v97
	v_cmp_eq_u32_e32 vcc_lo, 0, v95
	s_or_b32 s15, vcc_lo, s15
	s_wait_loadcnt_dscnt 0x0
	v_fmac_f32_e32 v94, v96, v97
	s_and_not1_b32 exec_lo, exec_lo, s15
	s_cbranch_execnz .LBB44_103
; %bb.104:
	s_or_b32 exec_lo, exec_lo, s15
.LBB44_105:
	s_delay_alu instid0(SALU_CYCLE_1)
	s_or_b32 exec_lo, exec_lo, s14
	v_mov_b32_e32 v95, 0
	ds_load_b32 v95, v95 offset:132
	s_wait_dscnt 0x0
	v_mul_f32_e32 v94, v94, v95
	scratch_store_b32 off, v94, off offset:132
.LBB44_106:
	s_wait_xcnt 0x0
	s_or_b32 exec_lo, exec_lo, s2
	scratch_load_b32 v94, off, off offset:128
	v_cmp_lt_u32_e64 s0, 32, v0
	s_wait_loadcnt 0x0
	ds_store_b32 v1, v94
	s_wait_storecnt_dscnt 0x0
	s_barrier_signal -1
	s_barrier_wait -1
	s_wait_xcnt 0x0
	s_and_saveexec_b32 s2, s0
	s_cbranch_execz .LBB44_116
; %bb.107:
	s_and_not1_b32 vcc_lo, exec_lo, s3
	s_cbranch_vccnz .LBB44_109
; %bb.108:
	scratch_load_b32 v94, v7, off
	ds_load_b32 v95, v1
	s_wait_loadcnt_dscnt 0x0
	v_mul_f32_e32 v94, v94, v95
	s_cbranch_execz .LBB44_110
	s_branch .LBB44_111
.LBB44_109:
                                        ; implicit-def: $vgpr94
.LBB44_110:
	ds_load_b32 v94, v1
.LBB44_111:
	s_and_saveexec_b32 s14, s1
	s_cbranch_execz .LBB44_115
; %bb.112:
	v_subrev_nc_u32_e32 v95, 33, v0
	s_movk_i32 s1, 0x84
	s_movk_i32 s16, 0x144
	s_mov_b32 s15, 0
.LBB44_113:                             ; =>This Inner Loop Header: Depth=1
	scratch_load_b32 v96, off, s1
	v_dual_mov_b32 v97, s16 :: v_dual_add_nc_u32 v95, -1, v95
	s_add_co_i32 s16, s16, 4
	s_wait_xcnt 0x0
	s_add_co_i32 s1, s1, 4
	ds_load_b32 v97, v97
	v_cmp_eq_u32_e32 vcc_lo, 0, v95
	s_or_b32 s15, vcc_lo, s15
	s_wait_loadcnt_dscnt 0x0
	v_fmac_f32_e32 v94, v96, v97
	s_and_not1_b32 exec_lo, exec_lo, s15
	s_cbranch_execnz .LBB44_113
; %bb.114:
	s_or_b32 exec_lo, exec_lo, s15
.LBB44_115:
	s_delay_alu instid0(SALU_CYCLE_1)
	s_or_b32 exec_lo, exec_lo, s14
	v_mov_b32_e32 v95, 0
	ds_load_b32 v95, v95 offset:128
	s_wait_dscnt 0x0
	v_mul_f32_e32 v94, v94, v95
	scratch_store_b32 off, v94, off offset:128
.LBB44_116:
	s_wait_xcnt 0x0
	s_or_b32 exec_lo, exec_lo, s2
	scratch_load_b32 v94, off, off offset:124
	v_cmp_lt_u32_e64 s1, 31, v0
	s_wait_loadcnt 0x0
	ds_store_b32 v1, v94
	s_wait_storecnt_dscnt 0x0
	s_barrier_signal -1
	s_barrier_wait -1
	s_wait_xcnt 0x0
	s_and_saveexec_b32 s2, s1
	s_cbranch_execz .LBB44_126
; %bb.117:
	s_and_not1_b32 vcc_lo, exec_lo, s3
	s_cbranch_vccnz .LBB44_119
; %bb.118:
	scratch_load_b32 v94, v7, off
	ds_load_b32 v95, v1
	s_wait_loadcnt_dscnt 0x0
	v_mul_f32_e32 v94, v94, v95
	s_cbranch_execz .LBB44_120
	s_branch .LBB44_121
.LBB44_119:
                                        ; implicit-def: $vgpr94
.LBB44_120:
	ds_load_b32 v94, v1
.LBB44_121:
	s_and_saveexec_b32 s14, s0
	s_cbranch_execz .LBB44_125
; %bb.122:
	v_subrev_nc_u32_e32 v95, 32, v0
	s_movk_i32 s15, 0x140
	s_mov_b32 s0, 0
.LBB44_123:                             ; =>This Inner Loop Header: Depth=1
	scratch_load_b32 v96, off, s13
	v_dual_mov_b32 v97, s15 :: v_dual_add_nc_u32 v95, -1, v95
	s_add_co_i32 s15, s15, 4
	s_wait_xcnt 0x0
	s_add_co_i32 s13, s13, 4
	ds_load_b32 v97, v97
	v_cmp_eq_u32_e32 vcc_lo, 0, v95
	s_or_b32 s0, vcc_lo, s0
	s_wait_loadcnt_dscnt 0x0
	v_fmac_f32_e32 v94, v96, v97
	s_and_not1_b32 exec_lo, exec_lo, s0
	s_cbranch_execnz .LBB44_123
; %bb.124:
	s_or_b32 exec_lo, exec_lo, s0
.LBB44_125:
	s_delay_alu instid0(SALU_CYCLE_1)
	s_or_b32 exec_lo, exec_lo, s14
	v_mov_b32_e32 v95, 0
	ds_load_b32 v95, v95 offset:124
	s_wait_dscnt 0x0
	v_mul_f32_e32 v94, v94, v95
	scratch_store_b32 off, v94, off offset:124
.LBB44_126:
	s_wait_xcnt 0x0
	s_or_b32 exec_lo, exec_lo, s2
	scratch_load_b32 v94, off, off offset:120
	v_cmp_lt_u32_e64 s0, 30, v0
	s_wait_loadcnt 0x0
	ds_store_b32 v1, v94
	s_wait_storecnt_dscnt 0x0
	s_barrier_signal -1
	s_barrier_wait -1
	s_wait_xcnt 0x0
	s_and_saveexec_b32 s2, s0
	s_cbranch_execz .LBB44_136
; %bb.127:
	s_and_not1_b32 vcc_lo, exec_lo, s3
	s_cbranch_vccnz .LBB44_129
; %bb.128:
	scratch_load_b32 v94, v7, off
	ds_load_b32 v95, v1
	s_wait_loadcnt_dscnt 0x0
	v_mul_f32_e32 v94, v94, v95
	s_cbranch_execz .LBB44_130
	s_branch .LBB44_131
.LBB44_129:
                                        ; implicit-def: $vgpr94
.LBB44_130:
	ds_load_b32 v94, v1
.LBB44_131:
	s_and_saveexec_b32 s13, s1
	s_cbranch_execz .LBB44_135
; %bb.132:
	v_subrev_nc_u32_e32 v95, 31, v0
	s_movk_i32 s1, 0x7c
	s_movk_i32 s15, 0x13c
	s_mov_b32 s14, 0
.LBB44_133:                             ; =>This Inner Loop Header: Depth=1
	scratch_load_b32 v96, off, s1
	v_dual_mov_b32 v97, s15 :: v_dual_add_nc_u32 v95, -1, v95
	s_add_co_i32 s15, s15, 4
	s_wait_xcnt 0x0
	s_add_co_i32 s1, s1, 4
	ds_load_b32 v97, v97
	v_cmp_eq_u32_e32 vcc_lo, 0, v95
	s_or_b32 s14, vcc_lo, s14
	s_wait_loadcnt_dscnt 0x0
	v_fmac_f32_e32 v94, v96, v97
	s_and_not1_b32 exec_lo, exec_lo, s14
	s_cbranch_execnz .LBB44_133
; %bb.134:
	s_or_b32 exec_lo, exec_lo, s14
.LBB44_135:
	s_delay_alu instid0(SALU_CYCLE_1)
	s_or_b32 exec_lo, exec_lo, s13
	v_mov_b32_e32 v95, 0
	ds_load_b32 v95, v95 offset:120
	s_wait_dscnt 0x0
	v_mul_f32_e32 v94, v94, v95
	scratch_store_b32 off, v94, off offset:120
.LBB44_136:
	s_wait_xcnt 0x0
	s_or_b32 exec_lo, exec_lo, s2
	scratch_load_b32 v94, off, off offset:116
	v_cmp_lt_u32_e64 s1, 29, v0
	s_wait_loadcnt 0x0
	ds_store_b32 v1, v94
	s_wait_storecnt_dscnt 0x0
	s_barrier_signal -1
	s_barrier_wait -1
	s_wait_xcnt 0x0
	s_and_saveexec_b32 s2, s1
	s_cbranch_execz .LBB44_146
; %bb.137:
	s_and_not1_b32 vcc_lo, exec_lo, s3
	s_cbranch_vccnz .LBB44_139
; %bb.138:
	scratch_load_b32 v94, v7, off
	ds_load_b32 v95, v1
	s_wait_loadcnt_dscnt 0x0
	v_mul_f32_e32 v94, v94, v95
	s_cbranch_execz .LBB44_140
	s_branch .LBB44_141
.LBB44_139:
                                        ; implicit-def: $vgpr94
.LBB44_140:
	ds_load_b32 v94, v1
.LBB44_141:
	s_and_saveexec_b32 s13, s0
	s_cbranch_execz .LBB44_145
; %bb.142:
	v_subrev_nc_u32_e32 v95, 30, v0
	s_movk_i32 s0, 0x78
	s_movk_i32 s15, 0x138
	s_mov_b32 s14, 0
.LBB44_143:                             ; =>This Inner Loop Header: Depth=1
	scratch_load_b32 v96, off, s0
	v_dual_mov_b32 v97, s15 :: v_dual_add_nc_u32 v95, -1, v95
	s_add_co_i32 s15, s15, 4
	s_wait_xcnt 0x0
	s_add_co_i32 s0, s0, 4
	ds_load_b32 v97, v97
	v_cmp_eq_u32_e32 vcc_lo, 0, v95
	s_or_b32 s14, vcc_lo, s14
	s_wait_loadcnt_dscnt 0x0
	v_fmac_f32_e32 v94, v96, v97
	s_and_not1_b32 exec_lo, exec_lo, s14
	s_cbranch_execnz .LBB44_143
; %bb.144:
	s_or_b32 exec_lo, exec_lo, s14
.LBB44_145:
	s_delay_alu instid0(SALU_CYCLE_1)
	s_or_b32 exec_lo, exec_lo, s13
	v_mov_b32_e32 v95, 0
	ds_load_b32 v95, v95 offset:116
	s_wait_dscnt 0x0
	v_mul_f32_e32 v94, v94, v95
	scratch_store_b32 off, v94, off offset:116
.LBB44_146:
	;; [unrolled: 58-line block ×3, first 2 shown]
	s_wait_xcnt 0x0
	s_or_b32 exec_lo, exec_lo, s2
	scratch_load_b32 v94, off, off offset:108
	v_cmp_lt_u32_e64 s1, 27, v0
	s_wait_loadcnt 0x0
	ds_store_b32 v1, v94
	s_wait_storecnt_dscnt 0x0
	s_barrier_signal -1
	s_barrier_wait -1
	s_wait_xcnt 0x0
	s_and_saveexec_b32 s2, s1
	s_cbranch_execz .LBB44_166
; %bb.157:
	s_and_not1_b32 vcc_lo, exec_lo, s3
	s_cbranch_vccnz .LBB44_159
; %bb.158:
	scratch_load_b32 v94, v7, off
	ds_load_b32 v95, v1
	s_wait_loadcnt_dscnt 0x0
	v_mul_f32_e32 v94, v94, v95
	s_cbranch_execz .LBB44_160
	s_branch .LBB44_161
.LBB44_159:
                                        ; implicit-def: $vgpr94
.LBB44_160:
	ds_load_b32 v94, v1
.LBB44_161:
	s_and_saveexec_b32 s13, s0
	s_cbranch_execz .LBB44_165
; %bb.162:
	v_subrev_nc_u32_e32 v95, 28, v0
	s_movk_i32 s14, 0x130
	s_mov_b32 s0, 0
.LBB44_163:                             ; =>This Inner Loop Header: Depth=1
	scratch_load_b32 v96, off, s12
	v_dual_mov_b32 v97, s14 :: v_dual_add_nc_u32 v95, -1, v95
	s_add_co_i32 s14, s14, 4
	s_wait_xcnt 0x0
	s_add_co_i32 s12, s12, 4
	ds_load_b32 v97, v97
	v_cmp_eq_u32_e32 vcc_lo, 0, v95
	s_or_b32 s0, vcc_lo, s0
	s_wait_loadcnt_dscnt 0x0
	v_fmac_f32_e32 v94, v96, v97
	s_and_not1_b32 exec_lo, exec_lo, s0
	s_cbranch_execnz .LBB44_163
; %bb.164:
	s_or_b32 exec_lo, exec_lo, s0
.LBB44_165:
	s_delay_alu instid0(SALU_CYCLE_1)
	s_or_b32 exec_lo, exec_lo, s13
	v_mov_b32_e32 v95, 0
	ds_load_b32 v95, v95 offset:108
	s_wait_dscnt 0x0
	v_mul_f32_e32 v94, v94, v95
	scratch_store_b32 off, v94, off offset:108
.LBB44_166:
	s_wait_xcnt 0x0
	s_or_b32 exec_lo, exec_lo, s2
	scratch_load_b32 v94, off, off offset:104
	v_cmp_lt_u32_e64 s0, 26, v0
	s_wait_loadcnt 0x0
	ds_store_b32 v1, v94
	s_wait_storecnt_dscnt 0x0
	s_barrier_signal -1
	s_barrier_wait -1
	s_wait_xcnt 0x0
	s_and_saveexec_b32 s2, s0
	s_cbranch_execz .LBB44_176
; %bb.167:
	s_and_not1_b32 vcc_lo, exec_lo, s3
	s_cbranch_vccnz .LBB44_169
; %bb.168:
	scratch_load_b32 v94, v7, off
	ds_load_b32 v95, v1
	s_wait_loadcnt_dscnt 0x0
	v_mul_f32_e32 v94, v94, v95
	s_cbranch_execz .LBB44_170
	s_branch .LBB44_171
.LBB44_169:
                                        ; implicit-def: $vgpr94
.LBB44_170:
	ds_load_b32 v94, v1
.LBB44_171:
	s_and_saveexec_b32 s12, s1
	s_cbranch_execz .LBB44_175
; %bb.172:
	v_subrev_nc_u32_e32 v95, 27, v0
	s_movk_i32 s1, 0x6c
	s_movk_i32 s14, 0x12c
	s_mov_b32 s13, 0
.LBB44_173:                             ; =>This Inner Loop Header: Depth=1
	scratch_load_b32 v96, off, s1
	v_dual_mov_b32 v97, s14 :: v_dual_add_nc_u32 v95, -1, v95
	s_add_co_i32 s14, s14, 4
	s_wait_xcnt 0x0
	s_add_co_i32 s1, s1, 4
	ds_load_b32 v97, v97
	v_cmp_eq_u32_e32 vcc_lo, 0, v95
	s_or_b32 s13, vcc_lo, s13
	s_wait_loadcnt_dscnt 0x0
	v_fmac_f32_e32 v94, v96, v97
	s_and_not1_b32 exec_lo, exec_lo, s13
	s_cbranch_execnz .LBB44_173
; %bb.174:
	s_or_b32 exec_lo, exec_lo, s13
.LBB44_175:
	s_delay_alu instid0(SALU_CYCLE_1)
	s_or_b32 exec_lo, exec_lo, s12
	v_mov_b32_e32 v95, 0
	ds_load_b32 v95, v95 offset:104
	s_wait_dscnt 0x0
	v_mul_f32_e32 v94, v94, v95
	scratch_store_b32 off, v94, off offset:104
.LBB44_176:
	s_wait_xcnt 0x0
	s_or_b32 exec_lo, exec_lo, s2
	scratch_load_b32 v94, off, off offset:100
	v_cmp_lt_u32_e64 s1, 25, v0
	s_wait_loadcnt 0x0
	ds_store_b32 v1, v94
	s_wait_storecnt_dscnt 0x0
	s_barrier_signal -1
	s_barrier_wait -1
	s_wait_xcnt 0x0
	s_and_saveexec_b32 s2, s1
	s_cbranch_execz .LBB44_186
; %bb.177:
	s_and_not1_b32 vcc_lo, exec_lo, s3
	s_cbranch_vccnz .LBB44_179
; %bb.178:
	scratch_load_b32 v94, v7, off
	ds_load_b32 v95, v1
	s_wait_loadcnt_dscnt 0x0
	v_mul_f32_e32 v94, v94, v95
	s_cbranch_execz .LBB44_180
	s_branch .LBB44_181
.LBB44_179:
                                        ; implicit-def: $vgpr94
.LBB44_180:
	ds_load_b32 v94, v1
.LBB44_181:
	s_and_saveexec_b32 s12, s0
	s_cbranch_execz .LBB44_185
; %bb.182:
	v_subrev_nc_u32_e32 v95, 26, v0
	s_movk_i32 s0, 0x68
	s_movk_i32 s14, 0x128
	s_mov_b32 s13, 0
.LBB44_183:                             ; =>This Inner Loop Header: Depth=1
	scratch_load_b32 v96, off, s0
	v_dual_mov_b32 v97, s14 :: v_dual_add_nc_u32 v95, -1, v95
	s_add_co_i32 s14, s14, 4
	s_wait_xcnt 0x0
	s_add_co_i32 s0, s0, 4
	ds_load_b32 v97, v97
	v_cmp_eq_u32_e32 vcc_lo, 0, v95
	s_or_b32 s13, vcc_lo, s13
	s_wait_loadcnt_dscnt 0x0
	v_fmac_f32_e32 v94, v96, v97
	s_and_not1_b32 exec_lo, exec_lo, s13
	s_cbranch_execnz .LBB44_183
; %bb.184:
	s_or_b32 exec_lo, exec_lo, s13
.LBB44_185:
	s_delay_alu instid0(SALU_CYCLE_1)
	s_or_b32 exec_lo, exec_lo, s12
	v_mov_b32_e32 v95, 0
	ds_load_b32 v95, v95 offset:100
	s_wait_dscnt 0x0
	v_mul_f32_e32 v94, v94, v95
	scratch_store_b32 off, v94, off offset:100
.LBB44_186:
	;; [unrolled: 58-line block ×3, first 2 shown]
	s_wait_xcnt 0x0
	s_or_b32 exec_lo, exec_lo, s2
	scratch_load_b32 v94, off, off offset:92
	v_cmp_lt_u32_e64 s1, 23, v0
	s_wait_loadcnt 0x0
	ds_store_b32 v1, v94
	s_wait_storecnt_dscnt 0x0
	s_barrier_signal -1
	s_barrier_wait -1
	s_wait_xcnt 0x0
	s_and_saveexec_b32 s2, s1
	s_cbranch_execz .LBB44_206
; %bb.197:
	s_and_not1_b32 vcc_lo, exec_lo, s3
	s_cbranch_vccnz .LBB44_199
; %bb.198:
	scratch_load_b32 v94, v7, off
	ds_load_b32 v95, v1
	s_wait_loadcnt_dscnt 0x0
	v_mul_f32_e32 v94, v94, v95
	s_cbranch_execz .LBB44_200
	s_branch .LBB44_201
.LBB44_199:
                                        ; implicit-def: $vgpr94
.LBB44_200:
	ds_load_b32 v94, v1
.LBB44_201:
	s_and_saveexec_b32 s12, s0
	s_cbranch_execz .LBB44_205
; %bb.202:
	v_subrev_nc_u32_e32 v95, 24, v0
	s_movk_i32 s13, 0x120
	s_mov_b32 s0, 0
.LBB44_203:                             ; =>This Inner Loop Header: Depth=1
	scratch_load_b32 v96, off, s11
	v_dual_mov_b32 v97, s13 :: v_dual_add_nc_u32 v95, -1, v95
	s_add_co_i32 s13, s13, 4
	s_wait_xcnt 0x0
	s_add_co_i32 s11, s11, 4
	ds_load_b32 v97, v97
	v_cmp_eq_u32_e32 vcc_lo, 0, v95
	s_or_b32 s0, vcc_lo, s0
	s_wait_loadcnt_dscnt 0x0
	v_fmac_f32_e32 v94, v96, v97
	s_and_not1_b32 exec_lo, exec_lo, s0
	s_cbranch_execnz .LBB44_203
; %bb.204:
	s_or_b32 exec_lo, exec_lo, s0
.LBB44_205:
	s_delay_alu instid0(SALU_CYCLE_1)
	s_or_b32 exec_lo, exec_lo, s12
	v_mov_b32_e32 v95, 0
	ds_load_b32 v95, v95 offset:92
	s_wait_dscnt 0x0
	v_mul_f32_e32 v94, v94, v95
	scratch_store_b32 off, v94, off offset:92
.LBB44_206:
	s_wait_xcnt 0x0
	s_or_b32 exec_lo, exec_lo, s2
	scratch_load_b32 v94, off, off offset:88
	v_cmp_lt_u32_e64 s0, 22, v0
	s_wait_loadcnt 0x0
	ds_store_b32 v1, v94
	s_wait_storecnt_dscnt 0x0
	s_barrier_signal -1
	s_barrier_wait -1
	s_wait_xcnt 0x0
	s_and_saveexec_b32 s2, s0
	s_cbranch_execz .LBB44_216
; %bb.207:
	s_and_not1_b32 vcc_lo, exec_lo, s3
	s_cbranch_vccnz .LBB44_209
; %bb.208:
	scratch_load_b32 v94, v7, off
	ds_load_b32 v95, v1
	s_wait_loadcnt_dscnt 0x0
	v_mul_f32_e32 v94, v94, v95
	s_cbranch_execz .LBB44_210
	s_branch .LBB44_211
.LBB44_209:
                                        ; implicit-def: $vgpr94
.LBB44_210:
	ds_load_b32 v94, v1
.LBB44_211:
	s_and_saveexec_b32 s11, s1
	s_cbranch_execz .LBB44_215
; %bb.212:
	v_subrev_nc_u32_e32 v95, 23, v0
	s_movk_i32 s1, 0x5c
	s_movk_i32 s13, 0x11c
	s_mov_b32 s12, 0
.LBB44_213:                             ; =>This Inner Loop Header: Depth=1
	scratch_load_b32 v96, off, s1
	v_dual_mov_b32 v97, s13 :: v_dual_add_nc_u32 v95, -1, v95
	s_add_co_i32 s13, s13, 4
	s_wait_xcnt 0x0
	s_add_co_i32 s1, s1, 4
	ds_load_b32 v97, v97
	v_cmp_eq_u32_e32 vcc_lo, 0, v95
	s_or_b32 s12, vcc_lo, s12
	s_wait_loadcnt_dscnt 0x0
	v_fmac_f32_e32 v94, v96, v97
	s_and_not1_b32 exec_lo, exec_lo, s12
	s_cbranch_execnz .LBB44_213
; %bb.214:
	s_or_b32 exec_lo, exec_lo, s12
.LBB44_215:
	s_delay_alu instid0(SALU_CYCLE_1)
	s_or_b32 exec_lo, exec_lo, s11
	v_mov_b32_e32 v95, 0
	ds_load_b32 v95, v95 offset:88
	s_wait_dscnt 0x0
	v_mul_f32_e32 v94, v94, v95
	scratch_store_b32 off, v94, off offset:88
.LBB44_216:
	s_wait_xcnt 0x0
	s_or_b32 exec_lo, exec_lo, s2
	scratch_load_b32 v94, off, off offset:84
	v_cmp_lt_u32_e64 s1, 21, v0
	s_wait_loadcnt 0x0
	ds_store_b32 v1, v94
	s_wait_storecnt_dscnt 0x0
	s_barrier_signal -1
	s_barrier_wait -1
	s_wait_xcnt 0x0
	s_and_saveexec_b32 s2, s1
	s_cbranch_execz .LBB44_226
; %bb.217:
	s_and_not1_b32 vcc_lo, exec_lo, s3
	s_cbranch_vccnz .LBB44_219
; %bb.218:
	scratch_load_b32 v94, v7, off
	ds_load_b32 v95, v1
	s_wait_loadcnt_dscnt 0x0
	v_mul_f32_e32 v94, v94, v95
	s_cbranch_execz .LBB44_220
	s_branch .LBB44_221
.LBB44_219:
                                        ; implicit-def: $vgpr94
.LBB44_220:
	ds_load_b32 v94, v1
.LBB44_221:
	s_and_saveexec_b32 s11, s0
	s_cbranch_execz .LBB44_225
; %bb.222:
	v_subrev_nc_u32_e32 v95, 22, v0
	s_movk_i32 s0, 0x58
	s_movk_i32 s13, 0x118
	s_mov_b32 s12, 0
.LBB44_223:                             ; =>This Inner Loop Header: Depth=1
	scratch_load_b32 v96, off, s0
	v_dual_mov_b32 v97, s13 :: v_dual_add_nc_u32 v95, -1, v95
	s_add_co_i32 s13, s13, 4
	s_wait_xcnt 0x0
	s_add_co_i32 s0, s0, 4
	ds_load_b32 v97, v97
	v_cmp_eq_u32_e32 vcc_lo, 0, v95
	s_or_b32 s12, vcc_lo, s12
	s_wait_loadcnt_dscnt 0x0
	v_fmac_f32_e32 v94, v96, v97
	s_and_not1_b32 exec_lo, exec_lo, s12
	s_cbranch_execnz .LBB44_223
; %bb.224:
	s_or_b32 exec_lo, exec_lo, s12
.LBB44_225:
	s_delay_alu instid0(SALU_CYCLE_1)
	s_or_b32 exec_lo, exec_lo, s11
	v_mov_b32_e32 v95, 0
	ds_load_b32 v95, v95 offset:84
	s_wait_dscnt 0x0
	v_mul_f32_e32 v94, v94, v95
	scratch_store_b32 off, v94, off offset:84
.LBB44_226:
	;; [unrolled: 58-line block ×3, first 2 shown]
	s_wait_xcnt 0x0
	s_or_b32 exec_lo, exec_lo, s2
	scratch_load_b32 v94, off, off offset:76
	v_cmp_lt_u32_e64 s1, 19, v0
	s_wait_loadcnt 0x0
	ds_store_b32 v1, v94
	s_wait_storecnt_dscnt 0x0
	s_barrier_signal -1
	s_barrier_wait -1
	s_wait_xcnt 0x0
	s_and_saveexec_b32 s2, s1
	s_cbranch_execz .LBB44_246
; %bb.237:
	s_and_not1_b32 vcc_lo, exec_lo, s3
	s_cbranch_vccnz .LBB44_239
; %bb.238:
	scratch_load_b32 v94, v7, off
	ds_load_b32 v95, v1
	s_wait_loadcnt_dscnt 0x0
	v_mul_f32_e32 v94, v94, v95
	s_cbranch_execz .LBB44_240
	s_branch .LBB44_241
.LBB44_239:
                                        ; implicit-def: $vgpr94
.LBB44_240:
	ds_load_b32 v94, v1
.LBB44_241:
	s_and_saveexec_b32 s11, s0
	s_cbranch_execz .LBB44_245
; %bb.242:
	v_subrev_nc_u32_e32 v95, 20, v0
	s_movk_i32 s12, 0x110
	s_mov_b32 s0, 0
.LBB44_243:                             ; =>This Inner Loop Header: Depth=1
	scratch_load_b32 v96, off, s10
	v_dual_mov_b32 v97, s12 :: v_dual_add_nc_u32 v95, -1, v95
	s_add_co_i32 s12, s12, 4
	s_wait_xcnt 0x0
	s_add_co_i32 s10, s10, 4
	ds_load_b32 v97, v97
	v_cmp_eq_u32_e32 vcc_lo, 0, v95
	s_or_b32 s0, vcc_lo, s0
	s_wait_loadcnt_dscnt 0x0
	v_fmac_f32_e32 v94, v96, v97
	s_and_not1_b32 exec_lo, exec_lo, s0
	s_cbranch_execnz .LBB44_243
; %bb.244:
	s_or_b32 exec_lo, exec_lo, s0
.LBB44_245:
	s_delay_alu instid0(SALU_CYCLE_1)
	s_or_b32 exec_lo, exec_lo, s11
	v_mov_b32_e32 v95, 0
	ds_load_b32 v95, v95 offset:76
	s_wait_dscnt 0x0
	v_mul_f32_e32 v94, v94, v95
	scratch_store_b32 off, v94, off offset:76
.LBB44_246:
	s_wait_xcnt 0x0
	s_or_b32 exec_lo, exec_lo, s2
	scratch_load_b32 v94, off, off offset:72
	v_cmp_lt_u32_e64 s0, 18, v0
	s_wait_loadcnt 0x0
	ds_store_b32 v1, v94
	s_wait_storecnt_dscnt 0x0
	s_barrier_signal -1
	s_barrier_wait -1
	s_wait_xcnt 0x0
	s_and_saveexec_b32 s2, s0
	s_cbranch_execz .LBB44_256
; %bb.247:
	s_and_not1_b32 vcc_lo, exec_lo, s3
	s_cbranch_vccnz .LBB44_249
; %bb.248:
	scratch_load_b32 v94, v7, off
	ds_load_b32 v95, v1
	s_wait_loadcnt_dscnt 0x0
	v_mul_f32_e32 v94, v94, v95
	s_cbranch_execz .LBB44_250
	s_branch .LBB44_251
.LBB44_249:
                                        ; implicit-def: $vgpr94
.LBB44_250:
	ds_load_b32 v94, v1
.LBB44_251:
	s_and_saveexec_b32 s10, s1
	s_cbranch_execz .LBB44_255
; %bb.252:
	v_subrev_nc_u32_e32 v95, 19, v0
	s_movk_i32 s1, 0x4c
	s_movk_i32 s12, 0x10c
	s_mov_b32 s11, 0
.LBB44_253:                             ; =>This Inner Loop Header: Depth=1
	scratch_load_b32 v96, off, s1
	v_dual_mov_b32 v97, s12 :: v_dual_add_nc_u32 v95, -1, v95
	s_add_co_i32 s12, s12, 4
	s_wait_xcnt 0x0
	s_add_co_i32 s1, s1, 4
	ds_load_b32 v97, v97
	v_cmp_eq_u32_e32 vcc_lo, 0, v95
	s_or_b32 s11, vcc_lo, s11
	s_wait_loadcnt_dscnt 0x0
	v_fmac_f32_e32 v94, v96, v97
	s_and_not1_b32 exec_lo, exec_lo, s11
	s_cbranch_execnz .LBB44_253
; %bb.254:
	s_or_b32 exec_lo, exec_lo, s11
.LBB44_255:
	s_delay_alu instid0(SALU_CYCLE_1)
	s_or_b32 exec_lo, exec_lo, s10
	v_mov_b32_e32 v95, 0
	ds_load_b32 v95, v95 offset:72
	s_wait_dscnt 0x0
	v_mul_f32_e32 v94, v94, v95
	scratch_store_b32 off, v94, off offset:72
.LBB44_256:
	s_wait_xcnt 0x0
	s_or_b32 exec_lo, exec_lo, s2
	scratch_load_b32 v94, off, off offset:68
	v_cmp_lt_u32_e64 s1, 17, v0
	s_wait_loadcnt 0x0
	ds_store_b32 v1, v94
	s_wait_storecnt_dscnt 0x0
	s_barrier_signal -1
	s_barrier_wait -1
	s_wait_xcnt 0x0
	s_and_saveexec_b32 s2, s1
	s_cbranch_execz .LBB44_266
; %bb.257:
	s_and_not1_b32 vcc_lo, exec_lo, s3
	s_cbranch_vccnz .LBB44_259
; %bb.258:
	scratch_load_b32 v94, v7, off
	ds_load_b32 v95, v1
	s_wait_loadcnt_dscnt 0x0
	v_mul_f32_e32 v94, v94, v95
	s_cbranch_execz .LBB44_260
	s_branch .LBB44_261
.LBB44_259:
                                        ; implicit-def: $vgpr94
.LBB44_260:
	ds_load_b32 v94, v1
.LBB44_261:
	s_and_saveexec_b32 s10, s0
	s_cbranch_execz .LBB44_265
; %bb.262:
	v_subrev_nc_u32_e32 v95, 18, v0
	s_movk_i32 s0, 0x48
	s_movk_i32 s12, 0x108
	s_mov_b32 s11, 0
.LBB44_263:                             ; =>This Inner Loop Header: Depth=1
	scratch_load_b32 v96, off, s0
	v_dual_mov_b32 v97, s12 :: v_dual_add_nc_u32 v95, -1, v95
	s_add_co_i32 s12, s12, 4
	s_wait_xcnt 0x0
	s_add_co_i32 s0, s0, 4
	ds_load_b32 v97, v97
	v_cmp_eq_u32_e32 vcc_lo, 0, v95
	s_or_b32 s11, vcc_lo, s11
	s_wait_loadcnt_dscnt 0x0
	v_fmac_f32_e32 v94, v96, v97
	s_and_not1_b32 exec_lo, exec_lo, s11
	s_cbranch_execnz .LBB44_263
; %bb.264:
	s_or_b32 exec_lo, exec_lo, s11
.LBB44_265:
	s_delay_alu instid0(SALU_CYCLE_1)
	s_or_b32 exec_lo, exec_lo, s10
	v_mov_b32_e32 v95, 0
	ds_load_b32 v95, v95 offset:68
	s_wait_dscnt 0x0
	v_mul_f32_e32 v94, v94, v95
	scratch_store_b32 off, v94, off offset:68
.LBB44_266:
	s_wait_xcnt 0x0
	s_or_b32 exec_lo, exec_lo, s2
	scratch_load_b32 v94, off, off offset:64
	v_cmp_lt_u32_e64 s0, 16, v0
	s_wait_loadcnt 0x0
	ds_store_b32 v1, v94
	s_wait_storecnt_dscnt 0x0
	s_barrier_signal -1
	s_barrier_wait -1
	s_wait_xcnt 0x0
	s_and_saveexec_b32 s2, s0
	s_cbranch_execz .LBB44_276
; %bb.267:
	s_and_not1_b32 vcc_lo, exec_lo, s3
	s_cbranch_vccnz .LBB44_269
; %bb.268:
	scratch_load_b32 v94, v7, off
	ds_load_b32 v95, v1
	s_wait_loadcnt_dscnt 0x0
	v_mul_f32_e32 v94, v94, v95
	s_cbranch_execz .LBB44_270
	s_branch .LBB44_271
.LBB44_269:
                                        ; implicit-def: $vgpr94
.LBB44_270:
	ds_load_b32 v94, v1
.LBB44_271:
	s_and_saveexec_b32 s10, s1
	s_cbranch_execz .LBB44_275
; %bb.272:
	v_subrev_nc_u32_e32 v95, 17, v0
	s_movk_i32 s1, 0x44
	s_movk_i32 s12, 0x104
	s_mov_b32 s11, 0
.LBB44_273:                             ; =>This Inner Loop Header: Depth=1
	scratch_load_b32 v96, off, s1
	v_dual_mov_b32 v97, s12 :: v_dual_add_nc_u32 v95, -1, v95
	s_add_co_i32 s12, s12, 4
	s_wait_xcnt 0x0
	s_add_co_i32 s1, s1, 4
	ds_load_b32 v97, v97
	v_cmp_eq_u32_e32 vcc_lo, 0, v95
	s_or_b32 s11, vcc_lo, s11
	s_wait_loadcnt_dscnt 0x0
	v_fmac_f32_e32 v94, v96, v97
	s_and_not1_b32 exec_lo, exec_lo, s11
	s_cbranch_execnz .LBB44_273
; %bb.274:
	s_or_b32 exec_lo, exec_lo, s11
.LBB44_275:
	s_delay_alu instid0(SALU_CYCLE_1)
	s_or_b32 exec_lo, exec_lo, s10
	v_mov_b32_e32 v95, 0
	ds_load_b32 v95, v95 offset:64
	s_wait_dscnt 0x0
	v_mul_f32_e32 v94, v94, v95
	scratch_store_b32 off, v94, off offset:64
.LBB44_276:
	s_wait_xcnt 0x0
	s_or_b32 exec_lo, exec_lo, s2
	scratch_load_b32 v94, off, off offset:60
	v_cmp_lt_u32_e64 s1, 15, v0
	s_wait_loadcnt 0x0
	ds_store_b32 v1, v94
	s_wait_storecnt_dscnt 0x0
	s_barrier_signal -1
	s_barrier_wait -1
	s_wait_xcnt 0x0
	s_and_saveexec_b32 s2, s1
	s_cbranch_execz .LBB44_286
; %bb.277:
	s_and_not1_b32 vcc_lo, exec_lo, s3
	s_cbranch_vccnz .LBB44_279
; %bb.278:
	scratch_load_b32 v94, v7, off
	ds_load_b32 v95, v1
	s_wait_loadcnt_dscnt 0x0
	v_mul_f32_e32 v94, v94, v95
	s_cbranch_execz .LBB44_280
	s_branch .LBB44_281
.LBB44_279:
                                        ; implicit-def: $vgpr94
.LBB44_280:
	ds_load_b32 v94, v1
.LBB44_281:
	s_and_saveexec_b32 s10, s0
	s_cbranch_execz .LBB44_285
; %bb.282:
	v_add_nc_u32_e32 v95, -16, v0
	s_movk_i32 s11, 0x100
	s_mov_b32 s0, 0
.LBB44_283:                             ; =>This Inner Loop Header: Depth=1
	scratch_load_b32 v96, off, s9
	v_dual_mov_b32 v97, s11 :: v_dual_add_nc_u32 v95, -1, v95
	s_add_co_i32 s11, s11, 4
	s_wait_xcnt 0x0
	s_add_co_i32 s9, s9, 4
	ds_load_b32 v97, v97
	v_cmp_eq_u32_e32 vcc_lo, 0, v95
	s_or_b32 s0, vcc_lo, s0
	s_wait_loadcnt_dscnt 0x0
	v_fmac_f32_e32 v94, v96, v97
	s_and_not1_b32 exec_lo, exec_lo, s0
	s_cbranch_execnz .LBB44_283
; %bb.284:
	s_or_b32 exec_lo, exec_lo, s0
.LBB44_285:
	s_delay_alu instid0(SALU_CYCLE_1)
	s_or_b32 exec_lo, exec_lo, s10
	v_mov_b32_e32 v95, 0
	ds_load_b32 v95, v95 offset:60
	s_wait_dscnt 0x0
	v_mul_f32_e32 v94, v94, v95
	scratch_store_b32 off, v94, off offset:60
.LBB44_286:
	s_wait_xcnt 0x0
	s_or_b32 exec_lo, exec_lo, s2
	scratch_load_b32 v94, off, off offset:56
	v_cmp_lt_u32_e64 s0, 14, v0
	s_wait_loadcnt 0x0
	ds_store_b32 v1, v94
	s_wait_storecnt_dscnt 0x0
	s_barrier_signal -1
	s_barrier_wait -1
	s_wait_xcnt 0x0
	s_and_saveexec_b32 s2, s0
	s_cbranch_execz .LBB44_296
; %bb.287:
	s_and_not1_b32 vcc_lo, exec_lo, s3
	s_cbranch_vccnz .LBB44_289
; %bb.288:
	scratch_load_b32 v94, v7, off
	ds_load_b32 v95, v1
	s_wait_loadcnt_dscnt 0x0
	v_mul_f32_e32 v94, v94, v95
	s_cbranch_execz .LBB44_290
	s_branch .LBB44_291
.LBB44_289:
                                        ; implicit-def: $vgpr94
.LBB44_290:
	ds_load_b32 v94, v1
.LBB44_291:
	s_and_saveexec_b32 s9, s1
	s_cbranch_execz .LBB44_295
; %bb.292:
	v_add_nc_u32_e32 v95, -15, v0
	s_mov_b32 s1, 60
	s_movk_i32 s11, 0xfc
	s_mov_b32 s10, 0
.LBB44_293:                             ; =>This Inner Loop Header: Depth=1
	scratch_load_b32 v96, off, s1
	v_dual_mov_b32 v97, s11 :: v_dual_add_nc_u32 v95, -1, v95
	s_add_co_i32 s11, s11, 4
	s_wait_xcnt 0x0
	s_add_co_i32 s1, s1, 4
	ds_load_b32 v97, v97
	v_cmp_eq_u32_e32 vcc_lo, 0, v95
	s_or_b32 s10, vcc_lo, s10
	s_wait_loadcnt_dscnt 0x0
	v_fmac_f32_e32 v94, v96, v97
	s_and_not1_b32 exec_lo, exec_lo, s10
	s_cbranch_execnz .LBB44_293
; %bb.294:
	s_or_b32 exec_lo, exec_lo, s10
.LBB44_295:
	s_delay_alu instid0(SALU_CYCLE_1)
	s_or_b32 exec_lo, exec_lo, s9
	v_mov_b32_e32 v95, 0
	ds_load_b32 v95, v95 offset:56
	s_wait_dscnt 0x0
	v_mul_f32_e32 v94, v94, v95
	scratch_store_b32 off, v94, off offset:56
.LBB44_296:
	s_wait_xcnt 0x0
	s_or_b32 exec_lo, exec_lo, s2
	scratch_load_b32 v94, off, off offset:52
	v_cmp_lt_u32_e64 s1, 13, v0
	s_wait_loadcnt 0x0
	ds_store_b32 v1, v94
	s_wait_storecnt_dscnt 0x0
	s_barrier_signal -1
	s_barrier_wait -1
	s_wait_xcnt 0x0
	s_and_saveexec_b32 s2, s1
	s_cbranch_execz .LBB44_306
; %bb.297:
	s_and_not1_b32 vcc_lo, exec_lo, s3
	s_cbranch_vccnz .LBB44_299
; %bb.298:
	scratch_load_b32 v94, v7, off
	ds_load_b32 v95, v1
	s_wait_loadcnt_dscnt 0x0
	v_mul_f32_e32 v94, v94, v95
	s_cbranch_execz .LBB44_300
	s_branch .LBB44_301
.LBB44_299:
                                        ; implicit-def: $vgpr94
.LBB44_300:
	ds_load_b32 v94, v1
.LBB44_301:
	s_and_saveexec_b32 s9, s0
	s_cbranch_execz .LBB44_305
; %bb.302:
	v_add_nc_u32_e32 v95, -14, v0
	s_mov_b32 s0, 56
	s_movk_i32 s11, 0xf8
	s_mov_b32 s10, 0
.LBB44_303:                             ; =>This Inner Loop Header: Depth=1
	scratch_load_b32 v96, off, s0
	v_dual_mov_b32 v97, s11 :: v_dual_add_nc_u32 v95, -1, v95
	s_add_co_i32 s11, s11, 4
	s_wait_xcnt 0x0
	s_add_co_i32 s0, s0, 4
	ds_load_b32 v97, v97
	v_cmp_eq_u32_e32 vcc_lo, 0, v95
	s_or_b32 s10, vcc_lo, s10
	s_wait_loadcnt_dscnt 0x0
	v_fmac_f32_e32 v94, v96, v97
	s_and_not1_b32 exec_lo, exec_lo, s10
	s_cbranch_execnz .LBB44_303
; %bb.304:
	s_or_b32 exec_lo, exec_lo, s10
.LBB44_305:
	s_delay_alu instid0(SALU_CYCLE_1)
	s_or_b32 exec_lo, exec_lo, s9
	v_mov_b32_e32 v95, 0
	ds_load_b32 v95, v95 offset:52
	s_wait_dscnt 0x0
	v_mul_f32_e32 v94, v94, v95
	scratch_store_b32 off, v94, off offset:52
.LBB44_306:
	;; [unrolled: 58-line block ×3, first 2 shown]
	s_wait_xcnt 0x0
	s_or_b32 exec_lo, exec_lo, s2
	scratch_load_b32 v94, off, off offset:44
	v_cmp_lt_u32_e64 s1, 11, v0
	s_wait_loadcnt 0x0
	ds_store_b32 v1, v94
	s_wait_storecnt_dscnt 0x0
	s_barrier_signal -1
	s_barrier_wait -1
	s_wait_xcnt 0x0
	s_and_saveexec_b32 s2, s1
	s_cbranch_execz .LBB44_326
; %bb.317:
	s_and_not1_b32 vcc_lo, exec_lo, s3
	s_cbranch_vccnz .LBB44_319
; %bb.318:
	scratch_load_b32 v94, v7, off
	ds_load_b32 v95, v1
	s_wait_loadcnt_dscnt 0x0
	v_mul_f32_e32 v94, v94, v95
	s_cbranch_execz .LBB44_320
	s_branch .LBB44_321
.LBB44_319:
                                        ; implicit-def: $vgpr94
.LBB44_320:
	ds_load_b32 v94, v1
.LBB44_321:
	s_and_saveexec_b32 s9, s0
	s_cbranch_execz .LBB44_325
; %bb.322:
	v_add_nc_u32_e32 v95, -12, v0
	s_movk_i32 s10, 0xf0
	s_mov_b32 s0, 0
.LBB44_323:                             ; =>This Inner Loop Header: Depth=1
	scratch_load_b32 v96, off, s8
	v_dual_mov_b32 v97, s10 :: v_dual_add_nc_u32 v95, -1, v95
	s_add_co_i32 s10, s10, 4
	s_wait_xcnt 0x0
	s_add_co_i32 s8, s8, 4
	ds_load_b32 v97, v97
	v_cmp_eq_u32_e32 vcc_lo, 0, v95
	s_or_b32 s0, vcc_lo, s0
	s_wait_loadcnt_dscnt 0x0
	v_fmac_f32_e32 v94, v96, v97
	s_and_not1_b32 exec_lo, exec_lo, s0
	s_cbranch_execnz .LBB44_323
; %bb.324:
	s_or_b32 exec_lo, exec_lo, s0
.LBB44_325:
	s_delay_alu instid0(SALU_CYCLE_1)
	s_or_b32 exec_lo, exec_lo, s9
	v_mov_b32_e32 v95, 0
	ds_load_b32 v95, v95 offset:44
	s_wait_dscnt 0x0
	v_mul_f32_e32 v94, v94, v95
	scratch_store_b32 off, v94, off offset:44
.LBB44_326:
	s_wait_xcnt 0x0
	s_or_b32 exec_lo, exec_lo, s2
	scratch_load_b32 v94, off, off offset:40
	v_cmp_lt_u32_e64 s0, 10, v0
	s_wait_loadcnt 0x0
	ds_store_b32 v1, v94
	s_wait_storecnt_dscnt 0x0
	s_barrier_signal -1
	s_barrier_wait -1
	s_wait_xcnt 0x0
	s_and_saveexec_b32 s2, s0
	s_cbranch_execz .LBB44_336
; %bb.327:
	s_and_not1_b32 vcc_lo, exec_lo, s3
	s_cbranch_vccnz .LBB44_329
; %bb.328:
	scratch_load_b32 v94, v7, off
	ds_load_b32 v95, v1
	s_wait_loadcnt_dscnt 0x0
	v_mul_f32_e32 v94, v94, v95
	s_cbranch_execz .LBB44_330
	s_branch .LBB44_331
.LBB44_329:
                                        ; implicit-def: $vgpr94
.LBB44_330:
	ds_load_b32 v94, v1
.LBB44_331:
	s_and_saveexec_b32 s8, s1
	s_cbranch_execz .LBB44_335
; %bb.332:
	v_add_nc_u32_e32 v95, -11, v0
	s_mov_b32 s1, 44
	s_movk_i32 s10, 0xec
	s_mov_b32 s9, 0
.LBB44_333:                             ; =>This Inner Loop Header: Depth=1
	scratch_load_b32 v96, off, s1
	v_dual_mov_b32 v97, s10 :: v_dual_add_nc_u32 v95, -1, v95
	s_add_co_i32 s10, s10, 4
	s_wait_xcnt 0x0
	s_add_co_i32 s1, s1, 4
	ds_load_b32 v97, v97
	v_cmp_eq_u32_e32 vcc_lo, 0, v95
	s_or_b32 s9, vcc_lo, s9
	s_wait_loadcnt_dscnt 0x0
	v_fmac_f32_e32 v94, v96, v97
	s_and_not1_b32 exec_lo, exec_lo, s9
	s_cbranch_execnz .LBB44_333
; %bb.334:
	s_or_b32 exec_lo, exec_lo, s9
.LBB44_335:
	s_delay_alu instid0(SALU_CYCLE_1)
	s_or_b32 exec_lo, exec_lo, s8
	v_mov_b32_e32 v95, 0
	ds_load_b32 v95, v95 offset:40
	s_wait_dscnt 0x0
	v_mul_f32_e32 v94, v94, v95
	scratch_store_b32 off, v94, off offset:40
.LBB44_336:
	s_wait_xcnt 0x0
	s_or_b32 exec_lo, exec_lo, s2
	scratch_load_b32 v94, off, off offset:36
	v_cmp_lt_u32_e64 s1, 9, v0
	s_wait_loadcnt 0x0
	ds_store_b32 v1, v94
	s_wait_storecnt_dscnt 0x0
	s_barrier_signal -1
	s_barrier_wait -1
	s_wait_xcnt 0x0
	s_and_saveexec_b32 s2, s1
	s_cbranch_execz .LBB44_346
; %bb.337:
	s_and_not1_b32 vcc_lo, exec_lo, s3
	s_cbranch_vccnz .LBB44_339
; %bb.338:
	scratch_load_b32 v94, v7, off
	ds_load_b32 v95, v1
	s_wait_loadcnt_dscnt 0x0
	v_mul_f32_e32 v94, v94, v95
	s_cbranch_execz .LBB44_340
	s_branch .LBB44_341
.LBB44_339:
                                        ; implicit-def: $vgpr94
.LBB44_340:
	ds_load_b32 v94, v1
.LBB44_341:
	s_and_saveexec_b32 s8, s0
	s_cbranch_execz .LBB44_345
; %bb.342:
	v_add_nc_u32_e32 v95, -10, v0
	s_mov_b32 s0, 40
	s_movk_i32 s10, 0xe8
	s_mov_b32 s9, 0
.LBB44_343:                             ; =>This Inner Loop Header: Depth=1
	scratch_load_b32 v96, off, s0
	v_dual_mov_b32 v97, s10 :: v_dual_add_nc_u32 v95, -1, v95
	s_add_co_i32 s10, s10, 4
	s_wait_xcnt 0x0
	s_add_co_i32 s0, s0, 4
	ds_load_b32 v97, v97
	v_cmp_eq_u32_e32 vcc_lo, 0, v95
	s_or_b32 s9, vcc_lo, s9
	s_wait_loadcnt_dscnt 0x0
	v_fmac_f32_e32 v94, v96, v97
	s_and_not1_b32 exec_lo, exec_lo, s9
	s_cbranch_execnz .LBB44_343
; %bb.344:
	s_or_b32 exec_lo, exec_lo, s9
.LBB44_345:
	s_delay_alu instid0(SALU_CYCLE_1)
	s_or_b32 exec_lo, exec_lo, s8
	v_mov_b32_e32 v95, 0
	ds_load_b32 v95, v95 offset:36
	s_wait_dscnt 0x0
	v_mul_f32_e32 v94, v94, v95
	scratch_store_b32 off, v94, off offset:36
.LBB44_346:
	;; [unrolled: 58-line block ×3, first 2 shown]
	s_wait_xcnt 0x0
	s_or_b32 exec_lo, exec_lo, s2
	scratch_load_b32 v94, off, off offset:28
	v_cmp_lt_u32_e64 s1, 7, v0
	s_wait_loadcnt 0x0
	ds_store_b32 v1, v94
	s_wait_storecnt_dscnt 0x0
	s_barrier_signal -1
	s_barrier_wait -1
	s_wait_xcnt 0x0
	s_and_saveexec_b32 s2, s1
	s_cbranch_execz .LBB44_366
; %bb.357:
	s_and_not1_b32 vcc_lo, exec_lo, s3
	s_cbranch_vccnz .LBB44_359
; %bb.358:
	scratch_load_b32 v94, v7, off
	ds_load_b32 v95, v1
	s_wait_loadcnt_dscnt 0x0
	v_mul_f32_e32 v94, v94, v95
	s_cbranch_execz .LBB44_360
	s_branch .LBB44_361
.LBB44_359:
                                        ; implicit-def: $vgpr94
.LBB44_360:
	ds_load_b32 v94, v1
.LBB44_361:
	s_and_saveexec_b32 s8, s0
	s_cbranch_execz .LBB44_365
; %bb.362:
	v_add_nc_u32_e32 v95, -8, v0
	s_movk_i32 s9, 0xe0
	s_mov_b32 s0, 0
.LBB44_363:                             ; =>This Inner Loop Header: Depth=1
	scratch_load_b32 v96, off, s5
	v_dual_mov_b32 v97, s9 :: v_dual_add_nc_u32 v95, -1, v95
	s_add_co_i32 s9, s9, 4
	s_wait_xcnt 0x0
	s_add_co_i32 s5, s5, 4
	ds_load_b32 v97, v97
	v_cmp_eq_u32_e32 vcc_lo, 0, v95
	s_or_b32 s0, vcc_lo, s0
	s_wait_loadcnt_dscnt 0x0
	v_fmac_f32_e32 v94, v96, v97
	s_and_not1_b32 exec_lo, exec_lo, s0
	s_cbranch_execnz .LBB44_363
; %bb.364:
	s_or_b32 exec_lo, exec_lo, s0
.LBB44_365:
	s_delay_alu instid0(SALU_CYCLE_1)
	s_or_b32 exec_lo, exec_lo, s8
	v_mov_b32_e32 v95, 0
	ds_load_b32 v95, v95 offset:28
	s_wait_dscnt 0x0
	v_mul_f32_e32 v94, v94, v95
	scratch_store_b32 off, v94, off offset:28
.LBB44_366:
	s_wait_xcnt 0x0
	s_or_b32 exec_lo, exec_lo, s2
	scratch_load_b32 v94, off, off offset:24
	v_cmp_lt_u32_e64 s0, 6, v0
	s_wait_loadcnt 0x0
	ds_store_b32 v1, v94
	s_wait_storecnt_dscnt 0x0
	s_barrier_signal -1
	s_barrier_wait -1
	s_wait_xcnt 0x0
	s_and_saveexec_b32 s2, s0
	s_cbranch_execz .LBB44_376
; %bb.367:
	s_and_not1_b32 vcc_lo, exec_lo, s3
	s_cbranch_vccnz .LBB44_369
; %bb.368:
	scratch_load_b32 v94, v7, off
	ds_load_b32 v95, v1
	s_wait_loadcnt_dscnt 0x0
	v_mul_f32_e32 v94, v94, v95
	s_cbranch_execz .LBB44_370
	s_branch .LBB44_371
.LBB44_369:
                                        ; implicit-def: $vgpr94
.LBB44_370:
	ds_load_b32 v94, v1
.LBB44_371:
	s_and_saveexec_b32 s5, s1
	s_cbranch_execz .LBB44_375
; %bb.372:
	v_add_nc_u32_e32 v95, -7, v0
	s_mov_b32 s1, 28
	s_movk_i32 s9, 0xdc
	s_mov_b32 s8, 0
.LBB44_373:                             ; =>This Inner Loop Header: Depth=1
	scratch_load_b32 v96, off, s1
	v_dual_mov_b32 v97, s9 :: v_dual_add_nc_u32 v95, -1, v95
	s_add_co_i32 s9, s9, 4
	s_wait_xcnt 0x0
	s_add_co_i32 s1, s1, 4
	ds_load_b32 v97, v97
	v_cmp_eq_u32_e32 vcc_lo, 0, v95
	s_or_b32 s8, vcc_lo, s8
	s_wait_loadcnt_dscnt 0x0
	v_fmac_f32_e32 v94, v96, v97
	s_and_not1_b32 exec_lo, exec_lo, s8
	s_cbranch_execnz .LBB44_373
; %bb.374:
	s_or_b32 exec_lo, exec_lo, s8
.LBB44_375:
	s_delay_alu instid0(SALU_CYCLE_1)
	s_or_b32 exec_lo, exec_lo, s5
	v_mov_b32_e32 v95, 0
	ds_load_b32 v95, v95 offset:24
	s_wait_dscnt 0x0
	v_mul_f32_e32 v94, v94, v95
	scratch_store_b32 off, v94, off offset:24
.LBB44_376:
	s_wait_xcnt 0x0
	s_or_b32 exec_lo, exec_lo, s2
	scratch_load_b32 v94, off, off offset:20
	v_cmp_lt_u32_e64 s1, 5, v0
	s_wait_loadcnt 0x0
	ds_store_b32 v1, v94
	s_wait_storecnt_dscnt 0x0
	s_barrier_signal -1
	s_barrier_wait -1
	s_wait_xcnt 0x0
	s_and_saveexec_b32 s2, s1
	s_cbranch_execz .LBB44_386
; %bb.377:
	s_and_not1_b32 vcc_lo, exec_lo, s3
	s_cbranch_vccnz .LBB44_379
; %bb.378:
	scratch_load_b32 v94, v7, off
	ds_load_b32 v95, v1
	s_wait_loadcnt_dscnt 0x0
	v_mul_f32_e32 v94, v94, v95
	s_cbranch_execz .LBB44_380
	s_branch .LBB44_381
.LBB44_379:
                                        ; implicit-def: $vgpr94
.LBB44_380:
	ds_load_b32 v94, v1
.LBB44_381:
	s_and_saveexec_b32 s5, s0
	s_cbranch_execz .LBB44_385
; %bb.382:
	v_add_nc_u32_e32 v95, -6, v0
	s_mov_b32 s0, 24
	s_movk_i32 s9, 0xd8
	s_mov_b32 s8, 0
.LBB44_383:                             ; =>This Inner Loop Header: Depth=1
	scratch_load_b32 v96, off, s0
	v_dual_mov_b32 v97, s9 :: v_dual_add_nc_u32 v95, -1, v95
	s_add_co_i32 s9, s9, 4
	s_wait_xcnt 0x0
	s_add_co_i32 s0, s0, 4
	ds_load_b32 v97, v97
	v_cmp_eq_u32_e32 vcc_lo, 0, v95
	s_or_b32 s8, vcc_lo, s8
	s_wait_loadcnt_dscnt 0x0
	v_fmac_f32_e32 v94, v96, v97
	s_and_not1_b32 exec_lo, exec_lo, s8
	s_cbranch_execnz .LBB44_383
; %bb.384:
	s_or_b32 exec_lo, exec_lo, s8
.LBB44_385:
	s_delay_alu instid0(SALU_CYCLE_1)
	s_or_b32 exec_lo, exec_lo, s5
	v_mov_b32_e32 v95, 0
	ds_load_b32 v95, v95 offset:20
	s_wait_dscnt 0x0
	v_mul_f32_e32 v94, v94, v95
	scratch_store_b32 off, v94, off offset:20
.LBB44_386:
	;; [unrolled: 58-line block ×3, first 2 shown]
	s_wait_xcnt 0x0
	s_or_b32 exec_lo, exec_lo, s2
	scratch_load_b32 v94, off, off offset:12
	v_cmp_lt_u32_e64 s2, 3, v0
	s_wait_loadcnt 0x0
	ds_store_b32 v1, v94
	s_wait_storecnt_dscnt 0x0
	s_barrier_signal -1
	s_barrier_wait -1
	s_wait_xcnt 0x0
	s_and_saveexec_b32 s1, s2
	s_cbranch_execz .LBB44_406
; %bb.397:
	s_and_not1_b32 vcc_lo, exec_lo, s3
	s_cbranch_vccnz .LBB44_399
; %bb.398:
	scratch_load_b32 v94, v7, off
	ds_load_b32 v95, v1
	s_wait_loadcnt_dscnt 0x0
	v_mul_f32_e32 v94, v94, v95
	s_cbranch_execz .LBB44_400
	s_branch .LBB44_401
.LBB44_399:
                                        ; implicit-def: $vgpr94
.LBB44_400:
	ds_load_b32 v94, v1
.LBB44_401:
	s_and_saveexec_b32 s5, s0
	s_cbranch_execz .LBB44_405
; %bb.402:
	v_add_nc_u32_e32 v95, -4, v0
	s_movk_i32 s8, 0xd0
	s_mov_b32 s0, 0
.LBB44_403:                             ; =>This Inner Loop Header: Depth=1
	scratch_load_b32 v96, off, s4
	v_dual_mov_b32 v97, s8 :: v_dual_add_nc_u32 v95, -1, v95
	s_add_co_i32 s8, s8, 4
	s_wait_xcnt 0x0
	s_add_co_i32 s4, s4, 4
	ds_load_b32 v97, v97
	v_cmp_eq_u32_e32 vcc_lo, 0, v95
	s_or_b32 s0, vcc_lo, s0
	s_wait_loadcnt_dscnt 0x0
	v_fmac_f32_e32 v94, v96, v97
	s_and_not1_b32 exec_lo, exec_lo, s0
	s_cbranch_execnz .LBB44_403
; %bb.404:
	s_or_b32 exec_lo, exec_lo, s0
.LBB44_405:
	s_delay_alu instid0(SALU_CYCLE_1)
	s_or_b32 exec_lo, exec_lo, s5
	v_mov_b32_e32 v95, 0
	ds_load_b32 v95, v95 offset:12
	s_wait_dscnt 0x0
	v_mul_f32_e32 v94, v94, v95
	scratch_store_b32 off, v94, off offset:12
.LBB44_406:
	s_wait_xcnt 0x0
	s_or_b32 exec_lo, exec_lo, s1
	scratch_load_b32 v94, off, off offset:8
	v_cmp_lt_u32_e64 s1, 2, v0
	s_wait_loadcnt 0x0
	ds_store_b32 v1, v94
	s_wait_storecnt_dscnt 0x0
	s_barrier_signal -1
	s_barrier_wait -1
	s_wait_xcnt 0x0
	s_and_saveexec_b32 s0, s1
	s_cbranch_execz .LBB44_416
; %bb.407:
	s_and_not1_b32 vcc_lo, exec_lo, s3
	s_cbranch_vccnz .LBB44_409
; %bb.408:
	scratch_load_b32 v94, v7, off
	ds_load_b32 v95, v1
	s_wait_loadcnt_dscnt 0x0
	v_mul_f32_e32 v94, v94, v95
	s_cbranch_execz .LBB44_410
	s_branch .LBB44_411
.LBB44_409:
                                        ; implicit-def: $vgpr94
.LBB44_410:
	ds_load_b32 v94, v1
.LBB44_411:
	s_and_saveexec_b32 s4, s2
	s_cbranch_execz .LBB44_415
; %bb.412:
	v_add_nc_u32_e32 v95, -3, v0
	s_or_b32 s2, 0, 12
	s_movk_i32 s8, 0xcc
	s_mov_b32 s5, 0
.LBB44_413:                             ; =>This Inner Loop Header: Depth=1
	scratch_load_b32 v96, off, s2
	v_dual_mov_b32 v97, s8 :: v_dual_add_nc_u32 v95, -1, v95
	s_add_co_i32 s8, s8, 4
	s_wait_xcnt 0x0
	s_add_co_i32 s2, s2, 4
	ds_load_b32 v97, v97
	v_cmp_eq_u32_e32 vcc_lo, 0, v95
	s_or_b32 s5, vcc_lo, s5
	s_wait_loadcnt_dscnt 0x0
	v_fmac_f32_e32 v94, v96, v97
	s_and_not1_b32 exec_lo, exec_lo, s5
	s_cbranch_execnz .LBB44_413
; %bb.414:
	s_or_b32 exec_lo, exec_lo, s5
.LBB44_415:
	s_delay_alu instid0(SALU_CYCLE_1)
	s_or_b32 exec_lo, exec_lo, s4
	v_mov_b32_e32 v95, 0
	ds_load_b32 v95, v95 offset:8
	s_wait_dscnt 0x0
	v_mul_f32_e32 v94, v94, v95
	scratch_store_b32 off, v94, off offset:8
.LBB44_416:
	s_wait_xcnt 0x0
	s_or_b32 exec_lo, exec_lo, s0
	scratch_load_b32 v94, off, off offset:4
	v_cmp_lt_u32_e64 s0, 1, v0
	s_wait_loadcnt 0x0
	ds_store_b32 v1, v94
	s_wait_storecnt_dscnt 0x0
	s_barrier_signal -1
	s_barrier_wait -1
	s_wait_xcnt 0x0
	s_and_saveexec_b32 s2, s0
	s_cbranch_execz .LBB44_426
; %bb.417:
	s_and_not1_b32 vcc_lo, exec_lo, s3
	s_cbranch_vccnz .LBB44_419
; %bb.418:
	scratch_load_b32 v94, v7, off
	ds_load_b32 v95, v1
	s_wait_loadcnt_dscnt 0x0
	v_mul_f32_e32 v94, v94, v95
	s_cbranch_execz .LBB44_420
	s_branch .LBB44_421
.LBB44_419:
                                        ; implicit-def: $vgpr94
.LBB44_420:
	ds_load_b32 v94, v1
.LBB44_421:
	s_and_saveexec_b32 s4, s1
	s_cbranch_execz .LBB44_425
; %bb.422:
	v_add_nc_u32_e32 v95, -2, v0
	s_or_b32 s1, 0, 8
	s_movk_i32 s8, 0xc8
	s_mov_b32 s5, 0
.LBB44_423:                             ; =>This Inner Loop Header: Depth=1
	scratch_load_b32 v96, off, s1
	v_dual_mov_b32 v97, s8 :: v_dual_add_nc_u32 v95, -1, v95
	s_add_co_i32 s8, s8, 4
	s_wait_xcnt 0x0
	s_add_co_i32 s1, s1, 4
	ds_load_b32 v97, v97
	v_cmp_eq_u32_e32 vcc_lo, 0, v95
	s_or_b32 s5, vcc_lo, s5
	s_wait_loadcnt_dscnt 0x0
	v_fmac_f32_e32 v94, v96, v97
	s_and_not1_b32 exec_lo, exec_lo, s5
	s_cbranch_execnz .LBB44_423
; %bb.424:
	s_or_b32 exec_lo, exec_lo, s5
.LBB44_425:
	s_delay_alu instid0(SALU_CYCLE_1)
	s_or_b32 exec_lo, exec_lo, s4
	v_mov_b32_e32 v95, 0
	ds_load_b32 v95, v95 offset:4
	s_wait_dscnt 0x0
	v_mul_f32_e32 v94, v94, v95
	scratch_store_b32 off, v94, off offset:4
.LBB44_426:
	s_wait_xcnt 0x0
	s_or_b32 exec_lo, exec_lo, s2
	scratch_load_b32 v94, off, off
	s_mov_b32 s1, 0
	s_mov_b32 s2, exec_lo
	s_wait_loadcnt 0x0
	ds_store_b32 v1, v94
	s_wait_storecnt_dscnt 0x0
	s_barrier_signal -1
	s_barrier_wait -1
	s_wait_xcnt 0x0
	v_cmpx_ne_u32_e32 0, v0
	s_cbranch_execz .LBB44_436
; %bb.427:
	s_and_not1_b32 vcc_lo, exec_lo, s3
	s_cbranch_vccnz .LBB44_429
; %bb.428:
	scratch_load_b32 v94, v7, off
	ds_load_b32 v95, v1
	s_wait_loadcnt_dscnt 0x0
	v_mul_f32_e32 v94, v94, v95
	s_cbranch_execz .LBB44_430
	s_branch .LBB44_431
.LBB44_429:
                                        ; implicit-def: $vgpr94
.LBB44_430:
	ds_load_b32 v94, v1
.LBB44_431:
	s_and_saveexec_b32 s4, s0
	s_cbranch_execz .LBB44_435
; %bb.432:
	v_add_nc_u32_e32 v95, -1, v0
	s_or_b32 s0, 0, 4
	s_movk_i32 s8, 0xc4
	s_mov_b32 s5, 0
.LBB44_433:                             ; =>This Inner Loop Header: Depth=1
	scratch_load_b32 v96, off, s0
	v_dual_mov_b32 v97, s8 :: v_dual_add_nc_u32 v95, -1, v95
	s_add_co_i32 s8, s8, 4
	s_wait_xcnt 0x0
	s_add_co_i32 s0, s0, 4
	ds_load_b32 v97, v97
	v_cmp_eq_u32_e32 vcc_lo, 0, v95
	s_or_b32 s5, vcc_lo, s5
	s_wait_loadcnt_dscnt 0x0
	v_fmac_f32_e32 v94, v96, v97
	s_and_not1_b32 exec_lo, exec_lo, s5
	s_cbranch_execnz .LBB44_433
; %bb.434:
	s_or_b32 exec_lo, exec_lo, s5
.LBB44_435:
	s_delay_alu instid0(SALU_CYCLE_1)
	s_or_b32 exec_lo, exec_lo, s4
	v_mov_b32_e32 v95, 0
	ds_load_b32 v95, v95
	s_wait_dscnt 0x0
	v_mul_f32_e32 v94, v94, v95
	scratch_store_b32 off, v94, off
.LBB44_436:
	s_wait_xcnt 0x0
	s_or_b32 exec_lo, exec_lo, s2
.LBB44_437:
	v_lshl_add_u64 v[108:109], v[8:9], 2, s[6:7]
	v_lshl_add_u64 v[106:107], v[10:11], 2, s[6:7]
	;; [unrolled: 1-line block ×43, first 2 shown]
	s_and_b32 vcc_lo, exec_lo, s1
	s_cbranch_vccz .LBB44_869
; %bb.438:
	scratch_load_b32 v78, off, off offset:4
	v_cmp_eq_u32_e64 s0, 0, v0
	s_wait_loadcnt 0x0
	ds_store_b32 v1, v78
	s_wait_storecnt_dscnt 0x0
	s_barrier_signal -1
	s_barrier_wait -1
	s_wait_xcnt 0x0
	s_and_saveexec_b32 s1, s0
	s_cbranch_execz .LBB44_444
; %bb.439:
	s_and_b32 vcc_lo, exec_lo, s3
	s_cbranch_vccz .LBB44_441
; %bb.440:
	scratch_load_b32 v78, v7, off
	ds_load_b32 v79, v1
	s_wait_loadcnt_dscnt 0x0
	v_mul_f32_e32 v78, v78, v79
	s_cbranch_execz .LBB44_442
	s_branch .LBB44_443
.LBB44_441:
                                        ; implicit-def: $vgpr78
.LBB44_442:
	ds_load_b32 v78, v1
.LBB44_443:
	v_mov_b32_e32 v79, 0
	ds_load_b32 v79, v79 offset:4
	s_wait_dscnt 0x0
	v_mul_f32_e32 v78, v78, v79
	scratch_store_b32 off, v78, off offset:4
.LBB44_444:
	s_wait_xcnt 0x0
	s_or_b32 exec_lo, exec_lo, s1
	scratch_load_b32 v79, off, off offset:8
	v_cndmask_b32_e64 v78, 0, 1, s3
	s_mov_b32 s1, exec_lo
	s_wait_loadcnt 0x0
	ds_store_b32 v1, v79
	s_wait_storecnt_dscnt 0x0
	s_barrier_signal -1
	s_barrier_wait -1
	s_wait_xcnt 0x0
	v_cmpx_gt_u32_e32 2, v0
	s_cbranch_execz .LBB44_450
; %bb.445:
	s_and_not1_b32 vcc_lo, exec_lo, s3
	s_cbranch_vccnz .LBB44_447
; %bb.446:
	scratch_load_b32 v79, v7, off
	ds_load_b32 v80, v1
	s_wait_loadcnt_dscnt 0x0
	v_mul_f32_e32 v79, v79, v80
	s_cbranch_execz .LBB44_448
	s_branch .LBB44_449
.LBB44_447:
                                        ; implicit-def: $vgpr79
.LBB44_448:
	ds_load_b32 v79, v1
.LBB44_449:
	scratch_load_b32 v82, off, off offset:4
	v_mov_b32_e32 v80, 0
	ds_load_2addr_b32 v[80:81], v80 offset0:2 offset1:49
	s_wait_loadcnt_dscnt 0x0
	v_fma_f32 v81, v82, v81, v79
	s_delay_alu instid0(VALU_DEP_1) | instskip(NEXT) | instid1(VALU_DEP_1)
	v_cndmask_b32_e64 v79, v79, v81, s0
	v_mul_f32_e32 v79, v79, v80
	scratch_store_b32 off, v79, off offset:8
.LBB44_450:
	s_wait_xcnt 0x0
	s_or_b32 exec_lo, exec_lo, s1
	scratch_load_b32 v79, off, off offset:12
	s_mov_b32 s1, exec_lo
	s_wait_loadcnt 0x0
	ds_store_b32 v1, v79
	s_wait_storecnt_dscnt 0x0
	s_barrier_signal -1
	s_barrier_wait -1
	s_wait_xcnt 0x0
	v_cmpx_gt_u32_e32 3, v0
	s_cbranch_execz .LBB44_458
; %bb.451:
	v_cmp_ne_u32_e32 vcc_lo, 1, v78
	s_cbranch_vccnz .LBB44_453
; %bb.452:
	scratch_load_b32 v79, v7, off
	ds_load_b32 v80, v1
	s_wait_loadcnt_dscnt 0x0
	v_mul_f32_e32 v79, v79, v80
	s_cbranch_execz .LBB44_454
	s_branch .LBB44_455
.LBB44_453:
                                        ; implicit-def: $vgpr79
.LBB44_454:
	ds_load_b32 v79, v1
.LBB44_455:
	s_mov_b32 s2, exec_lo
	v_cmpx_ne_u32_e32 2, v0
	s_cbranch_execz .LBB44_457
; %bb.456:
	scratch_load_b32 v80, v7, off offset:4
	scratch_load_b32 v81, off, off offset:8
	ds_load_b32 v82, v1 offset:4
	v_mov_b32_e32 v83, 0
	ds_load_b32 v83, v83 offset:200
	s_wait_loadcnt_dscnt 0x101
	v_fmac_f32_e32 v79, v80, v82
	s_wait_loadcnt_dscnt 0x0
	s_delay_alu instid0(VALU_DEP_1) | instskip(NEXT) | instid1(VALU_DEP_1)
	v_fma_f32 v80, v81, v83, v79
	v_cndmask_b32_e64 v79, v79, v80, s0
.LBB44_457:
	s_or_b32 exec_lo, exec_lo, s2
	v_mov_b32_e32 v80, 0
	ds_load_b32 v80, v80 offset:12
	s_wait_dscnt 0x0
	v_mul_f32_e32 v79, v79, v80
	scratch_store_b32 off, v79, off offset:12
.LBB44_458:
	s_wait_xcnt 0x0
	s_or_b32 exec_lo, exec_lo, s1
	scratch_load_b32 v79, off, off offset:16
	s_mov_b32 s0, exec_lo
	s_wait_loadcnt 0x0
	ds_store_b32 v1, v79
	s_wait_storecnt_dscnt 0x0
	s_barrier_signal -1
	s_barrier_wait -1
	s_wait_xcnt 0x0
	v_cmpx_gt_u32_e32 4, v0
	s_cbranch_execz .LBB44_468
; %bb.459:
	v_cmp_ne_u32_e32 vcc_lo, 1, v78
	s_cbranch_vccnz .LBB44_461
; %bb.460:
	scratch_load_b32 v79, v7, off
	ds_load_b32 v80, v1
	s_wait_loadcnt_dscnt 0x0
	v_mul_f32_e32 v79, v79, v80
	s_cbranch_execz .LBB44_462
	s_branch .LBB44_463
.LBB44_461:
                                        ; implicit-def: $vgpr79
.LBB44_462:
	ds_load_b32 v79, v1
.LBB44_463:
	s_mov_b32 s1, exec_lo
	v_cmpx_ne_u32_e32 3, v0
	s_cbranch_execz .LBB44_467
; %bb.464:
	v_add_nc_u32_e32 v80, 0xc4, v6
	v_add3_u32 v81, 0, v6, 4
	v_mov_b32_e32 v82, v0
	s_mov_b32 s2, 0
.LBB44_465:                             ; =>This Inner Loop Header: Depth=1
	scratch_load_b32 v83, v81, off
	ds_load_b32 v84, v80
	v_dual_add_nc_u32 v82, 1, v82 :: v_dual_add_nc_u32 v80, 4, v80
	s_wait_xcnt 0x0
	v_add_nc_u32_e32 v81, 4, v81
	s_delay_alu instid0(VALU_DEP_2)
	v_cmp_lt_u32_e32 vcc_lo, 2, v82
	s_or_b32 s2, vcc_lo, s2
	s_wait_loadcnt_dscnt 0x0
	v_fmac_f32_e32 v79, v83, v84
	s_and_not1_b32 exec_lo, exec_lo, s2
	s_cbranch_execnz .LBB44_465
; %bb.466:
	s_or_b32 exec_lo, exec_lo, s2
.LBB44_467:
	s_delay_alu instid0(SALU_CYCLE_1)
	s_or_b32 exec_lo, exec_lo, s1
	v_mov_b32_e32 v80, 0
	ds_load_b32 v80, v80 offset:16
	s_wait_dscnt 0x0
	v_mul_f32_e32 v79, v79, v80
	scratch_store_b32 off, v79, off offset:16
.LBB44_468:
	s_wait_xcnt 0x0
	s_or_b32 exec_lo, exec_lo, s0
	scratch_load_b32 v79, off, off offset:20
	s_mov_b32 s0, exec_lo
	s_wait_loadcnt 0x0
	ds_store_b32 v1, v79
	s_wait_storecnt_dscnt 0x0
	s_barrier_signal -1
	s_barrier_wait -1
	s_wait_xcnt 0x0
	v_cmpx_gt_u32_e32 5, v0
	s_cbranch_execz .LBB44_478
; %bb.469:
	v_cmp_ne_u32_e32 vcc_lo, 1, v78
	s_cbranch_vccnz .LBB44_471
; %bb.470:
	scratch_load_b32 v79, v7, off
	ds_load_b32 v80, v1
	s_wait_loadcnt_dscnt 0x0
	v_mul_f32_e32 v79, v79, v80
	s_cbranch_execz .LBB44_472
	s_branch .LBB44_473
.LBB44_471:
                                        ; implicit-def: $vgpr79
.LBB44_472:
	ds_load_b32 v79, v1
.LBB44_473:
	s_mov_b32 s1, exec_lo
	v_cmpx_ne_u32_e32 4, v0
	s_cbranch_execz .LBB44_477
; %bb.474:
	v_add_nc_u32_e32 v80, 0xc4, v6
	v_add3_u32 v81, 0, v6, 4
	v_mov_b32_e32 v82, v0
	s_mov_b32 s2, 0
.LBB44_475:                             ; =>This Inner Loop Header: Depth=1
	scratch_load_b32 v83, v81, off
	ds_load_b32 v84, v80
	v_dual_add_nc_u32 v82, 1, v82 :: v_dual_add_nc_u32 v80, 4, v80
	s_wait_xcnt 0x0
	v_add_nc_u32_e32 v81, 4, v81
	s_delay_alu instid0(VALU_DEP_2)
	v_cmp_lt_u32_e32 vcc_lo, 3, v82
	s_or_b32 s2, vcc_lo, s2
	s_wait_loadcnt_dscnt 0x0
	v_fmac_f32_e32 v79, v83, v84
	s_and_not1_b32 exec_lo, exec_lo, s2
	s_cbranch_execnz .LBB44_475
; %bb.476:
	s_or_b32 exec_lo, exec_lo, s2
.LBB44_477:
	s_delay_alu instid0(SALU_CYCLE_1)
	s_or_b32 exec_lo, exec_lo, s1
	v_mov_b32_e32 v80, 0
	ds_load_b32 v80, v80 offset:20
	s_wait_dscnt 0x0
	v_mul_f32_e32 v79, v79, v80
	scratch_store_b32 off, v79, off offset:20
.LBB44_478:
	;; [unrolled: 59-line block ×39, first 2 shown]
	s_wait_xcnt 0x0
	s_or_b32 exec_lo, exec_lo, s0
	scratch_load_b32 v79, off, off offset:172
	v_cmp_gt_u32_e64 s0, 43, v0
	s_wait_loadcnt 0x0
	ds_store_b32 v1, v79
	s_wait_storecnt_dscnt 0x0
	s_barrier_signal -1
	s_barrier_wait -1
	s_wait_xcnt 0x0
	s_and_saveexec_b32 s1, s0
	s_cbranch_execz .LBB44_858
; %bb.849:
	v_cmp_ne_u32_e32 vcc_lo, 1, v78
	s_cbranch_vccnz .LBB44_851
; %bb.850:
	scratch_load_b32 v79, v7, off
	ds_load_b32 v80, v1
	s_wait_loadcnt_dscnt 0x0
	v_mul_f32_e32 v79, v79, v80
	s_cbranch_execz .LBB44_852
	s_branch .LBB44_853
.LBB44_851:
                                        ; implicit-def: $vgpr79
.LBB44_852:
	ds_load_b32 v79, v1
.LBB44_853:
	s_mov_b32 s2, exec_lo
	v_cmpx_ne_u32_e32 42, v0
	s_cbranch_execz .LBB44_857
; %bb.854:
	v_add_nc_u32_e32 v80, 0xc4, v6
	v_add3_u32 v81, 0, v6, 4
	v_mov_b32_e32 v82, v0
	s_mov_b32 s3, 0
.LBB44_855:                             ; =>This Inner Loop Header: Depth=1
	scratch_load_b32 v83, v81, off
	ds_load_b32 v84, v80
	v_dual_add_nc_u32 v82, 1, v82 :: v_dual_add_nc_u32 v80, 4, v80
	s_wait_xcnt 0x0
	v_add_nc_u32_e32 v81, 4, v81
	s_delay_alu instid0(VALU_DEP_2)
	v_cmp_lt_u32_e32 vcc_lo, 41, v82
	s_or_b32 s3, vcc_lo, s3
	s_wait_loadcnt_dscnt 0x0
	v_fmac_f32_e32 v79, v83, v84
	s_and_not1_b32 exec_lo, exec_lo, s3
	s_cbranch_execnz .LBB44_855
; %bb.856:
	s_or_b32 exec_lo, exec_lo, s3
.LBB44_857:
	s_delay_alu instid0(SALU_CYCLE_1)
	s_or_b32 exec_lo, exec_lo, s2
	v_mov_b32_e32 v80, 0
	ds_load_b32 v80, v80 offset:172
	s_wait_dscnt 0x0
	v_mul_f32_e32 v79, v79, v80
	scratch_store_b32 off, v79, off offset:172
.LBB44_858:
	s_wait_xcnt 0x0
	s_or_b32 exec_lo, exec_lo, s1
	scratch_load_b32 v79, off, off offset:176
	s_mov_b32 s1, exec_lo
	s_wait_loadcnt 0x0
	ds_store_b32 v1, v79
	s_wait_storecnt_dscnt 0x0
	s_barrier_signal -1
	s_barrier_wait -1
	s_wait_xcnt 0x0
	v_cmpx_ne_u32_e32 44, v0
	s_cbranch_execz .LBB44_868
; %bb.859:
	v_cmp_ne_u32_e32 vcc_lo, 1, v78
	s_cbranch_vccnz .LBB44_861
; %bb.860:
	scratch_load_b32 v7, v7, off
	ds_load_b32 v78, v1
	s_wait_loadcnt_dscnt 0x0
	v_mul_f32_e32 v7, v7, v78
	s_cbranch_execz .LBB44_862
	s_branch .LBB44_863
.LBB44_861:
                                        ; implicit-def: $vgpr7
.LBB44_862:
	ds_load_b32 v7, v1
.LBB44_863:
	s_and_saveexec_b32 s2, s0
	s_cbranch_execz .LBB44_867
; %bb.864:
	v_add_nc_u32_e32 v1, 0xc4, v6
	v_add3_u32 v6, 0, v6, 4
	s_mov_b32 s0, 0
.LBB44_865:                             ; =>This Inner Loop Header: Depth=1
	scratch_load_b32 v78, v6, off
	ds_load_b32 v79, v1
	v_dual_add_nc_u32 v0, 1, v0 :: v_dual_add_nc_u32 v1, 4, v1
	s_wait_xcnt 0x0
	v_add_nc_u32_e32 v6, 4, v6
	s_delay_alu instid0(VALU_DEP_2)
	v_cmp_lt_u32_e32 vcc_lo, 42, v0
	s_or_b32 s0, vcc_lo, s0
	s_wait_loadcnt_dscnt 0x0
	v_fmac_f32_e32 v7, v78, v79
	s_and_not1_b32 exec_lo, exec_lo, s0
	s_cbranch_execnz .LBB44_865
; %bb.866:
	s_or_b32 exec_lo, exec_lo, s0
.LBB44_867:
	s_delay_alu instid0(SALU_CYCLE_1)
	s_or_b32 exec_lo, exec_lo, s2
	v_mov_b32_e32 v0, 0
	ds_load_b32 v0, v0 offset:176
	s_wait_dscnt 0x0
	v_mul_f32_e32 v0, v7, v0
	scratch_store_b32 off, v0, off offset:176
.LBB44_868:
	s_wait_xcnt 0x0
	s_or_b32 exec_lo, exec_lo, s1
.LBB44_869:
	s_clause 0x3
	scratch_load_b128 v[78:81], off, off
	scratch_load_b128 v[82:85], off, off offset:16
	scratch_load_b128 v[86:89], off, off offset:32
	;; [unrolled: 1-line block ×3, first 2 shown]
	s_wait_loadcnt 0x3
	global_store_b32 v[2:3], v78, off
	scratch_load_b128 v[0:3], off, off offset:64
	s_clause 0x1
	global_store_b32 v[4:5], v79, off
	global_store_b32 v[108:109], v80, off
	scratch_load_b128 v[4:7], off, off offset:80
	global_store_b32 v[106:107], v81, off
	scratch_load_b128 v[78:81], off, off offset:96
	s_wait_loadcnt 0x5
	global_store_b32 v[104:105], v82, off
	scratch_load_b128 v[104:107], off, off offset:112
	s_clause 0x1
	global_store_b32 v[100:101], v83, off
	global_store_b32 v[102:103], v84, off
	scratch_load_b128 v[100:103], off, off offset:128
	global_store_b32 v[98:99], v85, off
	scratch_load_b128 v[82:85], off, off offset:144
	s_wait_loadcnt 0x7
	global_store_b32 v[96:97], v86, off
	s_clause 0x1
	scratch_load_b128 v[96:99], off, off offset:160
	scratch_load_b32 v86, off, off offset:176
	s_clause 0x2
	global_store_b32 v[94:95], v87, off
	global_store_b32 v[8:9], v88, off
	global_store_b32 v[10:11], v89, off
	s_wait_loadcnt 0x8
	s_clause 0x3
	global_store_b32 v[12:13], v90, off
	global_store_b32 v[14:15], v91, off
	global_store_b32 v[16:17], v92, off
	global_store_b32 v[18:19], v93, off
	s_wait_loadcnt 0x7
	s_clause 0x3
	global_store_b32 v[20:21], v0, off
	;; [unrolled: 6-line block ×8, first 2 shown]
	global_store_b32 v[70:71], v97, off
	global_store_b32 v[72:73], v98, off
	;; [unrolled: 1-line block ×3, first 2 shown]
	s_wait_loadcnt 0x0
	global_store_b32 v[76:77], v86, off
.LBB44_870:
	s_sendmsg sendmsg(MSG_DEALLOC_VGPRS)
	s_endpgm
	.section	.rodata,"a",@progbits
	.p2align	6, 0x0
	.amdhsa_kernel _ZN9rocsolver6v33100L18trti2_kernel_smallILi45EfPfEEv13rocblas_fill_17rocblas_diagonal_T1_iil
		.amdhsa_group_segment_fixed_size 372
		.amdhsa_private_segment_fixed_size 192
		.amdhsa_kernarg_size 32
		.amdhsa_user_sgpr_count 2
		.amdhsa_user_sgpr_dispatch_ptr 0
		.amdhsa_user_sgpr_queue_ptr 0
		.amdhsa_user_sgpr_kernarg_segment_ptr 1
		.amdhsa_user_sgpr_dispatch_id 0
		.amdhsa_user_sgpr_kernarg_preload_length 0
		.amdhsa_user_sgpr_kernarg_preload_offset 0
		.amdhsa_user_sgpr_private_segment_size 0
		.amdhsa_wavefront_size32 1
		.amdhsa_uses_dynamic_stack 0
		.amdhsa_enable_private_segment 1
		.amdhsa_system_sgpr_workgroup_id_x 1
		.amdhsa_system_sgpr_workgroup_id_y 0
		.amdhsa_system_sgpr_workgroup_id_z 0
		.amdhsa_system_sgpr_workgroup_info 0
		.amdhsa_system_vgpr_workitem_id 0
		.amdhsa_next_free_vgpr 116
		.amdhsa_next_free_sgpr 19
		.amdhsa_named_barrier_count 0
		.amdhsa_reserve_vcc 1
		.amdhsa_float_round_mode_32 0
		.amdhsa_float_round_mode_16_64 0
		.amdhsa_float_denorm_mode_32 3
		.amdhsa_float_denorm_mode_16_64 3
		.amdhsa_fp16_overflow 0
		.amdhsa_memory_ordered 1
		.amdhsa_forward_progress 1
		.amdhsa_inst_pref_size 195
		.amdhsa_round_robin_scheduling 0
		.amdhsa_exception_fp_ieee_invalid_op 0
		.amdhsa_exception_fp_denorm_src 0
		.amdhsa_exception_fp_ieee_div_zero 0
		.amdhsa_exception_fp_ieee_overflow 0
		.amdhsa_exception_fp_ieee_underflow 0
		.amdhsa_exception_fp_ieee_inexact 0
		.amdhsa_exception_int_div_zero 0
	.end_amdhsa_kernel
	.section	.text._ZN9rocsolver6v33100L18trti2_kernel_smallILi45EfPfEEv13rocblas_fill_17rocblas_diagonal_T1_iil,"axG",@progbits,_ZN9rocsolver6v33100L18trti2_kernel_smallILi45EfPfEEv13rocblas_fill_17rocblas_diagonal_T1_iil,comdat
.Lfunc_end44:
	.size	_ZN9rocsolver6v33100L18trti2_kernel_smallILi45EfPfEEv13rocblas_fill_17rocblas_diagonal_T1_iil, .Lfunc_end44-_ZN9rocsolver6v33100L18trti2_kernel_smallILi45EfPfEEv13rocblas_fill_17rocblas_diagonal_T1_iil
                                        ; -- End function
	.set _ZN9rocsolver6v33100L18trti2_kernel_smallILi45EfPfEEv13rocblas_fill_17rocblas_diagonal_T1_iil.num_vgpr, 116
	.set _ZN9rocsolver6v33100L18trti2_kernel_smallILi45EfPfEEv13rocblas_fill_17rocblas_diagonal_T1_iil.num_agpr, 0
	.set _ZN9rocsolver6v33100L18trti2_kernel_smallILi45EfPfEEv13rocblas_fill_17rocblas_diagonal_T1_iil.numbered_sgpr, 19
	.set _ZN9rocsolver6v33100L18trti2_kernel_smallILi45EfPfEEv13rocblas_fill_17rocblas_diagonal_T1_iil.num_named_barrier, 0
	.set _ZN9rocsolver6v33100L18trti2_kernel_smallILi45EfPfEEv13rocblas_fill_17rocblas_diagonal_T1_iil.private_seg_size, 192
	.set _ZN9rocsolver6v33100L18trti2_kernel_smallILi45EfPfEEv13rocblas_fill_17rocblas_diagonal_T1_iil.uses_vcc, 1
	.set _ZN9rocsolver6v33100L18trti2_kernel_smallILi45EfPfEEv13rocblas_fill_17rocblas_diagonal_T1_iil.uses_flat_scratch, 1
	.set _ZN9rocsolver6v33100L18trti2_kernel_smallILi45EfPfEEv13rocblas_fill_17rocblas_diagonal_T1_iil.has_dyn_sized_stack, 0
	.set _ZN9rocsolver6v33100L18trti2_kernel_smallILi45EfPfEEv13rocblas_fill_17rocblas_diagonal_T1_iil.has_recursion, 0
	.set _ZN9rocsolver6v33100L18trti2_kernel_smallILi45EfPfEEv13rocblas_fill_17rocblas_diagonal_T1_iil.has_indirect_call, 0
	.section	.AMDGPU.csdata,"",@progbits
; Kernel info:
; codeLenInByte = 24924
; TotalNumSgprs: 21
; NumVgprs: 116
; ScratchSize: 192
; MemoryBound: 0
; FloatMode: 240
; IeeeMode: 1
; LDSByteSize: 372 bytes/workgroup (compile time only)
; SGPRBlocks: 0
; VGPRBlocks: 7
; NumSGPRsForWavesPerEU: 21
; NumVGPRsForWavesPerEU: 116
; NamedBarCnt: 0
; Occupancy: 8
; WaveLimiterHint : 0
; COMPUTE_PGM_RSRC2:SCRATCH_EN: 1
; COMPUTE_PGM_RSRC2:USER_SGPR: 2
; COMPUTE_PGM_RSRC2:TRAP_HANDLER: 0
; COMPUTE_PGM_RSRC2:TGID_X_EN: 1
; COMPUTE_PGM_RSRC2:TGID_Y_EN: 0
; COMPUTE_PGM_RSRC2:TGID_Z_EN: 0
; COMPUTE_PGM_RSRC2:TIDIG_COMP_CNT: 0
	.section	.text._ZN9rocsolver6v33100L18trti2_kernel_smallILi46EfPfEEv13rocblas_fill_17rocblas_diagonal_T1_iil,"axG",@progbits,_ZN9rocsolver6v33100L18trti2_kernel_smallILi46EfPfEEv13rocblas_fill_17rocblas_diagonal_T1_iil,comdat
	.globl	_ZN9rocsolver6v33100L18trti2_kernel_smallILi46EfPfEEv13rocblas_fill_17rocblas_diagonal_T1_iil ; -- Begin function _ZN9rocsolver6v33100L18trti2_kernel_smallILi46EfPfEEv13rocblas_fill_17rocblas_diagonal_T1_iil
	.p2align	8
	.type	_ZN9rocsolver6v33100L18trti2_kernel_smallILi46EfPfEEv13rocblas_fill_17rocblas_diagonal_T1_iil,@function
_ZN9rocsolver6v33100L18trti2_kernel_smallILi46EfPfEEv13rocblas_fill_17rocblas_diagonal_T1_iil: ; @_ZN9rocsolver6v33100L18trti2_kernel_smallILi46EfPfEEv13rocblas_fill_17rocblas_diagonal_T1_iil
; %bb.0:
	s_mov_b32 s2, exec_lo
	v_cmpx_gt_u32_e32 46, v0
	s_cbranch_execz .LBB45_890
; %bb.1:
	s_load_b256 s[4:11], s[0:1], 0x0
	s_wait_xcnt 0x0
	s_bfe_u32 s0, ttmp6, 0x4000c
	s_and_b32 s1, ttmp6, 15
	s_add_co_i32 s0, s0, 1
	s_getreg_b32 s2, hwreg(HW_REG_IB_STS2, 6, 4)
	s_mul_i32 s0, ttmp9, s0
	v_dual_mov_b32 v7, 0 :: v_dual_lshlrev_b32 v6, 2, v0
	s_add_co_i32 s0, s1, s0
	s_wait_kmcnt 0x0
	s_ashr_i32 s1, s8, 31
	s_cmp_eq_u32 s2, 0
	v_add3_u32 v8, s9, s9, v0
	s_cselect_b32 s2, ttmp9, s0
	s_mov_b32 s0, s8
	s_ashr_i32 s3, s2, 31
	s_lshl_b64 s[0:1], s[0:1], 2
	s_mul_u64 s[2:3], s[10:11], s[2:3]
	v_add_nc_u32_e32 v10, s9, v8
	s_lshl_b64 s[2:3], s[2:3], 2
	s_delay_alu instid0(SALU_CYCLE_1) | instskip(NEXT) | instid1(VALU_DEP_1)
	s_add_nc_u64 s[2:3], s[6:7], s[2:3]
	v_add_nc_u32_e32 v12, s9, v10
	s_add_nc_u64 s[6:7], s[2:3], s[0:1]
	s_mov_b32 s0, s9
	v_add_nc_u64_e32 v[2:3], s[6:7], v[6:7]
	s_ashr_i32 s1, s9, 31
	v_add_nc_u32_e32 v14, s9, v12
	s_cmp_lg_u32 s5, 0x84
	s_cselect_b32 s3, -1, 0
	s_cmp_eq_u32 s5, 0x84
	s_delay_alu instid0(VALU_DEP_2)
	v_lshl_add_u64 v[4:5], s[0:1], 2, v[2:3]
	v_add_nc_u32_e32 v16, s9, v14
	s_clause 0x3
	global_load_b32 v76, v0, s[6:7] scale_offset
	global_load_b32 v77, v[4:5], off
	global_load_b32 v78, v8, s[6:7] scale_offset
	global_load_b32 v79, v10, s[6:7] scale_offset
	v_dual_ashrrev_i32 v11, 31, v10 :: v_dual_add_nc_u32 v18, s9, v16
	s_delay_alu instid0(VALU_DEP_1)
	v_dual_ashrrev_i32 v13, 31, v12 :: v_dual_ashrrev_i32 v19, 31, v18
	v_add_nc_u32_e32 v20, s9, v18
	s_clause 0x3
	global_load_b32 v80, v12, s[6:7] scale_offset
	global_load_b32 v81, v14, s[6:7] scale_offset
	;; [unrolled: 1-line block ×4, first 2 shown]
	v_dual_ashrrev_i32 v9, 31, v8 :: v_dual_ashrrev_i32 v15, 31, v14
	v_add_nc_u32_e32 v22, s9, v20
	s_delay_alu instid0(VALU_DEP_1) | instskip(NEXT) | instid1(VALU_DEP_1)
	v_add_nc_u32_e32 v24, s9, v22
	v_add_nc_u32_e32 v26, s9, v24
	s_delay_alu instid0(VALU_DEP_1) | instskip(NEXT) | instid1(VALU_DEP_1)
	v_dual_add_nc_u32 v28, s9, v26 :: v_dual_ashrrev_i32 v17, 31, v16
	v_dual_ashrrev_i32 v23, 31, v22 :: v_dual_add_nc_u32 v30, s9, v28
	s_delay_alu instid0(VALU_DEP_1)
	v_dual_ashrrev_i32 v25, 31, v24 :: v_dual_ashrrev_i32 v31, 31, v30
	v_add_nc_u32_e32 v32, s9, v30
	s_clause 0x3
	global_load_b32 v84, v20, s[6:7] scale_offset
	global_load_b32 v85, v22, s[6:7] scale_offset
	;; [unrolled: 1-line block ×4, first 2 shown]
	v_dual_ashrrev_i32 v21, 31, v20 :: v_dual_ashrrev_i32 v27, 31, v26
	v_add_nc_u32_e32 v34, s9, v32
	s_delay_alu instid0(VALU_DEP_1) | instskip(NEXT) | instid1(VALU_DEP_1)
	v_add_nc_u32_e32 v36, s9, v34
	v_add_nc_u32_e32 v38, s9, v36
	s_delay_alu instid0(VALU_DEP_1)
	v_add_nc_u32_e32 v40, s9, v38
	s_clause 0x3
	global_load_b32 v88, v28, s[6:7] scale_offset
	global_load_b32 v89, v30, s[6:7] scale_offset
	;; [unrolled: 1-line block ×4, first 2 shown]
	v_dual_ashrrev_i32 v29, 31, v28 :: v_dual_ashrrev_i32 v35, 31, v34
	v_add_nc_u32_e32 v42, s9, v40
	s_delay_alu instid0(VALU_DEP_1)
	v_dual_ashrrev_i32 v37, 31, v36 :: v_dual_ashrrev_i32 v43, 31, v42
	v_add_nc_u32_e32 v44, s9, v42
	s_clause 0x3
	global_load_b32 v92, v36, s[6:7] scale_offset
	global_load_b32 v93, v38, s[6:7] scale_offset
	;; [unrolled: 1-line block ×4, first 2 shown]
	v_dual_ashrrev_i32 v33, 31, v32 :: v_dual_ashrrev_i32 v39, 31, v38
	v_add_nc_u32_e32 v46, s9, v44
	s_delay_alu instid0(VALU_DEP_1) | instskip(NEXT) | instid1(VALU_DEP_1)
	v_add_nc_u32_e32 v48, s9, v46
	v_add_nc_u32_e32 v50, s9, v48
	s_delay_alu instid0(VALU_DEP_1) | instskip(NEXT) | instid1(VALU_DEP_1)
	v_dual_add_nc_u32 v52, s9, v50 :: v_dual_ashrrev_i32 v41, 31, v40
	v_dual_ashrrev_i32 v47, 31, v46 :: v_dual_add_nc_u32 v54, s9, v52
	s_delay_alu instid0(VALU_DEP_1)
	v_dual_ashrrev_i32 v49, 31, v48 :: v_dual_ashrrev_i32 v55, 31, v54
	v_add_nc_u32_e32 v56, s9, v54
	s_clause 0x3
	global_load_b32 v96, v44, s[6:7] scale_offset
	global_load_b32 v97, v46, s[6:7] scale_offset
	;; [unrolled: 1-line block ×4, first 2 shown]
	v_dual_ashrrev_i32 v45, 31, v44 :: v_dual_ashrrev_i32 v51, 31, v50
	v_add_nc_u32_e32 v58, s9, v56
	s_delay_alu instid0(VALU_DEP_1) | instskip(NEXT) | instid1(VALU_DEP_1)
	v_add_nc_u32_e32 v60, s9, v58
	v_add_nc_u32_e32 v62, s9, v60
	s_delay_alu instid0(VALU_DEP_1) | instskip(NEXT) | instid1(VALU_DEP_1)
	v_dual_add_nc_u32 v64, s9, v62 :: v_dual_ashrrev_i32 v53, 31, v52
	v_dual_ashrrev_i32 v59, 31, v58 :: v_dual_add_nc_u32 v66, s9, v64
	s_delay_alu instid0(VALU_DEP_1)
	v_dual_ashrrev_i32 v61, 31, v60 :: v_dual_ashrrev_i32 v67, 31, v66
	v_add_nc_u32_e32 v68, s9, v66
	s_clause 0x7
	global_load_b32 v100, v52, s[6:7] scale_offset
	global_load_b32 v101, v54, s[6:7] scale_offset
	;; [unrolled: 1-line block ×8, first 2 shown]
	v_dual_ashrrev_i32 v57, 31, v56 :: v_dual_ashrrev_i32 v63, 31, v62
	v_add_nc_u32_e32 v70, s9, v68
	s_delay_alu instid0(VALU_DEP_1) | instskip(NEXT) | instid1(VALU_DEP_1)
	v_add_nc_u32_e32 v72, s9, v70
	v_add_nc_u32_e32 v74, s9, v72
	s_wait_loadcnt 0x1c
	scratch_store_b128 off, v[76:79], off
	s_wait_xcnt 0x0
	v_dual_add_nc_u32 v76, s9, v74 :: v_dual_ashrrev_i32 v65, 31, v64
	s_delay_alu instid0(VALU_DEP_1)
	v_dual_ashrrev_i32 v71, 31, v70 :: v_dual_add_nc_u32 v78, s9, v76
	s_clause 0x3
	global_load_b32 v108, v68, s[6:7] scale_offset
	global_load_b32 v109, v70, s[6:7] scale_offset
	global_load_b32 v110, v72, s[6:7] scale_offset
	global_load_b32 v111, v74, s[6:7] scale_offset
	v_ashrrev_i32_e32 v73, 31, v72
	s_wait_loadcnt 0x1c
	scratch_store_b128 off, v[80:83], off offset:16
	s_wait_xcnt 0x0
	v_dual_add_nc_u32 v80, s9, v78 :: v_dual_ashrrev_i32 v69, 31, v68
	v_ashrrev_i32_e32 v75, 31, v74
	s_delay_alu instid0(VALU_DEP_2) | instskip(SKIP_4) | instid1(VALU_DEP_1)
	v_dual_ashrrev_i32 v79, 31, v78 :: v_dual_add_nc_u32 v82, s9, v80
	s_wait_loadcnt 0x18
	scratch_store_b128 off, v[84:87], off offset:32
	s_wait_xcnt 0x0
	v_add_nc_u32_e32 v84, s9, v82
	v_add_nc_u32_e32 v86, s9, v84
	s_wait_loadcnt 0x14
	scratch_store_b128 off, v[88:91], off offset:48
	s_wait_xcnt 0x0
	v_dual_add_nc_u32 v88, s9, v86 :: v_dual_ashrrev_i32 v77, 31, v76
	s_delay_alu instid0(VALU_DEP_1) | instskip(NEXT) | instid1(VALU_DEP_1)
	v_dual_ashrrev_i32 v83, 31, v82 :: v_dual_add_nc_u32 v90, s9, v88
	v_dual_ashrrev_i32 v85, 31, v84 :: v_dual_ashrrev_i32 v91, 31, v90
	s_wait_loadcnt 0x10
	scratch_store_b128 off, v[92:95], off offset:64
	s_wait_xcnt 0x0
	v_add_nc_u32_e32 v92, s9, v90
	s_clause 0x3
	global_load_b32 v112, v76, s[6:7] scale_offset
	global_load_b32 v113, v78, s[6:7] scale_offset
	;; [unrolled: 1-line block ×4, first 2 shown]
	v_dual_ashrrev_i32 v81, 31, v80 :: v_dual_ashrrev_i32 v87, 31, v86
	v_add_nc_u32_e32 v94, s9, v92
	v_ashrrev_i32_e32 v89, 31, v88
	s_delay_alu instid0(VALU_DEP_2)
	v_dual_ashrrev_i32 v93, 31, v92 :: v_dual_ashrrev_i32 v95, 31, v94
	s_wait_loadcnt 0x10
	scratch_store_b128 off, v[96:99], off offset:80
	s_wait_xcnt 0x0
	v_mov_b32_e32 v96, -1.0
	s_wait_loadcnt 0xc
	scratch_store_b128 off, v[100:103], off offset:96
	s_wait_loadcnt 0x8
	scratch_store_b128 off, v[104:107], off offset:112
	;; [unrolled: 2-line block ×3, first 2 shown]
	s_clause 0x5
	global_load_b32 v98, v84, s[6:7] scale_offset
	global_load_b32 v99, v86, s[6:7] scale_offset
	;; [unrolled: 1-line block ×6, first 2 shown]
	s_wait_loadcnt 0x6
	scratch_store_b128 off, v[112:115], off offset:144
	s_wait_loadcnt 0x2
	scratch_store_b128 off, v[98:101], off offset:160
	s_wait_loadcnt 0x0
	scratch_store_b64 off, v[102:103], off offset:176
	s_cbranch_scc1 .LBB45_3
; %bb.2:
	scratch_load_b32 v1, v0, off scale_offset
	s_wait_loadcnt 0x0
	v_div_scale_f32 v7, null, v1, v1, 1.0
	s_delay_alu instid0(VALU_DEP_1) | instskip(SKIP_1) | instid1(TRANS32_DEP_1)
	v_rcp_f32_e32 v96, v7
	v_nop
	v_fma_f32 v97, -v7, v96, 1.0
	s_delay_alu instid0(VALU_DEP_1) | instskip(SKIP_2) | instid1(VALU_DEP_1)
	v_fmac_f32_e32 v96, v97, v96
	v_div_scale_f32 v97, vcc_lo, 1.0, v1, 1.0
	s_wait_xcnt 0x2
	v_mul_f32_e32 v98, v97, v96
	s_delay_alu instid0(VALU_DEP_1) | instskip(NEXT) | instid1(VALU_DEP_1)
	v_fma_f32 v99, -v7, v98, v97
	v_fmac_f32_e32 v98, v99, v96
	s_delay_alu instid0(VALU_DEP_1) | instskip(NEXT) | instid1(VALU_DEP_1)
	v_fma_f32 v7, -v7, v98, v97
	v_div_fmas_f32 v7, v7, v96, v98
	s_delay_alu instid0(VALU_DEP_1) | instskip(NEXT) | instid1(VALU_DEP_1)
	v_div_fixup_f32 v1, v7, v1, 1.0
	v_xor_b32_e32 v96, 0x80000000, v1
	scratch_store_b32 v0, v1, off scale_offset
.LBB45_3:
	s_wait_xcnt 0x0
	v_add_nc_u32_e32 v1, 0xc0, v6
	v_mov_b32_e32 v7, v6
	s_cmp_eq_u32 s4, 0x79
	s_mov_b32 s1, -1
	ds_store_b32 v6, v96
	s_cbranch_scc1 .LBB45_447
; %bb.4:
	scratch_load_b32 v96, off, off offset:176
	v_cmp_eq_u32_e64 s0, 45, v0
	s_movk_i32 s1, 0x50
	s_movk_i32 s10, 0x60
	;; [unrolled: 1-line block ×6, first 2 shown]
	s_wait_loadcnt 0x0
	ds_store_b32 v1, v96
	s_wait_storecnt_dscnt 0x0
	s_barrier_signal -1
	s_barrier_wait -1
	s_wait_xcnt 0x0
	s_and_saveexec_b32 s2, s0
	s_cbranch_execz .LBB45_10
; %bb.5:
	s_and_b32 vcc_lo, exec_lo, s3
	s_cbranch_vccz .LBB45_7
; %bb.6:
	scratch_load_b32 v96, v7, off
	ds_load_b32 v97, v1
	s_wait_loadcnt_dscnt 0x0
	v_mul_f32_e32 v96, v96, v97
	s_cbranch_execz .LBB45_8
	s_branch .LBB45_9
.LBB45_7:
                                        ; implicit-def: $vgpr96
.LBB45_8:
	ds_load_b32 v96, v1
.LBB45_9:
	v_mov_b32_e32 v97, 0
	ds_load_b32 v97, v97 offset:176
	s_wait_dscnt 0x0
	v_mul_f32_e32 v96, v96, v97
	scratch_store_b32 off, v96, off offset:176
.LBB45_10:
	s_wait_xcnt 0x0
	s_or_b32 exec_lo, exec_lo, s2
	scratch_load_b32 v96, off, off offset:172
	s_mov_b32 s9, s1
	v_cmp_lt_u32_e64 s1, 43, v0
	s_mov_b32 s4, 16
	s_mov_b32 s2, 32
	;; [unrolled: 1-line block ×4, first 2 shown]
	s_wait_loadcnt 0x0
	ds_store_b32 v1, v96
	s_wait_storecnt_dscnt 0x0
	s_barrier_signal -1
	s_barrier_wait -1
	s_wait_xcnt 0x0
	s_and_saveexec_b32 s15, s1
	s_cbranch_execz .LBB45_16
; %bb.11:
	s_and_not1_b32 vcc_lo, exec_lo, s3
	s_cbranch_vccnz .LBB45_13
; %bb.12:
	scratch_load_b32 v96, v7, off
	ds_load_b32 v97, v1
	s_wait_loadcnt_dscnt 0x0
	v_mul_f32_e32 v96, v96, v97
	s_cbranch_execz .LBB45_14
	s_branch .LBB45_15
.LBB45_13:
                                        ; implicit-def: $vgpr96
.LBB45_14:
	ds_load_b32 v96, v1
.LBB45_15:
	scratch_load_b32 v97, off, off offset:176
	v_mov_b32_e32 v98, 0
	ds_load_2addr_b32 v[98:99], v98 offset0:43 offset1:92
	s_wait_loadcnt_dscnt 0x0
	v_fma_f32 v97, v97, v99, v96
	s_delay_alu instid0(VALU_DEP_1) | instskip(NEXT) | instid1(VALU_DEP_1)
	v_cndmask_b32_e64 v96, v96, v97, s0
	v_mul_f32_e32 v96, v96, v98
	scratch_store_b32 off, v96, off offset:172
.LBB45_16:
	s_wait_xcnt 0x0
	s_or_b32 exec_lo, exec_lo, s15
	scratch_load_b32 v96, off, off offset:168
	v_cmp_lt_u32_e64 s0, 42, v0
	s_wait_loadcnt 0x0
	ds_store_b32 v1, v96
	s_wait_storecnt_dscnt 0x0
	s_barrier_signal -1
	s_barrier_wait -1
	s_wait_xcnt 0x0
	s_and_saveexec_b32 s15, s0
	s_cbranch_execz .LBB45_26
; %bb.17:
	s_and_not1_b32 vcc_lo, exec_lo, s3
	s_cbranch_vccnz .LBB45_19
; %bb.18:
	scratch_load_b32 v96, v7, off
	ds_load_b32 v97, v1
	s_wait_loadcnt_dscnt 0x0
	v_mul_f32_e32 v96, v96, v97
	s_cbranch_execz .LBB45_20
	s_branch .LBB45_21
.LBB45_19:
                                        ; implicit-def: $vgpr96
.LBB45_20:
	ds_load_b32 v96, v1
.LBB45_21:
	s_and_saveexec_b32 s16, s1
	s_cbranch_execz .LBB45_25
; %bb.22:
	v_subrev_nc_u32_e32 v97, 43, v0
	s_movk_i32 s1, 0xac
	s_movk_i32 s18, 0x16c
	s_mov_b32 s17, 0
.LBB45_23:                              ; =>This Inner Loop Header: Depth=1
	scratch_load_b32 v98, off, s1
	v_dual_mov_b32 v99, s18 :: v_dual_add_nc_u32 v97, -1, v97
	s_add_co_i32 s18, s18, 4
	s_wait_xcnt 0x0
	s_add_co_i32 s1, s1, 4
	ds_load_b32 v99, v99
	v_cmp_eq_u32_e32 vcc_lo, 0, v97
	s_or_b32 s17, vcc_lo, s17
	s_wait_loadcnt_dscnt 0x0
	v_fmac_f32_e32 v96, v98, v99
	s_and_not1_b32 exec_lo, exec_lo, s17
	s_cbranch_execnz .LBB45_23
; %bb.24:
	s_or_b32 exec_lo, exec_lo, s17
.LBB45_25:
	s_delay_alu instid0(SALU_CYCLE_1)
	s_or_b32 exec_lo, exec_lo, s16
	v_mov_b32_e32 v97, 0
	ds_load_b32 v97, v97 offset:168
	s_wait_dscnt 0x0
	v_mul_f32_e32 v96, v96, v97
	scratch_store_b32 off, v96, off offset:168
.LBB45_26:
	s_wait_xcnt 0x0
	s_or_b32 exec_lo, exec_lo, s15
	scratch_load_b32 v96, off, off offset:164
	v_cmp_lt_u32_e64 s1, 41, v0
	s_wait_loadcnt 0x0
	ds_store_b32 v1, v96
	s_wait_storecnt_dscnt 0x0
	s_barrier_signal -1
	s_barrier_wait -1
	s_wait_xcnt 0x0
	s_and_saveexec_b32 s15, s1
	s_cbranch_execz .LBB45_36
; %bb.27:
	s_and_not1_b32 vcc_lo, exec_lo, s3
	s_cbranch_vccnz .LBB45_29
; %bb.28:
	scratch_load_b32 v96, v7, off
	ds_load_b32 v97, v1
	s_wait_loadcnt_dscnt 0x0
	v_mul_f32_e32 v96, v96, v97
	s_cbranch_execz .LBB45_30
	s_branch .LBB45_31
.LBB45_29:
                                        ; implicit-def: $vgpr96
.LBB45_30:
	ds_load_b32 v96, v1
.LBB45_31:
	s_and_saveexec_b32 s16, s0
	s_cbranch_execz .LBB45_35
; %bb.32:
	v_subrev_nc_u32_e32 v97, 42, v0
	s_movk_i32 s0, 0xa8
	s_movk_i32 s18, 0x168
	s_mov_b32 s17, 0
.LBB45_33:                              ; =>This Inner Loop Header: Depth=1
	scratch_load_b32 v98, off, s0
	v_dual_mov_b32 v99, s18 :: v_dual_add_nc_u32 v97, -1, v97
	s_add_co_i32 s18, s18, 4
	s_wait_xcnt 0x0
	s_add_co_i32 s0, s0, 4
	ds_load_b32 v99, v99
	v_cmp_eq_u32_e32 vcc_lo, 0, v97
	s_or_b32 s17, vcc_lo, s17
	s_wait_loadcnt_dscnt 0x0
	v_fmac_f32_e32 v96, v98, v99
	s_and_not1_b32 exec_lo, exec_lo, s17
	s_cbranch_execnz .LBB45_33
; %bb.34:
	s_or_b32 exec_lo, exec_lo, s17
.LBB45_35:
	s_delay_alu instid0(SALU_CYCLE_1)
	s_or_b32 exec_lo, exec_lo, s16
	v_mov_b32_e32 v97, 0
	ds_load_b32 v97, v97 offset:164
	s_wait_dscnt 0x0
	v_mul_f32_e32 v96, v96, v97
	scratch_store_b32 off, v96, off offset:164
.LBB45_36:
	;; [unrolled: 58-line block ×3, first 2 shown]
	s_wait_xcnt 0x0
	s_or_b32 exec_lo, exec_lo, s15
	scratch_load_b32 v96, off, off offset:156
	v_cmp_lt_u32_e64 s1, 39, v0
	s_wait_loadcnt 0x0
	ds_store_b32 v1, v96
	s_wait_storecnt_dscnt 0x0
	s_barrier_signal -1
	s_barrier_wait -1
	s_wait_xcnt 0x0
	s_and_saveexec_b32 s15, s1
	s_cbranch_execz .LBB45_56
; %bb.47:
	s_and_not1_b32 vcc_lo, exec_lo, s3
	s_cbranch_vccnz .LBB45_49
; %bb.48:
	scratch_load_b32 v96, v7, off
	ds_load_b32 v97, v1
	s_wait_loadcnt_dscnt 0x0
	v_mul_f32_e32 v96, v96, v97
	s_cbranch_execz .LBB45_50
	s_branch .LBB45_51
.LBB45_49:
                                        ; implicit-def: $vgpr96
.LBB45_50:
	ds_load_b32 v96, v1
.LBB45_51:
	s_and_saveexec_b32 s16, s0
	s_cbranch_execz .LBB45_55
; %bb.52:
	v_subrev_nc_u32_e32 v97, 40, v0
	s_movk_i32 s17, 0x160
	s_mov_b32 s0, 0
.LBB45_53:                              ; =>This Inner Loop Header: Depth=1
	scratch_load_b32 v98, off, s14
	v_dual_mov_b32 v99, s17 :: v_dual_add_nc_u32 v97, -1, v97
	s_add_co_i32 s17, s17, 4
	s_wait_xcnt 0x0
	s_add_co_i32 s14, s14, 4
	ds_load_b32 v99, v99
	v_cmp_eq_u32_e32 vcc_lo, 0, v97
	s_or_b32 s0, vcc_lo, s0
	s_wait_loadcnt_dscnt 0x0
	v_fmac_f32_e32 v96, v98, v99
	s_and_not1_b32 exec_lo, exec_lo, s0
	s_cbranch_execnz .LBB45_53
; %bb.54:
	s_or_b32 exec_lo, exec_lo, s0
.LBB45_55:
	s_delay_alu instid0(SALU_CYCLE_1)
	s_or_b32 exec_lo, exec_lo, s16
	v_mov_b32_e32 v97, 0
	ds_load_b32 v97, v97 offset:156
	s_wait_dscnt 0x0
	v_mul_f32_e32 v96, v96, v97
	scratch_store_b32 off, v96, off offset:156
.LBB45_56:
	s_wait_xcnt 0x0
	s_or_b32 exec_lo, exec_lo, s15
	scratch_load_b32 v96, off, off offset:152
	v_cmp_lt_u32_e64 s0, 38, v0
	s_wait_loadcnt 0x0
	ds_store_b32 v1, v96
	s_wait_storecnt_dscnt 0x0
	s_barrier_signal -1
	s_barrier_wait -1
	s_wait_xcnt 0x0
	s_and_saveexec_b32 s14, s0
	s_cbranch_execz .LBB45_66
; %bb.57:
	s_and_not1_b32 vcc_lo, exec_lo, s3
	s_cbranch_vccnz .LBB45_59
; %bb.58:
	scratch_load_b32 v96, v7, off
	ds_load_b32 v97, v1
	s_wait_loadcnt_dscnt 0x0
	v_mul_f32_e32 v96, v96, v97
	s_cbranch_execz .LBB45_60
	s_branch .LBB45_61
.LBB45_59:
                                        ; implicit-def: $vgpr96
.LBB45_60:
	ds_load_b32 v96, v1
.LBB45_61:
	s_and_saveexec_b32 s15, s1
	s_cbranch_execz .LBB45_65
; %bb.62:
	v_subrev_nc_u32_e32 v97, 39, v0
	s_movk_i32 s1, 0x9c
	s_movk_i32 s17, 0x15c
	s_mov_b32 s16, 0
.LBB45_63:                              ; =>This Inner Loop Header: Depth=1
	scratch_load_b32 v98, off, s1
	v_dual_mov_b32 v99, s17 :: v_dual_add_nc_u32 v97, -1, v97
	s_add_co_i32 s17, s17, 4
	s_wait_xcnt 0x0
	s_add_co_i32 s1, s1, 4
	ds_load_b32 v99, v99
	v_cmp_eq_u32_e32 vcc_lo, 0, v97
	s_or_b32 s16, vcc_lo, s16
	s_wait_loadcnt_dscnt 0x0
	v_fmac_f32_e32 v96, v98, v99
	s_and_not1_b32 exec_lo, exec_lo, s16
	s_cbranch_execnz .LBB45_63
; %bb.64:
	s_or_b32 exec_lo, exec_lo, s16
.LBB45_65:
	s_delay_alu instid0(SALU_CYCLE_1)
	s_or_b32 exec_lo, exec_lo, s15
	v_mov_b32_e32 v97, 0
	ds_load_b32 v97, v97 offset:152
	s_wait_dscnt 0x0
	v_mul_f32_e32 v96, v96, v97
	scratch_store_b32 off, v96, off offset:152
.LBB45_66:
	s_wait_xcnt 0x0
	s_or_b32 exec_lo, exec_lo, s14
	scratch_load_b32 v96, off, off offset:148
	v_cmp_lt_u32_e64 s1, 37, v0
	s_wait_loadcnt 0x0
	ds_store_b32 v1, v96
	s_wait_storecnt_dscnt 0x0
	s_barrier_signal -1
	s_barrier_wait -1
	s_wait_xcnt 0x0
	s_and_saveexec_b32 s14, s1
	s_cbranch_execz .LBB45_76
; %bb.67:
	s_and_not1_b32 vcc_lo, exec_lo, s3
	s_cbranch_vccnz .LBB45_69
; %bb.68:
	scratch_load_b32 v96, v7, off
	ds_load_b32 v97, v1
	s_wait_loadcnt_dscnt 0x0
	v_mul_f32_e32 v96, v96, v97
	s_cbranch_execz .LBB45_70
	s_branch .LBB45_71
.LBB45_69:
                                        ; implicit-def: $vgpr96
.LBB45_70:
	ds_load_b32 v96, v1
.LBB45_71:
	s_and_saveexec_b32 s15, s0
	s_cbranch_execz .LBB45_75
; %bb.72:
	v_subrev_nc_u32_e32 v97, 38, v0
	s_movk_i32 s0, 0x98
	s_movk_i32 s17, 0x158
	s_mov_b32 s16, 0
.LBB45_73:                              ; =>This Inner Loop Header: Depth=1
	scratch_load_b32 v98, off, s0
	v_dual_mov_b32 v99, s17 :: v_dual_add_nc_u32 v97, -1, v97
	s_add_co_i32 s17, s17, 4
	s_wait_xcnt 0x0
	s_add_co_i32 s0, s0, 4
	ds_load_b32 v99, v99
	v_cmp_eq_u32_e32 vcc_lo, 0, v97
	s_or_b32 s16, vcc_lo, s16
	s_wait_loadcnt_dscnt 0x0
	v_fmac_f32_e32 v96, v98, v99
	s_and_not1_b32 exec_lo, exec_lo, s16
	s_cbranch_execnz .LBB45_73
; %bb.74:
	s_or_b32 exec_lo, exec_lo, s16
.LBB45_75:
	s_delay_alu instid0(SALU_CYCLE_1)
	s_or_b32 exec_lo, exec_lo, s15
	v_mov_b32_e32 v97, 0
	ds_load_b32 v97, v97 offset:148
	s_wait_dscnt 0x0
	v_mul_f32_e32 v96, v96, v97
	scratch_store_b32 off, v96, off offset:148
.LBB45_76:
	;; [unrolled: 58-line block ×3, first 2 shown]
	s_wait_xcnt 0x0
	s_or_b32 exec_lo, exec_lo, s14
	scratch_load_b32 v96, off, off offset:140
	v_cmp_lt_u32_e64 s1, 35, v0
	s_wait_loadcnt 0x0
	ds_store_b32 v1, v96
	s_wait_storecnt_dscnt 0x0
	s_barrier_signal -1
	s_barrier_wait -1
	s_wait_xcnt 0x0
	s_and_saveexec_b32 s14, s1
	s_cbranch_execz .LBB45_96
; %bb.87:
	s_and_not1_b32 vcc_lo, exec_lo, s3
	s_cbranch_vccnz .LBB45_89
; %bb.88:
	scratch_load_b32 v96, v7, off
	ds_load_b32 v97, v1
	s_wait_loadcnt_dscnt 0x0
	v_mul_f32_e32 v96, v96, v97
	s_cbranch_execz .LBB45_90
	s_branch .LBB45_91
.LBB45_89:
                                        ; implicit-def: $vgpr96
.LBB45_90:
	ds_load_b32 v96, v1
.LBB45_91:
	s_and_saveexec_b32 s15, s0
	s_cbranch_execz .LBB45_95
; %bb.92:
	v_subrev_nc_u32_e32 v97, 36, v0
	s_movk_i32 s16, 0x150
	s_mov_b32 s0, 0
.LBB45_93:                              ; =>This Inner Loop Header: Depth=1
	scratch_load_b32 v98, off, s13
	v_dual_mov_b32 v99, s16 :: v_dual_add_nc_u32 v97, -1, v97
	s_add_co_i32 s16, s16, 4
	s_wait_xcnt 0x0
	s_add_co_i32 s13, s13, 4
	ds_load_b32 v99, v99
	v_cmp_eq_u32_e32 vcc_lo, 0, v97
	s_or_b32 s0, vcc_lo, s0
	s_wait_loadcnt_dscnt 0x0
	v_fmac_f32_e32 v96, v98, v99
	s_and_not1_b32 exec_lo, exec_lo, s0
	s_cbranch_execnz .LBB45_93
; %bb.94:
	s_or_b32 exec_lo, exec_lo, s0
.LBB45_95:
	s_delay_alu instid0(SALU_CYCLE_1)
	s_or_b32 exec_lo, exec_lo, s15
	v_mov_b32_e32 v97, 0
	ds_load_b32 v97, v97 offset:140
	s_wait_dscnt 0x0
	v_mul_f32_e32 v96, v96, v97
	scratch_store_b32 off, v96, off offset:140
.LBB45_96:
	s_wait_xcnt 0x0
	s_or_b32 exec_lo, exec_lo, s14
	scratch_load_b32 v96, off, off offset:136
	v_cmp_lt_u32_e64 s0, 34, v0
	s_wait_loadcnt 0x0
	ds_store_b32 v1, v96
	s_wait_storecnt_dscnt 0x0
	s_barrier_signal -1
	s_barrier_wait -1
	s_wait_xcnt 0x0
	s_and_saveexec_b32 s13, s0
	s_cbranch_execz .LBB45_106
; %bb.97:
	s_and_not1_b32 vcc_lo, exec_lo, s3
	s_cbranch_vccnz .LBB45_99
; %bb.98:
	scratch_load_b32 v96, v7, off
	ds_load_b32 v97, v1
	s_wait_loadcnt_dscnt 0x0
	v_mul_f32_e32 v96, v96, v97
	s_cbranch_execz .LBB45_100
	s_branch .LBB45_101
.LBB45_99:
                                        ; implicit-def: $vgpr96
.LBB45_100:
	ds_load_b32 v96, v1
.LBB45_101:
	s_and_saveexec_b32 s14, s1
	s_cbranch_execz .LBB45_105
; %bb.102:
	v_subrev_nc_u32_e32 v97, 35, v0
	s_movk_i32 s1, 0x8c
	s_movk_i32 s16, 0x14c
	s_mov_b32 s15, 0
.LBB45_103:                             ; =>This Inner Loop Header: Depth=1
	scratch_load_b32 v98, off, s1
	v_dual_mov_b32 v99, s16 :: v_dual_add_nc_u32 v97, -1, v97
	s_add_co_i32 s16, s16, 4
	s_wait_xcnt 0x0
	s_add_co_i32 s1, s1, 4
	ds_load_b32 v99, v99
	v_cmp_eq_u32_e32 vcc_lo, 0, v97
	s_or_b32 s15, vcc_lo, s15
	s_wait_loadcnt_dscnt 0x0
	v_fmac_f32_e32 v96, v98, v99
	s_and_not1_b32 exec_lo, exec_lo, s15
	s_cbranch_execnz .LBB45_103
; %bb.104:
	s_or_b32 exec_lo, exec_lo, s15
.LBB45_105:
	s_delay_alu instid0(SALU_CYCLE_1)
	s_or_b32 exec_lo, exec_lo, s14
	v_mov_b32_e32 v97, 0
	ds_load_b32 v97, v97 offset:136
	s_wait_dscnt 0x0
	v_mul_f32_e32 v96, v96, v97
	scratch_store_b32 off, v96, off offset:136
.LBB45_106:
	s_wait_xcnt 0x0
	s_or_b32 exec_lo, exec_lo, s13
	scratch_load_b32 v96, off, off offset:132
	v_cmp_lt_u32_e64 s1, 33, v0
	s_wait_loadcnt 0x0
	ds_store_b32 v1, v96
	s_wait_storecnt_dscnt 0x0
	s_barrier_signal -1
	s_barrier_wait -1
	s_wait_xcnt 0x0
	s_and_saveexec_b32 s13, s1
	s_cbranch_execz .LBB45_116
; %bb.107:
	s_and_not1_b32 vcc_lo, exec_lo, s3
	s_cbranch_vccnz .LBB45_109
; %bb.108:
	scratch_load_b32 v96, v7, off
	ds_load_b32 v97, v1
	s_wait_loadcnt_dscnt 0x0
	v_mul_f32_e32 v96, v96, v97
	s_cbranch_execz .LBB45_110
	s_branch .LBB45_111
.LBB45_109:
                                        ; implicit-def: $vgpr96
.LBB45_110:
	ds_load_b32 v96, v1
.LBB45_111:
	s_and_saveexec_b32 s14, s0
	s_cbranch_execz .LBB45_115
; %bb.112:
	v_subrev_nc_u32_e32 v97, 34, v0
	s_movk_i32 s0, 0x88
	s_movk_i32 s16, 0x148
	s_mov_b32 s15, 0
.LBB45_113:                             ; =>This Inner Loop Header: Depth=1
	scratch_load_b32 v98, off, s0
	v_dual_mov_b32 v99, s16 :: v_dual_add_nc_u32 v97, -1, v97
	s_add_co_i32 s16, s16, 4
	s_wait_xcnt 0x0
	s_add_co_i32 s0, s0, 4
	ds_load_b32 v99, v99
	v_cmp_eq_u32_e32 vcc_lo, 0, v97
	s_or_b32 s15, vcc_lo, s15
	s_wait_loadcnt_dscnt 0x0
	v_fmac_f32_e32 v96, v98, v99
	s_and_not1_b32 exec_lo, exec_lo, s15
	s_cbranch_execnz .LBB45_113
; %bb.114:
	s_or_b32 exec_lo, exec_lo, s15
.LBB45_115:
	s_delay_alu instid0(SALU_CYCLE_1)
	s_or_b32 exec_lo, exec_lo, s14
	v_mov_b32_e32 v97, 0
	ds_load_b32 v97, v97 offset:132
	s_wait_dscnt 0x0
	v_mul_f32_e32 v96, v96, v97
	scratch_store_b32 off, v96, off offset:132
.LBB45_116:
	;; [unrolled: 58-line block ×3, first 2 shown]
	s_wait_xcnt 0x0
	s_or_b32 exec_lo, exec_lo, s13
	scratch_load_b32 v96, off, off offset:124
	v_cmp_lt_u32_e64 s1, 31, v0
	s_wait_loadcnt 0x0
	ds_store_b32 v1, v96
	s_wait_storecnt_dscnt 0x0
	s_barrier_signal -1
	s_barrier_wait -1
	s_wait_xcnt 0x0
	s_and_saveexec_b32 s13, s1
	s_cbranch_execz .LBB45_136
; %bb.127:
	s_and_not1_b32 vcc_lo, exec_lo, s3
	s_cbranch_vccnz .LBB45_129
; %bb.128:
	scratch_load_b32 v96, v7, off
	ds_load_b32 v97, v1
	s_wait_loadcnt_dscnt 0x0
	v_mul_f32_e32 v96, v96, v97
	s_cbranch_execz .LBB45_130
	s_branch .LBB45_131
.LBB45_129:
                                        ; implicit-def: $vgpr96
.LBB45_130:
	ds_load_b32 v96, v1
.LBB45_131:
	s_and_saveexec_b32 s14, s0
	s_cbranch_execz .LBB45_135
; %bb.132:
	v_subrev_nc_u32_e32 v97, 32, v0
	s_movk_i32 s15, 0x140
	s_mov_b32 s0, 0
.LBB45_133:                             ; =>This Inner Loop Header: Depth=1
	scratch_load_b32 v98, off, s12
	v_dual_mov_b32 v99, s15 :: v_dual_add_nc_u32 v97, -1, v97
	s_add_co_i32 s15, s15, 4
	s_wait_xcnt 0x0
	s_add_co_i32 s12, s12, 4
	ds_load_b32 v99, v99
	v_cmp_eq_u32_e32 vcc_lo, 0, v97
	s_or_b32 s0, vcc_lo, s0
	s_wait_loadcnt_dscnt 0x0
	v_fmac_f32_e32 v96, v98, v99
	s_and_not1_b32 exec_lo, exec_lo, s0
	s_cbranch_execnz .LBB45_133
; %bb.134:
	s_or_b32 exec_lo, exec_lo, s0
.LBB45_135:
	s_delay_alu instid0(SALU_CYCLE_1)
	s_or_b32 exec_lo, exec_lo, s14
	v_mov_b32_e32 v97, 0
	ds_load_b32 v97, v97 offset:124
	s_wait_dscnt 0x0
	v_mul_f32_e32 v96, v96, v97
	scratch_store_b32 off, v96, off offset:124
.LBB45_136:
	s_wait_xcnt 0x0
	s_or_b32 exec_lo, exec_lo, s13
	scratch_load_b32 v96, off, off offset:120
	v_cmp_lt_u32_e64 s0, 30, v0
	s_wait_loadcnt 0x0
	ds_store_b32 v1, v96
	s_wait_storecnt_dscnt 0x0
	s_barrier_signal -1
	s_barrier_wait -1
	s_wait_xcnt 0x0
	s_and_saveexec_b32 s12, s0
	s_cbranch_execz .LBB45_146
; %bb.137:
	s_and_not1_b32 vcc_lo, exec_lo, s3
	s_cbranch_vccnz .LBB45_139
; %bb.138:
	scratch_load_b32 v96, v7, off
	ds_load_b32 v97, v1
	s_wait_loadcnt_dscnt 0x0
	v_mul_f32_e32 v96, v96, v97
	s_cbranch_execz .LBB45_140
	s_branch .LBB45_141
.LBB45_139:
                                        ; implicit-def: $vgpr96
.LBB45_140:
	ds_load_b32 v96, v1
.LBB45_141:
	s_and_saveexec_b32 s13, s1
	s_cbranch_execz .LBB45_145
; %bb.142:
	v_subrev_nc_u32_e32 v97, 31, v0
	s_movk_i32 s1, 0x7c
	s_movk_i32 s15, 0x13c
	s_mov_b32 s14, 0
.LBB45_143:                             ; =>This Inner Loop Header: Depth=1
	scratch_load_b32 v98, off, s1
	v_dual_mov_b32 v99, s15 :: v_dual_add_nc_u32 v97, -1, v97
	s_add_co_i32 s15, s15, 4
	s_wait_xcnt 0x0
	s_add_co_i32 s1, s1, 4
	ds_load_b32 v99, v99
	v_cmp_eq_u32_e32 vcc_lo, 0, v97
	s_or_b32 s14, vcc_lo, s14
	s_wait_loadcnt_dscnt 0x0
	v_fmac_f32_e32 v96, v98, v99
	s_and_not1_b32 exec_lo, exec_lo, s14
	s_cbranch_execnz .LBB45_143
; %bb.144:
	s_or_b32 exec_lo, exec_lo, s14
.LBB45_145:
	s_delay_alu instid0(SALU_CYCLE_1)
	s_or_b32 exec_lo, exec_lo, s13
	v_mov_b32_e32 v97, 0
	ds_load_b32 v97, v97 offset:120
	s_wait_dscnt 0x0
	v_mul_f32_e32 v96, v96, v97
	scratch_store_b32 off, v96, off offset:120
.LBB45_146:
	s_wait_xcnt 0x0
	s_or_b32 exec_lo, exec_lo, s12
	scratch_load_b32 v96, off, off offset:116
	v_cmp_lt_u32_e64 s1, 29, v0
	s_wait_loadcnt 0x0
	ds_store_b32 v1, v96
	s_wait_storecnt_dscnt 0x0
	s_barrier_signal -1
	s_barrier_wait -1
	s_wait_xcnt 0x0
	s_and_saveexec_b32 s12, s1
	s_cbranch_execz .LBB45_156
; %bb.147:
	s_and_not1_b32 vcc_lo, exec_lo, s3
	s_cbranch_vccnz .LBB45_149
; %bb.148:
	scratch_load_b32 v96, v7, off
	ds_load_b32 v97, v1
	s_wait_loadcnt_dscnt 0x0
	v_mul_f32_e32 v96, v96, v97
	s_cbranch_execz .LBB45_150
	s_branch .LBB45_151
.LBB45_149:
                                        ; implicit-def: $vgpr96
.LBB45_150:
	ds_load_b32 v96, v1
.LBB45_151:
	s_and_saveexec_b32 s13, s0
	s_cbranch_execz .LBB45_155
; %bb.152:
	v_subrev_nc_u32_e32 v97, 30, v0
	s_movk_i32 s0, 0x78
	s_movk_i32 s15, 0x138
	s_mov_b32 s14, 0
.LBB45_153:                             ; =>This Inner Loop Header: Depth=1
	scratch_load_b32 v98, off, s0
	v_dual_mov_b32 v99, s15 :: v_dual_add_nc_u32 v97, -1, v97
	s_add_co_i32 s15, s15, 4
	s_wait_xcnt 0x0
	s_add_co_i32 s0, s0, 4
	ds_load_b32 v99, v99
	v_cmp_eq_u32_e32 vcc_lo, 0, v97
	s_or_b32 s14, vcc_lo, s14
	s_wait_loadcnt_dscnt 0x0
	v_fmac_f32_e32 v96, v98, v99
	s_and_not1_b32 exec_lo, exec_lo, s14
	s_cbranch_execnz .LBB45_153
; %bb.154:
	s_or_b32 exec_lo, exec_lo, s14
.LBB45_155:
	s_delay_alu instid0(SALU_CYCLE_1)
	s_or_b32 exec_lo, exec_lo, s13
	v_mov_b32_e32 v97, 0
	ds_load_b32 v97, v97 offset:116
	s_wait_dscnt 0x0
	v_mul_f32_e32 v96, v96, v97
	scratch_store_b32 off, v96, off offset:116
.LBB45_156:
	;; [unrolled: 58-line block ×3, first 2 shown]
	s_wait_xcnt 0x0
	s_or_b32 exec_lo, exec_lo, s12
	scratch_load_b32 v96, off, off offset:108
	v_cmp_lt_u32_e64 s1, 27, v0
	s_wait_loadcnt 0x0
	ds_store_b32 v1, v96
	s_wait_storecnt_dscnt 0x0
	s_barrier_signal -1
	s_barrier_wait -1
	s_wait_xcnt 0x0
	s_and_saveexec_b32 s12, s1
	s_cbranch_execz .LBB45_176
; %bb.167:
	s_and_not1_b32 vcc_lo, exec_lo, s3
	s_cbranch_vccnz .LBB45_169
; %bb.168:
	scratch_load_b32 v96, v7, off
	ds_load_b32 v97, v1
	s_wait_loadcnt_dscnt 0x0
	v_mul_f32_e32 v96, v96, v97
	s_cbranch_execz .LBB45_170
	s_branch .LBB45_171
.LBB45_169:
                                        ; implicit-def: $vgpr96
.LBB45_170:
	ds_load_b32 v96, v1
.LBB45_171:
	s_and_saveexec_b32 s13, s0
	s_cbranch_execz .LBB45_175
; %bb.172:
	v_subrev_nc_u32_e32 v97, 28, v0
	s_movk_i32 s14, 0x130
	s_mov_b32 s0, 0
.LBB45_173:                             ; =>This Inner Loop Header: Depth=1
	scratch_load_b32 v98, off, s11
	v_dual_mov_b32 v99, s14 :: v_dual_add_nc_u32 v97, -1, v97
	s_add_co_i32 s14, s14, 4
	s_wait_xcnt 0x0
	s_add_co_i32 s11, s11, 4
	ds_load_b32 v99, v99
	v_cmp_eq_u32_e32 vcc_lo, 0, v97
	s_or_b32 s0, vcc_lo, s0
	s_wait_loadcnt_dscnt 0x0
	v_fmac_f32_e32 v96, v98, v99
	s_and_not1_b32 exec_lo, exec_lo, s0
	s_cbranch_execnz .LBB45_173
; %bb.174:
	s_or_b32 exec_lo, exec_lo, s0
.LBB45_175:
	s_delay_alu instid0(SALU_CYCLE_1)
	s_or_b32 exec_lo, exec_lo, s13
	v_mov_b32_e32 v97, 0
	ds_load_b32 v97, v97 offset:108
	s_wait_dscnt 0x0
	v_mul_f32_e32 v96, v96, v97
	scratch_store_b32 off, v96, off offset:108
.LBB45_176:
	s_wait_xcnt 0x0
	s_or_b32 exec_lo, exec_lo, s12
	scratch_load_b32 v96, off, off offset:104
	v_cmp_lt_u32_e64 s0, 26, v0
	s_wait_loadcnt 0x0
	ds_store_b32 v1, v96
	s_wait_storecnt_dscnt 0x0
	s_barrier_signal -1
	s_barrier_wait -1
	s_wait_xcnt 0x0
	s_and_saveexec_b32 s11, s0
	s_cbranch_execz .LBB45_186
; %bb.177:
	s_and_not1_b32 vcc_lo, exec_lo, s3
	s_cbranch_vccnz .LBB45_179
; %bb.178:
	scratch_load_b32 v96, v7, off
	ds_load_b32 v97, v1
	s_wait_loadcnt_dscnt 0x0
	v_mul_f32_e32 v96, v96, v97
	s_cbranch_execz .LBB45_180
	s_branch .LBB45_181
.LBB45_179:
                                        ; implicit-def: $vgpr96
.LBB45_180:
	ds_load_b32 v96, v1
.LBB45_181:
	s_and_saveexec_b32 s12, s1
	s_cbranch_execz .LBB45_185
; %bb.182:
	v_subrev_nc_u32_e32 v97, 27, v0
	s_movk_i32 s1, 0x6c
	s_movk_i32 s14, 0x12c
	s_mov_b32 s13, 0
.LBB45_183:                             ; =>This Inner Loop Header: Depth=1
	scratch_load_b32 v98, off, s1
	v_dual_mov_b32 v99, s14 :: v_dual_add_nc_u32 v97, -1, v97
	s_add_co_i32 s14, s14, 4
	s_wait_xcnt 0x0
	s_add_co_i32 s1, s1, 4
	ds_load_b32 v99, v99
	v_cmp_eq_u32_e32 vcc_lo, 0, v97
	s_or_b32 s13, vcc_lo, s13
	s_wait_loadcnt_dscnt 0x0
	v_fmac_f32_e32 v96, v98, v99
	s_and_not1_b32 exec_lo, exec_lo, s13
	s_cbranch_execnz .LBB45_183
; %bb.184:
	s_or_b32 exec_lo, exec_lo, s13
.LBB45_185:
	s_delay_alu instid0(SALU_CYCLE_1)
	s_or_b32 exec_lo, exec_lo, s12
	v_mov_b32_e32 v97, 0
	ds_load_b32 v97, v97 offset:104
	s_wait_dscnt 0x0
	v_mul_f32_e32 v96, v96, v97
	scratch_store_b32 off, v96, off offset:104
.LBB45_186:
	s_wait_xcnt 0x0
	s_or_b32 exec_lo, exec_lo, s11
	scratch_load_b32 v96, off, off offset:100
	v_cmp_lt_u32_e64 s1, 25, v0
	s_wait_loadcnt 0x0
	ds_store_b32 v1, v96
	s_wait_storecnt_dscnt 0x0
	s_barrier_signal -1
	s_barrier_wait -1
	s_wait_xcnt 0x0
	s_and_saveexec_b32 s11, s1
	s_cbranch_execz .LBB45_196
; %bb.187:
	s_and_not1_b32 vcc_lo, exec_lo, s3
	s_cbranch_vccnz .LBB45_189
; %bb.188:
	scratch_load_b32 v96, v7, off
	ds_load_b32 v97, v1
	s_wait_loadcnt_dscnt 0x0
	v_mul_f32_e32 v96, v96, v97
	s_cbranch_execz .LBB45_190
	s_branch .LBB45_191
.LBB45_189:
                                        ; implicit-def: $vgpr96
.LBB45_190:
	ds_load_b32 v96, v1
.LBB45_191:
	s_and_saveexec_b32 s12, s0
	s_cbranch_execz .LBB45_195
; %bb.192:
	v_subrev_nc_u32_e32 v97, 26, v0
	s_movk_i32 s0, 0x68
	s_movk_i32 s14, 0x128
	s_mov_b32 s13, 0
.LBB45_193:                             ; =>This Inner Loop Header: Depth=1
	scratch_load_b32 v98, off, s0
	v_dual_mov_b32 v99, s14 :: v_dual_add_nc_u32 v97, -1, v97
	s_add_co_i32 s14, s14, 4
	s_wait_xcnt 0x0
	s_add_co_i32 s0, s0, 4
	ds_load_b32 v99, v99
	v_cmp_eq_u32_e32 vcc_lo, 0, v97
	s_or_b32 s13, vcc_lo, s13
	s_wait_loadcnt_dscnt 0x0
	v_fmac_f32_e32 v96, v98, v99
	s_and_not1_b32 exec_lo, exec_lo, s13
	s_cbranch_execnz .LBB45_193
; %bb.194:
	s_or_b32 exec_lo, exec_lo, s13
.LBB45_195:
	s_delay_alu instid0(SALU_CYCLE_1)
	s_or_b32 exec_lo, exec_lo, s12
	v_mov_b32_e32 v97, 0
	ds_load_b32 v97, v97 offset:100
	s_wait_dscnt 0x0
	v_mul_f32_e32 v96, v96, v97
	scratch_store_b32 off, v96, off offset:100
.LBB45_196:
	;; [unrolled: 58-line block ×3, first 2 shown]
	s_wait_xcnt 0x0
	s_or_b32 exec_lo, exec_lo, s11
	scratch_load_b32 v96, off, off offset:92
	v_cmp_lt_u32_e64 s1, 23, v0
	s_wait_loadcnt 0x0
	ds_store_b32 v1, v96
	s_wait_storecnt_dscnt 0x0
	s_barrier_signal -1
	s_barrier_wait -1
	s_wait_xcnt 0x0
	s_and_saveexec_b32 s11, s1
	s_cbranch_execz .LBB45_216
; %bb.207:
	s_and_not1_b32 vcc_lo, exec_lo, s3
	s_cbranch_vccnz .LBB45_209
; %bb.208:
	scratch_load_b32 v96, v7, off
	ds_load_b32 v97, v1
	s_wait_loadcnt_dscnt 0x0
	v_mul_f32_e32 v96, v96, v97
	s_cbranch_execz .LBB45_210
	s_branch .LBB45_211
.LBB45_209:
                                        ; implicit-def: $vgpr96
.LBB45_210:
	ds_load_b32 v96, v1
.LBB45_211:
	s_and_saveexec_b32 s12, s0
	s_cbranch_execz .LBB45_215
; %bb.212:
	v_subrev_nc_u32_e32 v97, 24, v0
	s_movk_i32 s13, 0x120
	s_mov_b32 s0, 0
.LBB45_213:                             ; =>This Inner Loop Header: Depth=1
	scratch_load_b32 v98, off, s10
	v_dual_mov_b32 v99, s13 :: v_dual_add_nc_u32 v97, -1, v97
	s_add_co_i32 s13, s13, 4
	s_wait_xcnt 0x0
	s_add_co_i32 s10, s10, 4
	ds_load_b32 v99, v99
	v_cmp_eq_u32_e32 vcc_lo, 0, v97
	s_or_b32 s0, vcc_lo, s0
	s_wait_loadcnt_dscnt 0x0
	v_fmac_f32_e32 v96, v98, v99
	s_and_not1_b32 exec_lo, exec_lo, s0
	s_cbranch_execnz .LBB45_213
; %bb.214:
	s_or_b32 exec_lo, exec_lo, s0
.LBB45_215:
	s_delay_alu instid0(SALU_CYCLE_1)
	s_or_b32 exec_lo, exec_lo, s12
	v_mov_b32_e32 v97, 0
	ds_load_b32 v97, v97 offset:92
	s_wait_dscnt 0x0
	v_mul_f32_e32 v96, v96, v97
	scratch_store_b32 off, v96, off offset:92
.LBB45_216:
	s_wait_xcnt 0x0
	s_or_b32 exec_lo, exec_lo, s11
	scratch_load_b32 v96, off, off offset:88
	v_cmp_lt_u32_e64 s0, 22, v0
	s_wait_loadcnt 0x0
	ds_store_b32 v1, v96
	s_wait_storecnt_dscnt 0x0
	s_barrier_signal -1
	s_barrier_wait -1
	s_wait_xcnt 0x0
	s_and_saveexec_b32 s10, s0
	s_cbranch_execz .LBB45_226
; %bb.217:
	s_and_not1_b32 vcc_lo, exec_lo, s3
	s_cbranch_vccnz .LBB45_219
; %bb.218:
	scratch_load_b32 v96, v7, off
	ds_load_b32 v97, v1
	s_wait_loadcnt_dscnt 0x0
	v_mul_f32_e32 v96, v96, v97
	s_cbranch_execz .LBB45_220
	s_branch .LBB45_221
.LBB45_219:
                                        ; implicit-def: $vgpr96
.LBB45_220:
	ds_load_b32 v96, v1
.LBB45_221:
	s_and_saveexec_b32 s11, s1
	s_cbranch_execz .LBB45_225
; %bb.222:
	v_subrev_nc_u32_e32 v97, 23, v0
	s_movk_i32 s1, 0x5c
	s_movk_i32 s13, 0x11c
	s_mov_b32 s12, 0
.LBB45_223:                             ; =>This Inner Loop Header: Depth=1
	scratch_load_b32 v98, off, s1
	v_dual_mov_b32 v99, s13 :: v_dual_add_nc_u32 v97, -1, v97
	s_add_co_i32 s13, s13, 4
	s_wait_xcnt 0x0
	s_add_co_i32 s1, s1, 4
	ds_load_b32 v99, v99
	v_cmp_eq_u32_e32 vcc_lo, 0, v97
	s_or_b32 s12, vcc_lo, s12
	s_wait_loadcnt_dscnt 0x0
	v_fmac_f32_e32 v96, v98, v99
	s_and_not1_b32 exec_lo, exec_lo, s12
	s_cbranch_execnz .LBB45_223
; %bb.224:
	s_or_b32 exec_lo, exec_lo, s12
.LBB45_225:
	s_delay_alu instid0(SALU_CYCLE_1)
	s_or_b32 exec_lo, exec_lo, s11
	v_mov_b32_e32 v97, 0
	ds_load_b32 v97, v97 offset:88
	s_wait_dscnt 0x0
	v_mul_f32_e32 v96, v96, v97
	scratch_store_b32 off, v96, off offset:88
.LBB45_226:
	s_wait_xcnt 0x0
	s_or_b32 exec_lo, exec_lo, s10
	scratch_load_b32 v96, off, off offset:84
	v_cmp_lt_u32_e64 s1, 21, v0
	s_wait_loadcnt 0x0
	ds_store_b32 v1, v96
	s_wait_storecnt_dscnt 0x0
	s_barrier_signal -1
	s_barrier_wait -1
	s_wait_xcnt 0x0
	s_and_saveexec_b32 s10, s1
	s_cbranch_execz .LBB45_236
; %bb.227:
	s_and_not1_b32 vcc_lo, exec_lo, s3
	s_cbranch_vccnz .LBB45_229
; %bb.228:
	scratch_load_b32 v96, v7, off
	ds_load_b32 v97, v1
	s_wait_loadcnt_dscnt 0x0
	v_mul_f32_e32 v96, v96, v97
	s_cbranch_execz .LBB45_230
	s_branch .LBB45_231
.LBB45_229:
                                        ; implicit-def: $vgpr96
.LBB45_230:
	ds_load_b32 v96, v1
.LBB45_231:
	s_and_saveexec_b32 s11, s0
	s_cbranch_execz .LBB45_235
; %bb.232:
	v_subrev_nc_u32_e32 v97, 22, v0
	s_movk_i32 s0, 0x58
	s_movk_i32 s13, 0x118
	s_mov_b32 s12, 0
.LBB45_233:                             ; =>This Inner Loop Header: Depth=1
	scratch_load_b32 v98, off, s0
	v_dual_mov_b32 v99, s13 :: v_dual_add_nc_u32 v97, -1, v97
	s_add_co_i32 s13, s13, 4
	s_wait_xcnt 0x0
	s_add_co_i32 s0, s0, 4
	ds_load_b32 v99, v99
	v_cmp_eq_u32_e32 vcc_lo, 0, v97
	s_or_b32 s12, vcc_lo, s12
	s_wait_loadcnt_dscnt 0x0
	v_fmac_f32_e32 v96, v98, v99
	s_and_not1_b32 exec_lo, exec_lo, s12
	s_cbranch_execnz .LBB45_233
; %bb.234:
	s_or_b32 exec_lo, exec_lo, s12
.LBB45_235:
	s_delay_alu instid0(SALU_CYCLE_1)
	s_or_b32 exec_lo, exec_lo, s11
	v_mov_b32_e32 v97, 0
	ds_load_b32 v97, v97 offset:84
	s_wait_dscnt 0x0
	v_mul_f32_e32 v96, v96, v97
	scratch_store_b32 off, v96, off offset:84
.LBB45_236:
	;; [unrolled: 58-line block ×3, first 2 shown]
	s_wait_xcnt 0x0
	s_or_b32 exec_lo, exec_lo, s10
	scratch_load_b32 v96, off, off offset:76
	v_cmp_lt_u32_e64 s1, 19, v0
	s_wait_loadcnt 0x0
	ds_store_b32 v1, v96
	s_wait_storecnt_dscnt 0x0
	s_barrier_signal -1
	s_barrier_wait -1
	s_wait_xcnt 0x0
	s_and_saveexec_b32 s10, s1
	s_cbranch_execz .LBB45_256
; %bb.247:
	s_and_not1_b32 vcc_lo, exec_lo, s3
	s_cbranch_vccnz .LBB45_249
; %bb.248:
	scratch_load_b32 v96, v7, off
	ds_load_b32 v97, v1
	s_wait_loadcnt_dscnt 0x0
	v_mul_f32_e32 v96, v96, v97
	s_cbranch_execz .LBB45_250
	s_branch .LBB45_251
.LBB45_249:
                                        ; implicit-def: $vgpr96
.LBB45_250:
	ds_load_b32 v96, v1
.LBB45_251:
	s_and_saveexec_b32 s11, s0
	s_cbranch_execz .LBB45_255
; %bb.252:
	v_subrev_nc_u32_e32 v97, 20, v0
	s_movk_i32 s12, 0x110
	s_mov_b32 s0, 0
.LBB45_253:                             ; =>This Inner Loop Header: Depth=1
	scratch_load_b32 v98, off, s9
	v_dual_mov_b32 v99, s12 :: v_dual_add_nc_u32 v97, -1, v97
	s_add_co_i32 s12, s12, 4
	s_wait_xcnt 0x0
	s_add_co_i32 s9, s9, 4
	ds_load_b32 v99, v99
	v_cmp_eq_u32_e32 vcc_lo, 0, v97
	s_or_b32 s0, vcc_lo, s0
	s_wait_loadcnt_dscnt 0x0
	v_fmac_f32_e32 v96, v98, v99
	s_and_not1_b32 exec_lo, exec_lo, s0
	s_cbranch_execnz .LBB45_253
; %bb.254:
	s_or_b32 exec_lo, exec_lo, s0
.LBB45_255:
	s_delay_alu instid0(SALU_CYCLE_1)
	s_or_b32 exec_lo, exec_lo, s11
	v_mov_b32_e32 v97, 0
	ds_load_b32 v97, v97 offset:76
	s_wait_dscnt 0x0
	v_mul_f32_e32 v96, v96, v97
	scratch_store_b32 off, v96, off offset:76
.LBB45_256:
	s_wait_xcnt 0x0
	s_or_b32 exec_lo, exec_lo, s10
	scratch_load_b32 v96, off, off offset:72
	v_cmp_lt_u32_e64 s0, 18, v0
	s_wait_loadcnt 0x0
	ds_store_b32 v1, v96
	s_wait_storecnt_dscnt 0x0
	s_barrier_signal -1
	s_barrier_wait -1
	s_wait_xcnt 0x0
	s_and_saveexec_b32 s9, s0
	s_cbranch_execz .LBB45_266
; %bb.257:
	s_and_not1_b32 vcc_lo, exec_lo, s3
	s_cbranch_vccnz .LBB45_259
; %bb.258:
	scratch_load_b32 v96, v7, off
	ds_load_b32 v97, v1
	s_wait_loadcnt_dscnt 0x0
	v_mul_f32_e32 v96, v96, v97
	s_cbranch_execz .LBB45_260
	s_branch .LBB45_261
.LBB45_259:
                                        ; implicit-def: $vgpr96
.LBB45_260:
	ds_load_b32 v96, v1
.LBB45_261:
	s_and_saveexec_b32 s10, s1
	s_cbranch_execz .LBB45_265
; %bb.262:
	v_subrev_nc_u32_e32 v97, 19, v0
	s_movk_i32 s1, 0x4c
	s_movk_i32 s12, 0x10c
	s_mov_b32 s11, 0
.LBB45_263:                             ; =>This Inner Loop Header: Depth=1
	scratch_load_b32 v98, off, s1
	v_dual_mov_b32 v99, s12 :: v_dual_add_nc_u32 v97, -1, v97
	s_add_co_i32 s12, s12, 4
	s_wait_xcnt 0x0
	s_add_co_i32 s1, s1, 4
	ds_load_b32 v99, v99
	v_cmp_eq_u32_e32 vcc_lo, 0, v97
	s_or_b32 s11, vcc_lo, s11
	s_wait_loadcnt_dscnt 0x0
	v_fmac_f32_e32 v96, v98, v99
	s_and_not1_b32 exec_lo, exec_lo, s11
	s_cbranch_execnz .LBB45_263
; %bb.264:
	s_or_b32 exec_lo, exec_lo, s11
.LBB45_265:
	s_delay_alu instid0(SALU_CYCLE_1)
	s_or_b32 exec_lo, exec_lo, s10
	v_mov_b32_e32 v97, 0
	ds_load_b32 v97, v97 offset:72
	s_wait_dscnt 0x0
	v_mul_f32_e32 v96, v96, v97
	scratch_store_b32 off, v96, off offset:72
.LBB45_266:
	s_wait_xcnt 0x0
	s_or_b32 exec_lo, exec_lo, s9
	scratch_load_b32 v96, off, off offset:68
	v_cmp_lt_u32_e64 s1, 17, v0
	s_wait_loadcnt 0x0
	ds_store_b32 v1, v96
	s_wait_storecnt_dscnt 0x0
	s_barrier_signal -1
	s_barrier_wait -1
	s_wait_xcnt 0x0
	s_and_saveexec_b32 s9, s1
	s_cbranch_execz .LBB45_276
; %bb.267:
	s_and_not1_b32 vcc_lo, exec_lo, s3
	s_cbranch_vccnz .LBB45_269
; %bb.268:
	scratch_load_b32 v96, v7, off
	ds_load_b32 v97, v1
	s_wait_loadcnt_dscnt 0x0
	v_mul_f32_e32 v96, v96, v97
	s_cbranch_execz .LBB45_270
	s_branch .LBB45_271
.LBB45_269:
                                        ; implicit-def: $vgpr96
.LBB45_270:
	ds_load_b32 v96, v1
.LBB45_271:
	s_and_saveexec_b32 s10, s0
	s_cbranch_execz .LBB45_275
; %bb.272:
	v_subrev_nc_u32_e32 v97, 18, v0
	s_movk_i32 s0, 0x48
	s_movk_i32 s12, 0x108
	s_mov_b32 s11, 0
.LBB45_273:                             ; =>This Inner Loop Header: Depth=1
	scratch_load_b32 v98, off, s0
	v_dual_mov_b32 v99, s12 :: v_dual_add_nc_u32 v97, -1, v97
	s_add_co_i32 s12, s12, 4
	s_wait_xcnt 0x0
	s_add_co_i32 s0, s0, 4
	ds_load_b32 v99, v99
	v_cmp_eq_u32_e32 vcc_lo, 0, v97
	s_or_b32 s11, vcc_lo, s11
	s_wait_loadcnt_dscnt 0x0
	v_fmac_f32_e32 v96, v98, v99
	s_and_not1_b32 exec_lo, exec_lo, s11
	s_cbranch_execnz .LBB45_273
; %bb.274:
	s_or_b32 exec_lo, exec_lo, s11
.LBB45_275:
	s_delay_alu instid0(SALU_CYCLE_1)
	s_or_b32 exec_lo, exec_lo, s10
	v_mov_b32_e32 v97, 0
	ds_load_b32 v97, v97 offset:68
	s_wait_dscnt 0x0
	v_mul_f32_e32 v96, v96, v97
	scratch_store_b32 off, v96, off offset:68
.LBB45_276:
	;; [unrolled: 58-line block ×3, first 2 shown]
	s_wait_xcnt 0x0
	s_or_b32 exec_lo, exec_lo, s9
	scratch_load_b32 v96, off, off offset:60
	v_cmp_lt_u32_e64 s1, 15, v0
	s_wait_loadcnt 0x0
	ds_store_b32 v1, v96
	s_wait_storecnt_dscnt 0x0
	s_barrier_signal -1
	s_barrier_wait -1
	s_wait_xcnt 0x0
	s_and_saveexec_b32 s9, s1
	s_cbranch_execz .LBB45_296
; %bb.287:
	s_and_not1_b32 vcc_lo, exec_lo, s3
	s_cbranch_vccnz .LBB45_289
; %bb.288:
	scratch_load_b32 v96, v7, off
	ds_load_b32 v97, v1
	s_wait_loadcnt_dscnt 0x0
	v_mul_f32_e32 v96, v96, v97
	s_cbranch_execz .LBB45_290
	s_branch .LBB45_291
.LBB45_289:
                                        ; implicit-def: $vgpr96
.LBB45_290:
	ds_load_b32 v96, v1
.LBB45_291:
	s_and_saveexec_b32 s10, s0
	s_cbranch_execz .LBB45_295
; %bb.292:
	v_add_nc_u32_e32 v97, -16, v0
	s_movk_i32 s11, 0x100
	s_mov_b32 s0, 0
.LBB45_293:                             ; =>This Inner Loop Header: Depth=1
	scratch_load_b32 v98, off, s8
	v_dual_mov_b32 v99, s11 :: v_dual_add_nc_u32 v97, -1, v97
	s_add_co_i32 s11, s11, 4
	s_wait_xcnt 0x0
	s_add_co_i32 s8, s8, 4
	ds_load_b32 v99, v99
	v_cmp_eq_u32_e32 vcc_lo, 0, v97
	s_or_b32 s0, vcc_lo, s0
	s_wait_loadcnt_dscnt 0x0
	v_fmac_f32_e32 v96, v98, v99
	s_and_not1_b32 exec_lo, exec_lo, s0
	s_cbranch_execnz .LBB45_293
; %bb.294:
	s_or_b32 exec_lo, exec_lo, s0
.LBB45_295:
	s_delay_alu instid0(SALU_CYCLE_1)
	s_or_b32 exec_lo, exec_lo, s10
	v_mov_b32_e32 v97, 0
	ds_load_b32 v97, v97 offset:60
	s_wait_dscnt 0x0
	v_mul_f32_e32 v96, v96, v97
	scratch_store_b32 off, v96, off offset:60
.LBB45_296:
	s_wait_xcnt 0x0
	s_or_b32 exec_lo, exec_lo, s9
	scratch_load_b32 v96, off, off offset:56
	v_cmp_lt_u32_e64 s0, 14, v0
	s_wait_loadcnt 0x0
	ds_store_b32 v1, v96
	s_wait_storecnt_dscnt 0x0
	s_barrier_signal -1
	s_barrier_wait -1
	s_wait_xcnt 0x0
	s_and_saveexec_b32 s8, s0
	s_cbranch_execz .LBB45_306
; %bb.297:
	s_and_not1_b32 vcc_lo, exec_lo, s3
	s_cbranch_vccnz .LBB45_299
; %bb.298:
	scratch_load_b32 v96, v7, off
	ds_load_b32 v97, v1
	s_wait_loadcnt_dscnt 0x0
	v_mul_f32_e32 v96, v96, v97
	s_cbranch_execz .LBB45_300
	s_branch .LBB45_301
.LBB45_299:
                                        ; implicit-def: $vgpr96
.LBB45_300:
	ds_load_b32 v96, v1
.LBB45_301:
	s_and_saveexec_b32 s9, s1
	s_cbranch_execz .LBB45_305
; %bb.302:
	v_add_nc_u32_e32 v97, -15, v0
	s_mov_b32 s1, 60
	s_movk_i32 s11, 0xfc
	s_mov_b32 s10, 0
.LBB45_303:                             ; =>This Inner Loop Header: Depth=1
	scratch_load_b32 v98, off, s1
	v_dual_mov_b32 v99, s11 :: v_dual_add_nc_u32 v97, -1, v97
	s_add_co_i32 s11, s11, 4
	s_wait_xcnt 0x0
	s_add_co_i32 s1, s1, 4
	ds_load_b32 v99, v99
	v_cmp_eq_u32_e32 vcc_lo, 0, v97
	s_or_b32 s10, vcc_lo, s10
	s_wait_loadcnt_dscnt 0x0
	v_fmac_f32_e32 v96, v98, v99
	s_and_not1_b32 exec_lo, exec_lo, s10
	s_cbranch_execnz .LBB45_303
; %bb.304:
	s_or_b32 exec_lo, exec_lo, s10
.LBB45_305:
	s_delay_alu instid0(SALU_CYCLE_1)
	s_or_b32 exec_lo, exec_lo, s9
	v_mov_b32_e32 v97, 0
	ds_load_b32 v97, v97 offset:56
	s_wait_dscnt 0x0
	v_mul_f32_e32 v96, v96, v97
	scratch_store_b32 off, v96, off offset:56
.LBB45_306:
	s_wait_xcnt 0x0
	s_or_b32 exec_lo, exec_lo, s8
	scratch_load_b32 v96, off, off offset:52
	v_cmp_lt_u32_e64 s1, 13, v0
	s_wait_loadcnt 0x0
	ds_store_b32 v1, v96
	s_wait_storecnt_dscnt 0x0
	s_barrier_signal -1
	s_barrier_wait -1
	s_wait_xcnt 0x0
	s_and_saveexec_b32 s8, s1
	s_cbranch_execz .LBB45_316
; %bb.307:
	s_and_not1_b32 vcc_lo, exec_lo, s3
	s_cbranch_vccnz .LBB45_309
; %bb.308:
	scratch_load_b32 v96, v7, off
	ds_load_b32 v97, v1
	s_wait_loadcnt_dscnt 0x0
	v_mul_f32_e32 v96, v96, v97
	s_cbranch_execz .LBB45_310
	s_branch .LBB45_311
.LBB45_309:
                                        ; implicit-def: $vgpr96
.LBB45_310:
	ds_load_b32 v96, v1
.LBB45_311:
	s_and_saveexec_b32 s9, s0
	s_cbranch_execz .LBB45_315
; %bb.312:
	v_add_nc_u32_e32 v97, -14, v0
	s_mov_b32 s0, 56
	s_movk_i32 s11, 0xf8
	s_mov_b32 s10, 0
.LBB45_313:                             ; =>This Inner Loop Header: Depth=1
	scratch_load_b32 v98, off, s0
	v_dual_mov_b32 v99, s11 :: v_dual_add_nc_u32 v97, -1, v97
	s_add_co_i32 s11, s11, 4
	s_wait_xcnt 0x0
	s_add_co_i32 s0, s0, 4
	ds_load_b32 v99, v99
	v_cmp_eq_u32_e32 vcc_lo, 0, v97
	s_or_b32 s10, vcc_lo, s10
	s_wait_loadcnt_dscnt 0x0
	v_fmac_f32_e32 v96, v98, v99
	s_and_not1_b32 exec_lo, exec_lo, s10
	s_cbranch_execnz .LBB45_313
; %bb.314:
	s_or_b32 exec_lo, exec_lo, s10
.LBB45_315:
	s_delay_alu instid0(SALU_CYCLE_1)
	s_or_b32 exec_lo, exec_lo, s9
	v_mov_b32_e32 v97, 0
	ds_load_b32 v97, v97 offset:52
	s_wait_dscnt 0x0
	v_mul_f32_e32 v96, v96, v97
	scratch_store_b32 off, v96, off offset:52
.LBB45_316:
	;; [unrolled: 58-line block ×3, first 2 shown]
	s_wait_xcnt 0x0
	s_or_b32 exec_lo, exec_lo, s8
	scratch_load_b32 v96, off, off offset:44
	v_cmp_lt_u32_e64 s1, 11, v0
	s_wait_loadcnt 0x0
	ds_store_b32 v1, v96
	s_wait_storecnt_dscnt 0x0
	s_barrier_signal -1
	s_barrier_wait -1
	s_wait_xcnt 0x0
	s_and_saveexec_b32 s8, s1
	s_cbranch_execz .LBB45_336
; %bb.327:
	s_and_not1_b32 vcc_lo, exec_lo, s3
	s_cbranch_vccnz .LBB45_329
; %bb.328:
	scratch_load_b32 v96, v7, off
	ds_load_b32 v97, v1
	s_wait_loadcnt_dscnt 0x0
	v_mul_f32_e32 v96, v96, v97
	s_cbranch_execz .LBB45_330
	s_branch .LBB45_331
.LBB45_329:
                                        ; implicit-def: $vgpr96
.LBB45_330:
	ds_load_b32 v96, v1
.LBB45_331:
	s_and_saveexec_b32 s9, s0
	s_cbranch_execz .LBB45_335
; %bb.332:
	v_add_nc_u32_e32 v97, -12, v0
	s_movk_i32 s10, 0xf0
	s_mov_b32 s0, 0
.LBB45_333:                             ; =>This Inner Loop Header: Depth=1
	scratch_load_b32 v98, off, s5
	v_dual_mov_b32 v99, s10 :: v_dual_add_nc_u32 v97, -1, v97
	s_add_co_i32 s10, s10, 4
	s_wait_xcnt 0x0
	s_add_co_i32 s5, s5, 4
	ds_load_b32 v99, v99
	v_cmp_eq_u32_e32 vcc_lo, 0, v97
	s_or_b32 s0, vcc_lo, s0
	s_wait_loadcnt_dscnt 0x0
	v_fmac_f32_e32 v96, v98, v99
	s_and_not1_b32 exec_lo, exec_lo, s0
	s_cbranch_execnz .LBB45_333
; %bb.334:
	s_or_b32 exec_lo, exec_lo, s0
.LBB45_335:
	s_delay_alu instid0(SALU_CYCLE_1)
	s_or_b32 exec_lo, exec_lo, s9
	v_mov_b32_e32 v97, 0
	ds_load_b32 v97, v97 offset:44
	s_wait_dscnt 0x0
	v_mul_f32_e32 v96, v96, v97
	scratch_store_b32 off, v96, off offset:44
.LBB45_336:
	s_wait_xcnt 0x0
	s_or_b32 exec_lo, exec_lo, s8
	scratch_load_b32 v96, off, off offset:40
	v_cmp_lt_u32_e64 s0, 10, v0
	s_wait_loadcnt 0x0
	ds_store_b32 v1, v96
	s_wait_storecnt_dscnt 0x0
	s_barrier_signal -1
	s_barrier_wait -1
	s_wait_xcnt 0x0
	s_and_saveexec_b32 s5, s0
	s_cbranch_execz .LBB45_346
; %bb.337:
	s_and_not1_b32 vcc_lo, exec_lo, s3
	s_cbranch_vccnz .LBB45_339
; %bb.338:
	scratch_load_b32 v96, v7, off
	ds_load_b32 v97, v1
	s_wait_loadcnt_dscnt 0x0
	v_mul_f32_e32 v96, v96, v97
	s_cbranch_execz .LBB45_340
	s_branch .LBB45_341
.LBB45_339:
                                        ; implicit-def: $vgpr96
.LBB45_340:
	ds_load_b32 v96, v1
.LBB45_341:
	s_and_saveexec_b32 s8, s1
	s_cbranch_execz .LBB45_345
; %bb.342:
	v_add_nc_u32_e32 v97, -11, v0
	s_mov_b32 s1, 44
	s_movk_i32 s10, 0xec
	s_mov_b32 s9, 0
.LBB45_343:                             ; =>This Inner Loop Header: Depth=1
	scratch_load_b32 v98, off, s1
	v_dual_mov_b32 v99, s10 :: v_dual_add_nc_u32 v97, -1, v97
	s_add_co_i32 s10, s10, 4
	s_wait_xcnt 0x0
	s_add_co_i32 s1, s1, 4
	ds_load_b32 v99, v99
	v_cmp_eq_u32_e32 vcc_lo, 0, v97
	s_or_b32 s9, vcc_lo, s9
	s_wait_loadcnt_dscnt 0x0
	v_fmac_f32_e32 v96, v98, v99
	s_and_not1_b32 exec_lo, exec_lo, s9
	s_cbranch_execnz .LBB45_343
; %bb.344:
	s_or_b32 exec_lo, exec_lo, s9
.LBB45_345:
	s_delay_alu instid0(SALU_CYCLE_1)
	s_or_b32 exec_lo, exec_lo, s8
	v_mov_b32_e32 v97, 0
	ds_load_b32 v97, v97 offset:40
	s_wait_dscnt 0x0
	v_mul_f32_e32 v96, v96, v97
	scratch_store_b32 off, v96, off offset:40
.LBB45_346:
	s_wait_xcnt 0x0
	s_or_b32 exec_lo, exec_lo, s5
	scratch_load_b32 v96, off, off offset:36
	v_cmp_lt_u32_e64 s1, 9, v0
	s_wait_loadcnt 0x0
	ds_store_b32 v1, v96
	s_wait_storecnt_dscnt 0x0
	s_barrier_signal -1
	s_barrier_wait -1
	s_wait_xcnt 0x0
	s_and_saveexec_b32 s5, s1
	s_cbranch_execz .LBB45_356
; %bb.347:
	s_and_not1_b32 vcc_lo, exec_lo, s3
	s_cbranch_vccnz .LBB45_349
; %bb.348:
	scratch_load_b32 v96, v7, off
	ds_load_b32 v97, v1
	s_wait_loadcnt_dscnt 0x0
	v_mul_f32_e32 v96, v96, v97
	s_cbranch_execz .LBB45_350
	s_branch .LBB45_351
.LBB45_349:
                                        ; implicit-def: $vgpr96
.LBB45_350:
	ds_load_b32 v96, v1
.LBB45_351:
	s_and_saveexec_b32 s8, s0
	s_cbranch_execz .LBB45_355
; %bb.352:
	v_add_nc_u32_e32 v97, -10, v0
	s_mov_b32 s0, 40
	s_movk_i32 s10, 0xe8
	s_mov_b32 s9, 0
.LBB45_353:                             ; =>This Inner Loop Header: Depth=1
	scratch_load_b32 v98, off, s0
	v_dual_mov_b32 v99, s10 :: v_dual_add_nc_u32 v97, -1, v97
	s_add_co_i32 s10, s10, 4
	s_wait_xcnt 0x0
	s_add_co_i32 s0, s0, 4
	ds_load_b32 v99, v99
	v_cmp_eq_u32_e32 vcc_lo, 0, v97
	s_or_b32 s9, vcc_lo, s9
	s_wait_loadcnt_dscnt 0x0
	v_fmac_f32_e32 v96, v98, v99
	s_and_not1_b32 exec_lo, exec_lo, s9
	s_cbranch_execnz .LBB45_353
; %bb.354:
	s_or_b32 exec_lo, exec_lo, s9
.LBB45_355:
	s_delay_alu instid0(SALU_CYCLE_1)
	s_or_b32 exec_lo, exec_lo, s8
	v_mov_b32_e32 v97, 0
	ds_load_b32 v97, v97 offset:36
	s_wait_dscnt 0x0
	v_mul_f32_e32 v96, v96, v97
	scratch_store_b32 off, v96, off offset:36
.LBB45_356:
	;; [unrolled: 58-line block ×3, first 2 shown]
	s_wait_xcnt 0x0
	s_or_b32 exec_lo, exec_lo, s5
	scratch_load_b32 v96, off, off offset:28
	v_cmp_lt_u32_e64 s1, 7, v0
	s_wait_loadcnt 0x0
	ds_store_b32 v1, v96
	s_wait_storecnt_dscnt 0x0
	s_barrier_signal -1
	s_barrier_wait -1
	s_wait_xcnt 0x0
	s_and_saveexec_b32 s5, s1
	s_cbranch_execz .LBB45_376
; %bb.367:
	s_and_not1_b32 vcc_lo, exec_lo, s3
	s_cbranch_vccnz .LBB45_369
; %bb.368:
	scratch_load_b32 v96, v7, off
	ds_load_b32 v97, v1
	s_wait_loadcnt_dscnt 0x0
	v_mul_f32_e32 v96, v96, v97
	s_cbranch_execz .LBB45_370
	s_branch .LBB45_371
.LBB45_369:
                                        ; implicit-def: $vgpr96
.LBB45_370:
	ds_load_b32 v96, v1
.LBB45_371:
	s_and_saveexec_b32 s8, s0
	s_cbranch_execz .LBB45_375
; %bb.372:
	v_add_nc_u32_e32 v97, -8, v0
	s_movk_i32 s9, 0xe0
	s_mov_b32 s0, 0
.LBB45_373:                             ; =>This Inner Loop Header: Depth=1
	scratch_load_b32 v98, off, s2
	v_dual_mov_b32 v99, s9 :: v_dual_add_nc_u32 v97, -1, v97
	s_add_co_i32 s9, s9, 4
	s_wait_xcnt 0x0
	s_add_co_i32 s2, s2, 4
	ds_load_b32 v99, v99
	v_cmp_eq_u32_e32 vcc_lo, 0, v97
	s_or_b32 s0, vcc_lo, s0
	s_wait_loadcnt_dscnt 0x0
	v_fmac_f32_e32 v96, v98, v99
	s_and_not1_b32 exec_lo, exec_lo, s0
	s_cbranch_execnz .LBB45_373
; %bb.374:
	s_or_b32 exec_lo, exec_lo, s0
.LBB45_375:
	s_delay_alu instid0(SALU_CYCLE_1)
	s_or_b32 exec_lo, exec_lo, s8
	v_mov_b32_e32 v97, 0
	ds_load_b32 v97, v97 offset:28
	s_wait_dscnt 0x0
	v_mul_f32_e32 v96, v96, v97
	scratch_store_b32 off, v96, off offset:28
.LBB45_376:
	s_wait_xcnt 0x0
	s_or_b32 exec_lo, exec_lo, s5
	scratch_load_b32 v96, off, off offset:24
	v_cmp_lt_u32_e64 s0, 6, v0
	s_wait_loadcnt 0x0
	ds_store_b32 v1, v96
	s_wait_storecnt_dscnt 0x0
	s_barrier_signal -1
	s_barrier_wait -1
	s_wait_xcnt 0x0
	s_and_saveexec_b32 s2, s0
	s_cbranch_execz .LBB45_386
; %bb.377:
	s_and_not1_b32 vcc_lo, exec_lo, s3
	s_cbranch_vccnz .LBB45_379
; %bb.378:
	scratch_load_b32 v96, v7, off
	ds_load_b32 v97, v1
	s_wait_loadcnt_dscnt 0x0
	v_mul_f32_e32 v96, v96, v97
	s_cbranch_execz .LBB45_380
	s_branch .LBB45_381
.LBB45_379:
                                        ; implicit-def: $vgpr96
.LBB45_380:
	ds_load_b32 v96, v1
.LBB45_381:
	s_and_saveexec_b32 s5, s1
	s_cbranch_execz .LBB45_385
; %bb.382:
	v_add_nc_u32_e32 v97, -7, v0
	s_mov_b32 s1, 28
	s_movk_i32 s9, 0xdc
	s_mov_b32 s8, 0
.LBB45_383:                             ; =>This Inner Loop Header: Depth=1
	scratch_load_b32 v98, off, s1
	v_dual_mov_b32 v99, s9 :: v_dual_add_nc_u32 v97, -1, v97
	s_add_co_i32 s9, s9, 4
	s_wait_xcnt 0x0
	s_add_co_i32 s1, s1, 4
	ds_load_b32 v99, v99
	v_cmp_eq_u32_e32 vcc_lo, 0, v97
	s_or_b32 s8, vcc_lo, s8
	s_wait_loadcnt_dscnt 0x0
	v_fmac_f32_e32 v96, v98, v99
	s_and_not1_b32 exec_lo, exec_lo, s8
	s_cbranch_execnz .LBB45_383
; %bb.384:
	s_or_b32 exec_lo, exec_lo, s8
.LBB45_385:
	s_delay_alu instid0(SALU_CYCLE_1)
	s_or_b32 exec_lo, exec_lo, s5
	v_mov_b32_e32 v97, 0
	ds_load_b32 v97, v97 offset:24
	s_wait_dscnt 0x0
	v_mul_f32_e32 v96, v96, v97
	scratch_store_b32 off, v96, off offset:24
.LBB45_386:
	s_wait_xcnt 0x0
	s_or_b32 exec_lo, exec_lo, s2
	scratch_load_b32 v96, off, off offset:20
	v_cmp_lt_u32_e64 s1, 5, v0
	s_wait_loadcnt 0x0
	ds_store_b32 v1, v96
	s_wait_storecnt_dscnt 0x0
	s_barrier_signal -1
	s_barrier_wait -1
	s_wait_xcnt 0x0
	s_and_saveexec_b32 s2, s1
	s_cbranch_execz .LBB45_396
; %bb.387:
	s_and_not1_b32 vcc_lo, exec_lo, s3
	s_cbranch_vccnz .LBB45_389
; %bb.388:
	scratch_load_b32 v96, v7, off
	ds_load_b32 v97, v1
	s_wait_loadcnt_dscnt 0x0
	v_mul_f32_e32 v96, v96, v97
	s_cbranch_execz .LBB45_390
	s_branch .LBB45_391
.LBB45_389:
                                        ; implicit-def: $vgpr96
.LBB45_390:
	ds_load_b32 v96, v1
.LBB45_391:
	s_and_saveexec_b32 s5, s0
	s_cbranch_execz .LBB45_395
; %bb.392:
	v_add_nc_u32_e32 v97, -6, v0
	s_mov_b32 s0, 24
	s_movk_i32 s9, 0xd8
	s_mov_b32 s8, 0
.LBB45_393:                             ; =>This Inner Loop Header: Depth=1
	scratch_load_b32 v98, off, s0
	v_dual_mov_b32 v99, s9 :: v_dual_add_nc_u32 v97, -1, v97
	s_add_co_i32 s9, s9, 4
	s_wait_xcnt 0x0
	s_add_co_i32 s0, s0, 4
	ds_load_b32 v99, v99
	v_cmp_eq_u32_e32 vcc_lo, 0, v97
	s_or_b32 s8, vcc_lo, s8
	s_wait_loadcnt_dscnt 0x0
	v_fmac_f32_e32 v96, v98, v99
	s_and_not1_b32 exec_lo, exec_lo, s8
	s_cbranch_execnz .LBB45_393
; %bb.394:
	s_or_b32 exec_lo, exec_lo, s8
.LBB45_395:
	s_delay_alu instid0(SALU_CYCLE_1)
	s_or_b32 exec_lo, exec_lo, s5
	v_mov_b32_e32 v97, 0
	ds_load_b32 v97, v97 offset:20
	s_wait_dscnt 0x0
	v_mul_f32_e32 v96, v96, v97
	scratch_store_b32 off, v96, off offset:20
.LBB45_396:
	;; [unrolled: 58-line block ×3, first 2 shown]
	s_wait_xcnt 0x0
	s_or_b32 exec_lo, exec_lo, s2
	scratch_load_b32 v96, off, off offset:12
	v_cmp_lt_u32_e64 s2, 3, v0
	s_wait_loadcnt 0x0
	ds_store_b32 v1, v96
	s_wait_storecnt_dscnt 0x0
	s_barrier_signal -1
	s_barrier_wait -1
	s_wait_xcnt 0x0
	s_and_saveexec_b32 s1, s2
	s_cbranch_execz .LBB45_416
; %bb.407:
	s_and_not1_b32 vcc_lo, exec_lo, s3
	s_cbranch_vccnz .LBB45_409
; %bb.408:
	scratch_load_b32 v96, v7, off
	ds_load_b32 v97, v1
	s_wait_loadcnt_dscnt 0x0
	v_mul_f32_e32 v96, v96, v97
	s_cbranch_execz .LBB45_410
	s_branch .LBB45_411
.LBB45_409:
                                        ; implicit-def: $vgpr96
.LBB45_410:
	ds_load_b32 v96, v1
.LBB45_411:
	s_and_saveexec_b32 s5, s0
	s_cbranch_execz .LBB45_415
; %bb.412:
	v_add_nc_u32_e32 v97, -4, v0
	s_movk_i32 s8, 0xd0
	s_mov_b32 s0, 0
.LBB45_413:                             ; =>This Inner Loop Header: Depth=1
	scratch_load_b32 v98, off, s4
	v_dual_mov_b32 v99, s8 :: v_dual_add_nc_u32 v97, -1, v97
	s_add_co_i32 s8, s8, 4
	s_wait_xcnt 0x0
	s_add_co_i32 s4, s4, 4
	ds_load_b32 v99, v99
	v_cmp_eq_u32_e32 vcc_lo, 0, v97
	s_or_b32 s0, vcc_lo, s0
	s_wait_loadcnt_dscnt 0x0
	v_fmac_f32_e32 v96, v98, v99
	s_and_not1_b32 exec_lo, exec_lo, s0
	s_cbranch_execnz .LBB45_413
; %bb.414:
	s_or_b32 exec_lo, exec_lo, s0
.LBB45_415:
	s_delay_alu instid0(SALU_CYCLE_1)
	s_or_b32 exec_lo, exec_lo, s5
	v_mov_b32_e32 v97, 0
	ds_load_b32 v97, v97 offset:12
	s_wait_dscnt 0x0
	v_mul_f32_e32 v96, v96, v97
	scratch_store_b32 off, v96, off offset:12
.LBB45_416:
	s_wait_xcnt 0x0
	s_or_b32 exec_lo, exec_lo, s1
	scratch_load_b32 v96, off, off offset:8
	v_cmp_lt_u32_e64 s1, 2, v0
	s_wait_loadcnt 0x0
	ds_store_b32 v1, v96
	s_wait_storecnt_dscnt 0x0
	s_barrier_signal -1
	s_barrier_wait -1
	s_wait_xcnt 0x0
	s_and_saveexec_b32 s0, s1
	s_cbranch_execz .LBB45_426
; %bb.417:
	s_and_not1_b32 vcc_lo, exec_lo, s3
	s_cbranch_vccnz .LBB45_419
; %bb.418:
	scratch_load_b32 v96, v7, off
	ds_load_b32 v97, v1
	s_wait_loadcnt_dscnt 0x0
	v_mul_f32_e32 v96, v96, v97
	s_cbranch_execz .LBB45_420
	s_branch .LBB45_421
.LBB45_419:
                                        ; implicit-def: $vgpr96
.LBB45_420:
	ds_load_b32 v96, v1
.LBB45_421:
	s_and_saveexec_b32 s4, s2
	s_cbranch_execz .LBB45_425
; %bb.422:
	v_add_nc_u32_e32 v97, -3, v0
	s_or_b32 s2, 0, 12
	s_movk_i32 s8, 0xcc
	s_mov_b32 s5, 0
.LBB45_423:                             ; =>This Inner Loop Header: Depth=1
	scratch_load_b32 v98, off, s2
	v_dual_mov_b32 v99, s8 :: v_dual_add_nc_u32 v97, -1, v97
	s_add_co_i32 s8, s8, 4
	s_wait_xcnt 0x0
	s_add_co_i32 s2, s2, 4
	ds_load_b32 v99, v99
	v_cmp_eq_u32_e32 vcc_lo, 0, v97
	s_or_b32 s5, vcc_lo, s5
	s_wait_loadcnt_dscnt 0x0
	v_fmac_f32_e32 v96, v98, v99
	s_and_not1_b32 exec_lo, exec_lo, s5
	s_cbranch_execnz .LBB45_423
; %bb.424:
	s_or_b32 exec_lo, exec_lo, s5
.LBB45_425:
	s_delay_alu instid0(SALU_CYCLE_1)
	s_or_b32 exec_lo, exec_lo, s4
	v_mov_b32_e32 v97, 0
	ds_load_b32 v97, v97 offset:8
	s_wait_dscnt 0x0
	v_mul_f32_e32 v96, v96, v97
	scratch_store_b32 off, v96, off offset:8
.LBB45_426:
	s_wait_xcnt 0x0
	s_or_b32 exec_lo, exec_lo, s0
	scratch_load_b32 v96, off, off offset:4
	v_cmp_lt_u32_e64 s0, 1, v0
	s_wait_loadcnt 0x0
	ds_store_b32 v1, v96
	s_wait_storecnt_dscnt 0x0
	s_barrier_signal -1
	s_barrier_wait -1
	s_wait_xcnt 0x0
	s_and_saveexec_b32 s2, s0
	s_cbranch_execz .LBB45_436
; %bb.427:
	s_and_not1_b32 vcc_lo, exec_lo, s3
	s_cbranch_vccnz .LBB45_429
; %bb.428:
	scratch_load_b32 v96, v7, off
	ds_load_b32 v97, v1
	s_wait_loadcnt_dscnt 0x0
	v_mul_f32_e32 v96, v96, v97
	s_cbranch_execz .LBB45_430
	s_branch .LBB45_431
.LBB45_429:
                                        ; implicit-def: $vgpr96
.LBB45_430:
	ds_load_b32 v96, v1
.LBB45_431:
	s_and_saveexec_b32 s4, s1
	s_cbranch_execz .LBB45_435
; %bb.432:
	v_add_nc_u32_e32 v97, -2, v0
	s_or_b32 s1, 0, 8
	s_movk_i32 s8, 0xc8
	s_mov_b32 s5, 0
.LBB45_433:                             ; =>This Inner Loop Header: Depth=1
	scratch_load_b32 v98, off, s1
	v_dual_mov_b32 v99, s8 :: v_dual_add_nc_u32 v97, -1, v97
	s_add_co_i32 s8, s8, 4
	s_wait_xcnt 0x0
	s_add_co_i32 s1, s1, 4
	ds_load_b32 v99, v99
	v_cmp_eq_u32_e32 vcc_lo, 0, v97
	s_or_b32 s5, vcc_lo, s5
	s_wait_loadcnt_dscnt 0x0
	v_fmac_f32_e32 v96, v98, v99
	s_and_not1_b32 exec_lo, exec_lo, s5
	s_cbranch_execnz .LBB45_433
; %bb.434:
	s_or_b32 exec_lo, exec_lo, s5
.LBB45_435:
	s_delay_alu instid0(SALU_CYCLE_1)
	s_or_b32 exec_lo, exec_lo, s4
	v_mov_b32_e32 v97, 0
	ds_load_b32 v97, v97 offset:4
	s_wait_dscnt 0x0
	v_mul_f32_e32 v96, v96, v97
	scratch_store_b32 off, v96, off offset:4
.LBB45_436:
	s_wait_xcnt 0x0
	s_or_b32 exec_lo, exec_lo, s2
	scratch_load_b32 v96, off, off
	s_mov_b32 s1, 0
	s_mov_b32 s2, exec_lo
	s_wait_loadcnt 0x0
	ds_store_b32 v1, v96
	s_wait_storecnt_dscnt 0x0
	s_barrier_signal -1
	s_barrier_wait -1
	s_wait_xcnt 0x0
	v_cmpx_ne_u32_e32 0, v0
	s_cbranch_execz .LBB45_446
; %bb.437:
	s_and_not1_b32 vcc_lo, exec_lo, s3
	s_cbranch_vccnz .LBB45_439
; %bb.438:
	scratch_load_b32 v96, v7, off
	ds_load_b32 v97, v1
	s_wait_loadcnt_dscnt 0x0
	v_mul_f32_e32 v96, v96, v97
	s_cbranch_execz .LBB45_440
	s_branch .LBB45_441
.LBB45_439:
                                        ; implicit-def: $vgpr96
.LBB45_440:
	ds_load_b32 v96, v1
.LBB45_441:
	s_and_saveexec_b32 s4, s0
	s_cbranch_execz .LBB45_445
; %bb.442:
	v_add_nc_u32_e32 v97, -1, v0
	s_or_b32 s0, 0, 4
	s_movk_i32 s8, 0xc4
	s_mov_b32 s5, 0
.LBB45_443:                             ; =>This Inner Loop Header: Depth=1
	scratch_load_b32 v98, off, s0
	v_dual_mov_b32 v99, s8 :: v_dual_add_nc_u32 v97, -1, v97
	s_add_co_i32 s8, s8, 4
	s_wait_xcnt 0x0
	s_add_co_i32 s0, s0, 4
	ds_load_b32 v99, v99
	v_cmp_eq_u32_e32 vcc_lo, 0, v97
	s_or_b32 s5, vcc_lo, s5
	s_wait_loadcnt_dscnt 0x0
	v_fmac_f32_e32 v96, v98, v99
	s_and_not1_b32 exec_lo, exec_lo, s5
	s_cbranch_execnz .LBB45_443
; %bb.444:
	s_or_b32 exec_lo, exec_lo, s5
.LBB45_445:
	s_delay_alu instid0(SALU_CYCLE_1)
	s_or_b32 exec_lo, exec_lo, s4
	v_mov_b32_e32 v97, 0
	ds_load_b32 v97, v97
	s_wait_dscnt 0x0
	v_mul_f32_e32 v96, v96, v97
	scratch_store_b32 off, v96, off
.LBB45_446:
	s_wait_xcnt 0x0
	s_or_b32 exec_lo, exec_lo, s2
.LBB45_447:
	v_lshl_add_u64 v[110:111], v[8:9], 2, s[6:7]
	v_lshl_add_u64 v[112:113], v[10:11], 2, s[6:7]
	;; [unrolled: 1-line block ×44, first 2 shown]
	s_and_b32 vcc_lo, exec_lo, s1
	s_cbranch_vccz .LBB45_889
; %bb.448:
	scratch_load_b32 v78, off, off offset:4
	v_cmp_eq_u32_e64 s0, 0, v0
	s_wait_loadcnt 0x0
	ds_store_b32 v1, v78
	s_wait_storecnt_dscnt 0x0
	s_barrier_signal -1
	s_barrier_wait -1
	s_wait_xcnt 0x0
	s_and_saveexec_b32 s1, s0
	s_cbranch_execz .LBB45_454
; %bb.449:
	s_and_b32 vcc_lo, exec_lo, s3
	s_cbranch_vccz .LBB45_451
; %bb.450:
	scratch_load_b32 v78, v7, off
	ds_load_b32 v79, v1
	s_wait_loadcnt_dscnt 0x0
	v_mul_f32_e32 v78, v78, v79
	s_cbranch_execz .LBB45_452
	s_branch .LBB45_453
.LBB45_451:
                                        ; implicit-def: $vgpr78
.LBB45_452:
	ds_load_b32 v78, v1
.LBB45_453:
	v_mov_b32_e32 v79, 0
	ds_load_b32 v79, v79 offset:4
	s_wait_dscnt 0x0
	v_mul_f32_e32 v78, v78, v79
	scratch_store_b32 off, v78, off offset:4
.LBB45_454:
	s_wait_xcnt 0x0
	s_or_b32 exec_lo, exec_lo, s1
	scratch_load_b32 v79, off, off offset:8
	v_cndmask_b32_e64 v78, 0, 1, s3
	s_mov_b32 s1, exec_lo
	s_wait_loadcnt 0x0
	ds_store_b32 v1, v79
	s_wait_storecnt_dscnt 0x0
	s_barrier_signal -1
	s_barrier_wait -1
	s_wait_xcnt 0x0
	v_cmpx_gt_u32_e32 2, v0
	s_cbranch_execz .LBB45_460
; %bb.455:
	s_and_not1_b32 vcc_lo, exec_lo, s3
	s_cbranch_vccnz .LBB45_457
; %bb.456:
	scratch_load_b32 v79, v7, off
	ds_load_b32 v80, v1
	s_wait_loadcnt_dscnt 0x0
	v_mul_f32_e32 v79, v79, v80
	s_cbranch_execz .LBB45_458
	s_branch .LBB45_459
.LBB45_457:
                                        ; implicit-def: $vgpr79
.LBB45_458:
	ds_load_b32 v79, v1
.LBB45_459:
	scratch_load_b32 v82, off, off offset:4
	v_mov_b32_e32 v80, 0
	ds_load_2addr_b32 v[80:81], v80 offset0:2 offset1:49
	s_wait_loadcnt_dscnt 0x0
	v_fma_f32 v81, v82, v81, v79
	s_delay_alu instid0(VALU_DEP_1) | instskip(NEXT) | instid1(VALU_DEP_1)
	v_cndmask_b32_e64 v79, v79, v81, s0
	v_mul_f32_e32 v79, v79, v80
	scratch_store_b32 off, v79, off offset:8
.LBB45_460:
	s_wait_xcnt 0x0
	s_or_b32 exec_lo, exec_lo, s1
	scratch_load_b32 v79, off, off offset:12
	s_mov_b32 s1, exec_lo
	s_wait_loadcnt 0x0
	ds_store_b32 v1, v79
	s_wait_storecnt_dscnt 0x0
	s_barrier_signal -1
	s_barrier_wait -1
	s_wait_xcnt 0x0
	v_cmpx_gt_u32_e32 3, v0
	s_cbranch_execz .LBB45_468
; %bb.461:
	v_cmp_ne_u32_e32 vcc_lo, 1, v78
	s_cbranch_vccnz .LBB45_463
; %bb.462:
	scratch_load_b32 v79, v7, off
	ds_load_b32 v80, v1
	s_wait_loadcnt_dscnt 0x0
	v_mul_f32_e32 v79, v79, v80
	s_cbranch_execz .LBB45_464
	s_branch .LBB45_465
.LBB45_463:
                                        ; implicit-def: $vgpr79
.LBB45_464:
	ds_load_b32 v79, v1
.LBB45_465:
	s_mov_b32 s2, exec_lo
	v_cmpx_ne_u32_e32 2, v0
	s_cbranch_execz .LBB45_467
; %bb.466:
	scratch_load_b32 v80, v7, off offset:4
	scratch_load_b32 v81, off, off offset:8
	ds_load_b32 v82, v1 offset:4
	v_mov_b32_e32 v83, 0
	ds_load_b32 v83, v83 offset:200
	s_wait_loadcnt_dscnt 0x101
	v_fmac_f32_e32 v79, v80, v82
	s_wait_loadcnt_dscnt 0x0
	s_delay_alu instid0(VALU_DEP_1) | instskip(NEXT) | instid1(VALU_DEP_1)
	v_fma_f32 v80, v81, v83, v79
	v_cndmask_b32_e64 v79, v79, v80, s0
.LBB45_467:
	s_or_b32 exec_lo, exec_lo, s2
	v_mov_b32_e32 v80, 0
	ds_load_b32 v80, v80 offset:12
	s_wait_dscnt 0x0
	v_mul_f32_e32 v79, v79, v80
	scratch_store_b32 off, v79, off offset:12
.LBB45_468:
	s_wait_xcnt 0x0
	s_or_b32 exec_lo, exec_lo, s1
	scratch_load_b32 v79, off, off offset:16
	s_mov_b32 s0, exec_lo
	s_wait_loadcnt 0x0
	ds_store_b32 v1, v79
	s_wait_storecnt_dscnt 0x0
	s_barrier_signal -1
	s_barrier_wait -1
	s_wait_xcnt 0x0
	v_cmpx_gt_u32_e32 4, v0
	s_cbranch_execz .LBB45_478
; %bb.469:
	v_cmp_ne_u32_e32 vcc_lo, 1, v78
	s_cbranch_vccnz .LBB45_471
; %bb.470:
	scratch_load_b32 v79, v7, off
	ds_load_b32 v80, v1
	s_wait_loadcnt_dscnt 0x0
	v_mul_f32_e32 v79, v79, v80
	s_cbranch_execz .LBB45_472
	s_branch .LBB45_473
.LBB45_471:
                                        ; implicit-def: $vgpr79
.LBB45_472:
	ds_load_b32 v79, v1
.LBB45_473:
	s_mov_b32 s1, exec_lo
	v_cmpx_ne_u32_e32 3, v0
	s_cbranch_execz .LBB45_477
; %bb.474:
	v_add_nc_u32_e32 v80, 0xc4, v6
	v_add3_u32 v81, 0, v6, 4
	v_mov_b32_e32 v82, v0
	s_mov_b32 s2, 0
.LBB45_475:                             ; =>This Inner Loop Header: Depth=1
	scratch_load_b32 v83, v81, off
	ds_load_b32 v84, v80
	v_dual_add_nc_u32 v82, 1, v82 :: v_dual_add_nc_u32 v80, 4, v80
	s_wait_xcnt 0x0
	v_add_nc_u32_e32 v81, 4, v81
	s_delay_alu instid0(VALU_DEP_2)
	v_cmp_lt_u32_e32 vcc_lo, 2, v82
	s_or_b32 s2, vcc_lo, s2
	s_wait_loadcnt_dscnt 0x0
	v_fmac_f32_e32 v79, v83, v84
	s_and_not1_b32 exec_lo, exec_lo, s2
	s_cbranch_execnz .LBB45_475
; %bb.476:
	s_or_b32 exec_lo, exec_lo, s2
.LBB45_477:
	s_delay_alu instid0(SALU_CYCLE_1)
	s_or_b32 exec_lo, exec_lo, s1
	v_mov_b32_e32 v80, 0
	ds_load_b32 v80, v80 offset:16
	s_wait_dscnt 0x0
	v_mul_f32_e32 v79, v79, v80
	scratch_store_b32 off, v79, off offset:16
.LBB45_478:
	s_wait_xcnt 0x0
	s_or_b32 exec_lo, exec_lo, s0
	scratch_load_b32 v79, off, off offset:20
	s_mov_b32 s0, exec_lo
	s_wait_loadcnt 0x0
	ds_store_b32 v1, v79
	s_wait_storecnt_dscnt 0x0
	s_barrier_signal -1
	s_barrier_wait -1
	s_wait_xcnt 0x0
	v_cmpx_gt_u32_e32 5, v0
	s_cbranch_execz .LBB45_488
; %bb.479:
	v_cmp_ne_u32_e32 vcc_lo, 1, v78
	s_cbranch_vccnz .LBB45_481
; %bb.480:
	scratch_load_b32 v79, v7, off
	ds_load_b32 v80, v1
	s_wait_loadcnt_dscnt 0x0
	v_mul_f32_e32 v79, v79, v80
	s_cbranch_execz .LBB45_482
	s_branch .LBB45_483
.LBB45_481:
                                        ; implicit-def: $vgpr79
.LBB45_482:
	ds_load_b32 v79, v1
.LBB45_483:
	s_mov_b32 s1, exec_lo
	v_cmpx_ne_u32_e32 4, v0
	s_cbranch_execz .LBB45_487
; %bb.484:
	v_add_nc_u32_e32 v80, 0xc4, v6
	v_add3_u32 v81, 0, v6, 4
	v_mov_b32_e32 v82, v0
	s_mov_b32 s2, 0
.LBB45_485:                             ; =>This Inner Loop Header: Depth=1
	scratch_load_b32 v83, v81, off
	ds_load_b32 v84, v80
	v_dual_add_nc_u32 v82, 1, v82 :: v_dual_add_nc_u32 v80, 4, v80
	s_wait_xcnt 0x0
	v_add_nc_u32_e32 v81, 4, v81
	s_delay_alu instid0(VALU_DEP_2)
	v_cmp_lt_u32_e32 vcc_lo, 3, v82
	s_or_b32 s2, vcc_lo, s2
	s_wait_loadcnt_dscnt 0x0
	v_fmac_f32_e32 v79, v83, v84
	s_and_not1_b32 exec_lo, exec_lo, s2
	s_cbranch_execnz .LBB45_485
; %bb.486:
	s_or_b32 exec_lo, exec_lo, s2
.LBB45_487:
	s_delay_alu instid0(SALU_CYCLE_1)
	s_or_b32 exec_lo, exec_lo, s1
	v_mov_b32_e32 v80, 0
	ds_load_b32 v80, v80 offset:20
	s_wait_dscnt 0x0
	v_mul_f32_e32 v79, v79, v80
	scratch_store_b32 off, v79, off offset:20
.LBB45_488:
	;; [unrolled: 59-line block ×40, first 2 shown]
	s_wait_xcnt 0x0
	s_or_b32 exec_lo, exec_lo, s0
	scratch_load_b32 v79, off, off offset:176
	v_cmp_gt_u32_e64 s0, 44, v0
	s_wait_loadcnt 0x0
	ds_store_b32 v1, v79
	s_wait_storecnt_dscnt 0x0
	s_barrier_signal -1
	s_barrier_wait -1
	s_wait_xcnt 0x0
	s_and_saveexec_b32 s1, s0
	s_cbranch_execz .LBB45_878
; %bb.869:
	v_cmp_ne_u32_e32 vcc_lo, 1, v78
	s_cbranch_vccnz .LBB45_871
; %bb.870:
	scratch_load_b32 v79, v7, off
	ds_load_b32 v80, v1
	s_wait_loadcnt_dscnt 0x0
	v_mul_f32_e32 v79, v79, v80
	s_cbranch_execz .LBB45_872
	s_branch .LBB45_873
.LBB45_871:
                                        ; implicit-def: $vgpr79
.LBB45_872:
	ds_load_b32 v79, v1
.LBB45_873:
	s_mov_b32 s2, exec_lo
	v_cmpx_ne_u32_e32 43, v0
	s_cbranch_execz .LBB45_877
; %bb.874:
	v_add_nc_u32_e32 v80, 0xc4, v6
	v_add3_u32 v81, 0, v6, 4
	v_mov_b32_e32 v82, v0
	s_mov_b32 s3, 0
.LBB45_875:                             ; =>This Inner Loop Header: Depth=1
	scratch_load_b32 v83, v81, off
	ds_load_b32 v84, v80
	v_dual_add_nc_u32 v82, 1, v82 :: v_dual_add_nc_u32 v80, 4, v80
	s_wait_xcnt 0x0
	v_add_nc_u32_e32 v81, 4, v81
	s_delay_alu instid0(VALU_DEP_2)
	v_cmp_lt_u32_e32 vcc_lo, 42, v82
	s_or_b32 s3, vcc_lo, s3
	s_wait_loadcnt_dscnt 0x0
	v_fmac_f32_e32 v79, v83, v84
	s_and_not1_b32 exec_lo, exec_lo, s3
	s_cbranch_execnz .LBB45_875
; %bb.876:
	s_or_b32 exec_lo, exec_lo, s3
.LBB45_877:
	s_delay_alu instid0(SALU_CYCLE_1)
	s_or_b32 exec_lo, exec_lo, s2
	v_mov_b32_e32 v80, 0
	ds_load_b32 v80, v80 offset:176
	s_wait_dscnt 0x0
	v_mul_f32_e32 v79, v79, v80
	scratch_store_b32 off, v79, off offset:176
.LBB45_878:
	s_wait_xcnt 0x0
	s_or_b32 exec_lo, exec_lo, s1
	scratch_load_b32 v79, off, off offset:180
	s_mov_b32 s1, exec_lo
	s_wait_loadcnt 0x0
	ds_store_b32 v1, v79
	s_wait_storecnt_dscnt 0x0
	s_barrier_signal -1
	s_barrier_wait -1
	s_wait_xcnt 0x0
	v_cmpx_ne_u32_e32 45, v0
	s_cbranch_execz .LBB45_888
; %bb.879:
	v_cmp_ne_u32_e32 vcc_lo, 1, v78
	s_cbranch_vccnz .LBB45_881
; %bb.880:
	scratch_load_b32 v7, v7, off
	ds_load_b32 v78, v1
	s_wait_loadcnt_dscnt 0x0
	v_mul_f32_e32 v7, v7, v78
	s_cbranch_execz .LBB45_882
	s_branch .LBB45_883
.LBB45_881:
                                        ; implicit-def: $vgpr7
.LBB45_882:
	ds_load_b32 v7, v1
.LBB45_883:
	s_and_saveexec_b32 s2, s0
	s_cbranch_execz .LBB45_887
; %bb.884:
	v_add_nc_u32_e32 v1, 0xc4, v6
	v_add3_u32 v6, 0, v6, 4
	s_mov_b32 s0, 0
.LBB45_885:                             ; =>This Inner Loop Header: Depth=1
	scratch_load_b32 v78, v6, off
	ds_load_b32 v79, v1
	v_dual_add_nc_u32 v0, 1, v0 :: v_dual_add_nc_u32 v1, 4, v1
	s_wait_xcnt 0x0
	v_add_nc_u32_e32 v6, 4, v6
	s_delay_alu instid0(VALU_DEP_2)
	v_cmp_lt_u32_e32 vcc_lo, 43, v0
	s_or_b32 s0, vcc_lo, s0
	s_wait_loadcnt_dscnt 0x0
	v_fmac_f32_e32 v7, v78, v79
	s_and_not1_b32 exec_lo, exec_lo, s0
	s_cbranch_execnz .LBB45_885
; %bb.886:
	s_or_b32 exec_lo, exec_lo, s0
.LBB45_887:
	s_delay_alu instid0(SALU_CYCLE_1)
	s_or_b32 exec_lo, exec_lo, s2
	v_mov_b32_e32 v0, 0
	ds_load_b32 v0, v0 offset:180
	s_wait_dscnt 0x0
	v_mul_f32_e32 v0, v7, v0
	scratch_store_b32 off, v0, off offset:180
.LBB45_888:
	s_wait_xcnt 0x0
	s_or_b32 exec_lo, exec_lo, s1
.LBB45_889:
	s_clause 0x3
	scratch_load_b128 v[78:81], off, off
	scratch_load_b128 v[82:85], off, off offset:16
	scratch_load_b128 v[86:89], off, off offset:32
	;; [unrolled: 1-line block ×3, first 2 shown]
	s_wait_loadcnt 0x3
	s_clause 0x1
	global_store_b32 v[2:3], v78, off
	global_store_b32 v[4:5], v79, off
	scratch_load_b128 v[0:3], off, off offset:64
	s_clause 0x1
	global_store_b32 v[110:111], v80, off
	global_store_b32 v[112:113], v81, off
	s_clause 0x1
	scratch_load_b128 v[4:7], off, off offset:80
	scratch_load_b128 v[78:81], off, off offset:96
	s_wait_loadcnt 0x5
	s_clause 0x1
	global_store_b32 v[106:107], v82, off
	global_store_b32 v[108:109], v83, off
	scratch_load_b128 v[106:109], off, off offset:112
	s_clause 0x1
	global_store_b32 v[102:103], v84, off
	global_store_b32 v[104:105], v85, off
	s_clause 0x1
	scratch_load_b128 v[82:85], off, off offset:128
	scratch_load_b128 v[102:105], off, off offset:144
	s_wait_loadcnt 0x7
	s_clause 0x1
	global_store_b32 v[98:99], v86, off
	global_store_b32 v[100:101], v87, off
	s_clause 0x1
	scratch_load_b128 v[98:101], off, off offset:160
	scratch_load_b64 v[86:87], off, off offset:176
	s_clause 0x1
	global_store_b32 v[96:97], v88, off
	global_store_b32 v[8:9], v89, off
	s_wait_loadcnt 0x8
	s_clause 0x3
	global_store_b32 v[10:11], v90, off
	global_store_b32 v[12:13], v91, off
	global_store_b32 v[14:15], v92, off
	global_store_b32 v[16:17], v93, off
	s_wait_loadcnt 0x7
	s_clause 0x3
	global_store_b32 v[18:19], v0, off
	global_store_b32 v[20:21], v1, off
	;; [unrolled: 6-line block ×9, first 2 shown]
.LBB45_890:
	s_sendmsg sendmsg(MSG_DEALLOC_VGPRS)
	s_endpgm
	.section	.rodata,"a",@progbits
	.p2align	6, 0x0
	.amdhsa_kernel _ZN9rocsolver6v33100L18trti2_kernel_smallILi46EfPfEEv13rocblas_fill_17rocblas_diagonal_T1_iil
		.amdhsa_group_segment_fixed_size 376
		.amdhsa_private_segment_fixed_size 192
		.amdhsa_kernarg_size 32
		.amdhsa_user_sgpr_count 2
		.amdhsa_user_sgpr_dispatch_ptr 0
		.amdhsa_user_sgpr_queue_ptr 0
		.amdhsa_user_sgpr_kernarg_segment_ptr 1
		.amdhsa_user_sgpr_dispatch_id 0
		.amdhsa_user_sgpr_kernarg_preload_length 0
		.amdhsa_user_sgpr_kernarg_preload_offset 0
		.amdhsa_user_sgpr_private_segment_size 0
		.amdhsa_wavefront_size32 1
		.amdhsa_uses_dynamic_stack 0
		.amdhsa_enable_private_segment 1
		.amdhsa_system_sgpr_workgroup_id_x 1
		.amdhsa_system_sgpr_workgroup_id_y 0
		.amdhsa_system_sgpr_workgroup_id_z 0
		.amdhsa_system_sgpr_workgroup_info 0
		.amdhsa_system_vgpr_workitem_id 0
		.amdhsa_next_free_vgpr 116
		.amdhsa_next_free_sgpr 19
		.amdhsa_named_barrier_count 0
		.amdhsa_reserve_vcc 1
		.amdhsa_float_round_mode_32 0
		.amdhsa_float_round_mode_16_64 0
		.amdhsa_float_denorm_mode_32 3
		.amdhsa_float_denorm_mode_16_64 3
		.amdhsa_fp16_overflow 0
		.amdhsa_memory_ordered 1
		.amdhsa_forward_progress 1
		.amdhsa_inst_pref_size 200
		.amdhsa_round_robin_scheduling 0
		.amdhsa_exception_fp_ieee_invalid_op 0
		.amdhsa_exception_fp_denorm_src 0
		.amdhsa_exception_fp_ieee_div_zero 0
		.amdhsa_exception_fp_ieee_overflow 0
		.amdhsa_exception_fp_ieee_underflow 0
		.amdhsa_exception_fp_ieee_inexact 0
		.amdhsa_exception_int_div_zero 0
	.end_amdhsa_kernel
	.section	.text._ZN9rocsolver6v33100L18trti2_kernel_smallILi46EfPfEEv13rocblas_fill_17rocblas_diagonal_T1_iil,"axG",@progbits,_ZN9rocsolver6v33100L18trti2_kernel_smallILi46EfPfEEv13rocblas_fill_17rocblas_diagonal_T1_iil,comdat
.Lfunc_end45:
	.size	_ZN9rocsolver6v33100L18trti2_kernel_smallILi46EfPfEEv13rocblas_fill_17rocblas_diagonal_T1_iil, .Lfunc_end45-_ZN9rocsolver6v33100L18trti2_kernel_smallILi46EfPfEEv13rocblas_fill_17rocblas_diagonal_T1_iil
                                        ; -- End function
	.set _ZN9rocsolver6v33100L18trti2_kernel_smallILi46EfPfEEv13rocblas_fill_17rocblas_diagonal_T1_iil.num_vgpr, 116
	.set _ZN9rocsolver6v33100L18trti2_kernel_smallILi46EfPfEEv13rocblas_fill_17rocblas_diagonal_T1_iil.num_agpr, 0
	.set _ZN9rocsolver6v33100L18trti2_kernel_smallILi46EfPfEEv13rocblas_fill_17rocblas_diagonal_T1_iil.numbered_sgpr, 19
	.set _ZN9rocsolver6v33100L18trti2_kernel_smallILi46EfPfEEv13rocblas_fill_17rocblas_diagonal_T1_iil.num_named_barrier, 0
	.set _ZN9rocsolver6v33100L18trti2_kernel_smallILi46EfPfEEv13rocblas_fill_17rocblas_diagonal_T1_iil.private_seg_size, 192
	.set _ZN9rocsolver6v33100L18trti2_kernel_smallILi46EfPfEEv13rocblas_fill_17rocblas_diagonal_T1_iil.uses_vcc, 1
	.set _ZN9rocsolver6v33100L18trti2_kernel_smallILi46EfPfEEv13rocblas_fill_17rocblas_diagonal_T1_iil.uses_flat_scratch, 1
	.set _ZN9rocsolver6v33100L18trti2_kernel_smallILi46EfPfEEv13rocblas_fill_17rocblas_diagonal_T1_iil.has_dyn_sized_stack, 0
	.set _ZN9rocsolver6v33100L18trti2_kernel_smallILi46EfPfEEv13rocblas_fill_17rocblas_diagonal_T1_iil.has_recursion, 0
	.set _ZN9rocsolver6v33100L18trti2_kernel_smallILi46EfPfEEv13rocblas_fill_17rocblas_diagonal_T1_iil.has_indirect_call, 0
	.section	.AMDGPU.csdata,"",@progbits
; Kernel info:
; codeLenInByte = 25520
; TotalNumSgprs: 21
; NumVgprs: 116
; ScratchSize: 192
; MemoryBound: 0
; FloatMode: 240
; IeeeMode: 1
; LDSByteSize: 376 bytes/workgroup (compile time only)
; SGPRBlocks: 0
; VGPRBlocks: 7
; NumSGPRsForWavesPerEU: 21
; NumVGPRsForWavesPerEU: 116
; NamedBarCnt: 0
; Occupancy: 8
; WaveLimiterHint : 0
; COMPUTE_PGM_RSRC2:SCRATCH_EN: 1
; COMPUTE_PGM_RSRC2:USER_SGPR: 2
; COMPUTE_PGM_RSRC2:TRAP_HANDLER: 0
; COMPUTE_PGM_RSRC2:TGID_X_EN: 1
; COMPUTE_PGM_RSRC2:TGID_Y_EN: 0
; COMPUTE_PGM_RSRC2:TGID_Z_EN: 0
; COMPUTE_PGM_RSRC2:TIDIG_COMP_CNT: 0
	.section	.text._ZN9rocsolver6v33100L18trti2_kernel_smallILi47EfPfEEv13rocblas_fill_17rocblas_diagonal_T1_iil,"axG",@progbits,_ZN9rocsolver6v33100L18trti2_kernel_smallILi47EfPfEEv13rocblas_fill_17rocblas_diagonal_T1_iil,comdat
	.globl	_ZN9rocsolver6v33100L18trti2_kernel_smallILi47EfPfEEv13rocblas_fill_17rocblas_diagonal_T1_iil ; -- Begin function _ZN9rocsolver6v33100L18trti2_kernel_smallILi47EfPfEEv13rocblas_fill_17rocblas_diagonal_T1_iil
	.p2align	8
	.type	_ZN9rocsolver6v33100L18trti2_kernel_smallILi47EfPfEEv13rocblas_fill_17rocblas_diagonal_T1_iil,@function
_ZN9rocsolver6v33100L18trti2_kernel_smallILi47EfPfEEv13rocblas_fill_17rocblas_diagonal_T1_iil: ; @_ZN9rocsolver6v33100L18trti2_kernel_smallILi47EfPfEEv13rocblas_fill_17rocblas_diagonal_T1_iil
; %bb.0:
	s_mov_b32 s2, exec_lo
	v_cmpx_gt_u32_e32 47, v0
	s_cbranch_execz .LBB46_910
; %bb.1:
	s_load_b256 s[4:11], s[0:1], 0x0
	s_wait_xcnt 0x0
	s_bfe_u32 s0, ttmp6, 0x4000c
	s_and_b32 s1, ttmp6, 15
	s_add_co_i32 s0, s0, 1
	s_getreg_b32 s2, hwreg(HW_REG_IB_STS2, 6, 4)
	s_mul_i32 s0, ttmp9, s0
	v_dual_mov_b32 v7, 0 :: v_dual_lshlrev_b32 v6, 2, v0
	s_add_co_i32 s0, s1, s0
	s_wait_kmcnt 0x0
	v_add3_u32 v8, s9, s9, v0
	s_ashr_i32 s1, s8, 31
	s_cmp_eq_u32 s2, 0
	s_cselect_b32 s2, ttmp9, s0
	s_delay_alu instid0(VALU_DEP_1)
	v_add_nc_u32_e32 v10, s9, v8
	s_ashr_i32 s3, s2, 31
	s_mov_b32 s0, s8
	s_mul_u64 s[2:3], s[10:11], s[2:3]
	s_lshl_b64 s[0:1], s[0:1], 2
	v_add_nc_u32_e32 v12, s9, v10
	s_lshl_b64 s[2:3], s[2:3], 2
	v_ashrrev_i32_e32 v9, 31, v8
	s_add_nc_u64 s[2:3], s[6:7], s[2:3]
	s_delay_alu instid0(VALU_DEP_2)
	v_add_nc_u32_e32 v14, s9, v12
	s_add_nc_u64 s[6:7], s[2:3], s[0:1]
	s_mov_b32 s0, s9
	v_add_nc_u64_e32 v[4:5], s[6:7], v[6:7]
	s_ashr_i32 s1, s9, 31
	v_add_nc_u32_e32 v16, s9, v14
	v_ashrrev_i32_e32 v11, 31, v10
	s_cmp_lg_u32 s5, 0x84
	s_cselect_b32 s3, -1, 0
	s_delay_alu instid0(VALU_DEP_2) | instskip(SKIP_3) | instid1(VALU_DEP_3)
	v_add_nc_u32_e32 v18, s9, v16
	v_lshl_add_u64 v[2:3], s[0:1], 2, v[4:5]
	v_ashrrev_i32_e32 v17, 31, v16
	s_cmp_eq_u32 s5, 0x84
	v_add_nc_u32_e32 v20, s9, v18
	s_clause 0x7
	global_load_b32 v76, v0, s[6:7] scale_offset
	global_load_b32 v78, v8, s[6:7] scale_offset
	;; [unrolled: 1-line block ×7, first 2 shown]
	global_load_b32 v77, v[2:3], off
	v_dual_ashrrev_i32 v13, 31, v12 :: v_dual_ashrrev_i32 v15, 31, v14
	v_dual_ashrrev_i32 v19, 31, v18 :: v_dual_add_nc_u32 v22, s9, v20
	s_delay_alu instid0(VALU_DEP_1) | instskip(NEXT) | instid1(VALU_DEP_1)
	v_add_nc_u32_e32 v24, s9, v22
	v_add_nc_u32_e32 v26, s9, v24
	s_delay_alu instid0(VALU_DEP_1) | instskip(NEXT) | instid1(VALU_DEP_1)
	v_dual_add_nc_u32 v28, s9, v26 :: v_dual_ashrrev_i32 v21, 31, v20
	v_dual_ashrrev_i32 v23, 31, v22 :: v_dual_add_nc_u32 v30, s9, v28
	s_delay_alu instid0(VALU_DEP_1)
	v_dual_ashrrev_i32 v29, 31, v28 :: v_dual_ashrrev_i32 v31, 31, v30
	v_add_nc_u32_e32 v32, s9, v30
	s_clause 0x3
	global_load_b32 v84, v20, s[6:7] scale_offset
	global_load_b32 v85, v22, s[6:7] scale_offset
	;; [unrolled: 1-line block ×4, first 2 shown]
	v_dual_ashrrev_i32 v25, 31, v24 :: v_dual_ashrrev_i32 v27, 31, v26
	v_add_nc_u32_e32 v34, s9, v32
	s_delay_alu instid0(VALU_DEP_1) | instskip(NEXT) | instid1(VALU_DEP_1)
	v_add_nc_u32_e32 v36, s9, v34
	v_add_nc_u32_e32 v38, s9, v36
	s_delay_alu instid0(VALU_DEP_1)
	v_add_nc_u32_e32 v40, s9, v38
	s_clause 0x3
	global_load_b32 v88, v28, s[6:7] scale_offset
	global_load_b32 v89, v30, s[6:7] scale_offset
	;; [unrolled: 1-line block ×4, first 2 shown]
	v_dual_ashrrev_i32 v33, 31, v32 :: v_dual_ashrrev_i32 v35, 31, v34
	v_dual_add_nc_u32 v42, s9, v40 :: v_dual_ashrrev_i32 v41, 31, v40
	s_delay_alu instid0(VALU_DEP_1)
	v_dual_ashrrev_i32 v43, 31, v42 :: v_dual_add_nc_u32 v44, s9, v42
	s_clause 0x3
	global_load_b32 v92, v36, s[6:7] scale_offset
	global_load_b32 v93, v38, s[6:7] scale_offset
	;; [unrolled: 1-line block ×4, first 2 shown]
	v_dual_ashrrev_i32 v37, 31, v36 :: v_dual_ashrrev_i32 v39, 31, v38
	v_add_nc_u32_e32 v46, s9, v44
	s_delay_alu instid0(VALU_DEP_1) | instskip(NEXT) | instid1(VALU_DEP_1)
	v_add_nc_u32_e32 v48, s9, v46
	v_add_nc_u32_e32 v50, s9, v48
	s_delay_alu instid0(VALU_DEP_1) | instskip(NEXT) | instid1(VALU_DEP_1)
	v_dual_add_nc_u32 v52, s9, v50 :: v_dual_ashrrev_i32 v45, 31, v44
	v_dual_ashrrev_i32 v47, 31, v46 :: v_dual_add_nc_u32 v54, s9, v52
	s_delay_alu instid0(VALU_DEP_1)
	v_dual_ashrrev_i32 v53, 31, v52 :: v_dual_ashrrev_i32 v55, 31, v54
	v_add_nc_u32_e32 v56, s9, v54
	s_clause 0x3
	global_load_b32 v96, v44, s[6:7] scale_offset
	global_load_b32 v97, v46, s[6:7] scale_offset
	;; [unrolled: 1-line block ×4, first 2 shown]
	v_dual_ashrrev_i32 v49, 31, v48 :: v_dual_ashrrev_i32 v51, 31, v50
	v_add_nc_u32_e32 v58, s9, v56
	s_delay_alu instid0(VALU_DEP_1) | instskip(NEXT) | instid1(VALU_DEP_1)
	v_add_nc_u32_e32 v60, s9, v58
	v_add_nc_u32_e32 v62, s9, v60
	s_delay_alu instid0(VALU_DEP_1)
	v_add_nc_u32_e32 v64, s9, v62
	s_clause 0x3
	global_load_b32 v100, v52, s[6:7] scale_offset
	global_load_b32 v101, v54, s[6:7] scale_offset
	global_load_b32 v102, v56, s[6:7] scale_offset
	global_load_b32 v103, v58, s[6:7] scale_offset
	v_dual_ashrrev_i32 v57, 31, v56 :: v_dual_ashrrev_i32 v59, 31, v58
	v_dual_add_nc_u32 v66, s9, v64 :: v_dual_ashrrev_i32 v65, 31, v64
	s_delay_alu instid0(VALU_DEP_1)
	v_dual_ashrrev_i32 v67, 31, v66 :: v_dual_add_nc_u32 v68, s9, v66
	s_clause 0x3
	global_load_b32 v104, v60, s[6:7] scale_offset
	global_load_b32 v105, v62, s[6:7] scale_offset
	;; [unrolled: 1-line block ×4, first 2 shown]
	v_dual_ashrrev_i32 v61, 31, v60 :: v_dual_ashrrev_i32 v63, 31, v62
	v_add_nc_u32_e32 v70, s9, v68
	s_delay_alu instid0(VALU_DEP_1) | instskip(NEXT) | instid1(VALU_DEP_1)
	v_add_nc_u32_e32 v72, s9, v70
	v_add_nc_u32_e32 v74, s9, v72
	s_wait_loadcnt 0x18
	scratch_store_b128 off, v[76:79], off
	s_wait_xcnt 0x0
	v_dual_add_nc_u32 v76, s9, v74 :: v_dual_ashrrev_i32 v69, 31, v68
	s_delay_alu instid0(VALU_DEP_1)
	v_dual_ashrrev_i32 v71, 31, v70 :: v_dual_add_nc_u32 v78, s9, v76
	s_clause 0x3
	global_load_b32 v108, v68, s[6:7] scale_offset
	global_load_b32 v109, v70, s[6:7] scale_offset
	;; [unrolled: 1-line block ×4, first 2 shown]
	scratch_store_b128 off, v[80:83], off offset:16
	v_dual_ashrrev_i32 v77, 31, v76 :: v_dual_ashrrev_i32 v79, 31, v78
	s_wait_xcnt 0x0
	v_dual_add_nc_u32 v80, s9, v78 :: v_dual_ashrrev_i32 v73, 31, v72
	s_delay_alu instid0(VALU_DEP_1) | instskip(SKIP_4) | instid1(VALU_DEP_1)
	v_dual_ashrrev_i32 v75, 31, v74 :: v_dual_add_nc_u32 v82, s9, v80
	s_wait_loadcnt 0x18
	scratch_store_b128 off, v[84:87], off offset:32
	s_wait_xcnt 0x0
	v_add_nc_u32_e32 v84, s9, v82
	v_add_nc_u32_e32 v86, s9, v84
	s_wait_loadcnt 0x14
	scratch_store_b128 off, v[88:91], off offset:48
	s_wait_xcnt 0x0
	v_dual_add_nc_u32 v88, s9, v86 :: v_dual_ashrrev_i32 v81, 31, v80
	s_delay_alu instid0(VALU_DEP_1) | instskip(NEXT) | instid1(VALU_DEP_1)
	v_dual_ashrrev_i32 v83, 31, v82 :: v_dual_add_nc_u32 v90, s9, v88
	v_dual_ashrrev_i32 v89, 31, v88 :: v_dual_ashrrev_i32 v91, 31, v90
	s_wait_loadcnt 0x10
	scratch_store_b128 off, v[92:95], off offset:64
	s_wait_xcnt 0x0
	v_add_nc_u32_e32 v92, s9, v90
	s_clause 0x3
	global_load_b32 v112, v76, s[6:7] scale_offset
	global_load_b32 v113, v78, s[6:7] scale_offset
	;; [unrolled: 1-line block ×4, first 2 shown]
	v_dual_ashrrev_i32 v85, 31, v84 :: v_dual_ashrrev_i32 v87, 31, v86
	v_dual_add_nc_u32 v94, s9, v92 :: v_dual_ashrrev_i32 v93, 31, v92
	s_delay_alu instid0(VALU_DEP_1) | instskip(SKIP_4) | instid1(VALU_DEP_1)
	v_ashrrev_i32_e32 v95, 31, v94
	s_wait_loadcnt 0x10
	scratch_store_b128 off, v[96:99], off offset:80
	s_wait_xcnt 0x0
	v_dual_add_nc_u32 v96, s9, v94 :: v_dual_mov_b32 v98, -1.0
	v_ashrrev_i32_e32 v97, 31, v96
	s_wait_loadcnt 0xc
	scratch_store_b128 off, v[100:103], off offset:96
	s_wait_loadcnt 0x8
	scratch_store_b128 off, v[104:107], off offset:112
	;; [unrolled: 2-line block ×3, first 2 shown]
	s_clause 0x6
	global_load_b32 v100, v84, s[6:7] scale_offset
	global_load_b32 v101, v86, s[6:7] scale_offset
	;; [unrolled: 1-line block ×7, first 2 shown]
	s_wait_loadcnt 0x7
	scratch_store_b128 off, v[112:115], off offset:144
	s_wait_loadcnt 0x3
	scratch_store_b128 off, v[100:103], off offset:160
	s_wait_loadcnt 0x0
	scratch_store_b96 off, v[104:106], off offset:176
	s_cbranch_scc1 .LBB46_3
; %bb.2:
	scratch_load_b32 v1, v0, off scale_offset
	s_wait_loadcnt 0x0
	v_div_scale_f32 v7, null, v1, v1, 1.0
	s_delay_alu instid0(VALU_DEP_1) | instskip(SKIP_1) | instid1(TRANS32_DEP_1)
	v_rcp_f32_e32 v98, v7
	v_nop
	v_fma_f32 v99, -v7, v98, 1.0
	s_delay_alu instid0(VALU_DEP_1) | instskip(SKIP_2) | instid1(VALU_DEP_1)
	v_fmac_f32_e32 v98, v99, v98
	v_div_scale_f32 v99, vcc_lo, 1.0, v1, 1.0
	s_wait_xcnt 0x2
	v_mul_f32_e32 v100, v99, v98
	s_delay_alu instid0(VALU_DEP_1) | instskip(NEXT) | instid1(VALU_DEP_1)
	v_fma_f32 v101, -v7, v100, v99
	v_fmac_f32_e32 v100, v101, v98
	s_delay_alu instid0(VALU_DEP_1) | instskip(NEXT) | instid1(VALU_DEP_1)
	v_fma_f32 v7, -v7, v100, v99
	v_div_fmas_f32 v7, v7, v98, v100
	s_delay_alu instid0(VALU_DEP_1) | instskip(NEXT) | instid1(VALU_DEP_1)
	v_div_fixup_f32 v1, v7, v1, 1.0
	v_xor_b32_e32 v98, 0x80000000, v1
	scratch_store_b32 v0, v1, off scale_offset
.LBB46_3:
	s_wait_xcnt 0x0
	v_add_nc_u32_e32 v1, 0xc0, v6
	v_mov_b32_e32 v7, v6
	s_cmp_eq_u32 s4, 0x79
	s_mov_b32 s1, -1
	ds_store_b32 v6, v98
	s_cbranch_scc1 .LBB46_457
; %bb.4:
	scratch_load_b32 v98, off, off offset:180
	v_cmp_eq_u32_e64 s0, 46, v0
	s_movk_i32 s1, 0x50
	s_movk_i32 s2, 0x60
	;; [unrolled: 1-line block ×7, first 2 shown]
	s_wait_loadcnt 0x0
	ds_store_b32 v1, v98
	s_wait_storecnt_dscnt 0x0
	s_barrier_signal -1
	s_barrier_wait -1
	s_wait_xcnt 0x0
	s_and_saveexec_b32 s4, s0
	s_cbranch_execz .LBB46_10
; %bb.5:
	s_and_b32 vcc_lo, exec_lo, s3
	s_cbranch_vccz .LBB46_7
; %bb.6:
	scratch_load_b32 v98, v7, off
	ds_load_b32 v99, v1
	s_wait_loadcnt_dscnt 0x0
	v_mul_f32_e32 v98, v98, v99
	s_cbranch_execz .LBB46_8
	s_branch .LBB46_9
.LBB46_7:
                                        ; implicit-def: $vgpr98
.LBB46_8:
	ds_load_b32 v98, v1
.LBB46_9:
	v_mov_b32_e32 v99, 0
	ds_load_b32 v99, v99 offset:180
	s_wait_dscnt 0x0
	v_mul_f32_e32 v98, v98, v99
	scratch_store_b32 off, v98, off offset:180
.LBB46_10:
	s_wait_xcnt 0x0
	s_or_b32 exec_lo, exec_lo, s4
	scratch_load_b32 v98, off, off offset:176
	s_mov_b32 s11, s2
	v_cmp_lt_u32_e64 s2, 44, v0
	s_mov_b32 s4, 16
	s_mov_b32 s5, 32
	;; [unrolled: 1-line block ×5, first 2 shown]
	s_wait_loadcnt 0x0
	ds_store_b32 v1, v98
	s_wait_storecnt_dscnt 0x0
	s_barrier_signal -1
	s_barrier_wait -1
	s_wait_xcnt 0x0
	s_and_saveexec_b32 s1, s2
	s_cbranch_execz .LBB46_16
; %bb.11:
	s_and_not1_b32 vcc_lo, exec_lo, s3
	s_cbranch_vccnz .LBB46_13
; %bb.12:
	scratch_load_b32 v98, v7, off
	ds_load_b32 v99, v1
	s_wait_loadcnt_dscnt 0x0
	v_mul_f32_e32 v98, v98, v99
	s_cbranch_execz .LBB46_14
	s_branch .LBB46_15
.LBB46_13:
                                        ; implicit-def: $vgpr98
.LBB46_14:
	ds_load_b32 v98, v1
.LBB46_15:
	scratch_load_b32 v99, off, off offset:180
	v_mov_b32_e32 v100, 0
	ds_load_2addr_b32 v[100:101], v100 offset0:44 offset1:93
	s_wait_loadcnt_dscnt 0x0
	v_fma_f32 v99, v99, v101, v98
	s_delay_alu instid0(VALU_DEP_1) | instskip(NEXT) | instid1(VALU_DEP_1)
	v_cndmask_b32_e64 v98, v98, v99, s0
	v_mul_f32_e32 v98, v98, v100
	scratch_store_b32 off, v98, off offset:176
.LBB46_16:
	s_wait_xcnt 0x0
	s_or_b32 exec_lo, exec_lo, s1
	scratch_load_b32 v98, off, off offset:172
	v_cmp_lt_u32_e64 s1, 43, v0
	s_wait_loadcnt 0x0
	ds_store_b32 v1, v98
	s_wait_storecnt_dscnt 0x0
	s_barrier_signal -1
	s_barrier_wait -1
	s_wait_xcnt 0x0
	s_and_saveexec_b32 s0, s1
	s_cbranch_execz .LBB46_26
; %bb.17:
	s_and_not1_b32 vcc_lo, exec_lo, s3
	s_cbranch_vccnz .LBB46_19
; %bb.18:
	scratch_load_b32 v98, v7, off
	ds_load_b32 v99, v1
	s_wait_loadcnt_dscnt 0x0
	v_mul_f32_e32 v98, v98, v99
	s_cbranch_execz .LBB46_20
	s_branch .LBB46_21
.LBB46_19:
                                        ; implicit-def: $vgpr98
.LBB46_20:
	ds_load_b32 v98, v1
.LBB46_21:
	s_and_saveexec_b32 s17, s2
	s_cbranch_execz .LBB46_25
; %bb.22:
	v_subrev_nc_u32_e32 v99, 44, v0
	s_movk_i32 s18, 0x170
	s_mov_b32 s2, 0
.LBB46_23:                              ; =>This Inner Loop Header: Depth=1
	scratch_load_b32 v100, off, s16
	v_dual_mov_b32 v101, s18 :: v_dual_add_nc_u32 v99, -1, v99
	s_add_co_i32 s18, s18, 4
	s_wait_xcnt 0x0
	s_add_co_i32 s16, s16, 4
	ds_load_b32 v101, v101
	v_cmp_eq_u32_e32 vcc_lo, 0, v99
	s_or_b32 s2, vcc_lo, s2
	s_wait_loadcnt_dscnt 0x0
	v_fmac_f32_e32 v98, v100, v101
	s_and_not1_b32 exec_lo, exec_lo, s2
	s_cbranch_execnz .LBB46_23
; %bb.24:
	s_or_b32 exec_lo, exec_lo, s2
.LBB46_25:
	s_delay_alu instid0(SALU_CYCLE_1)
	s_or_b32 exec_lo, exec_lo, s17
	v_mov_b32_e32 v99, 0
	ds_load_b32 v99, v99 offset:172
	s_wait_dscnt 0x0
	v_mul_f32_e32 v98, v98, v99
	scratch_store_b32 off, v98, off offset:172
.LBB46_26:
	s_wait_xcnt 0x0
	s_or_b32 exec_lo, exec_lo, s0
	scratch_load_b32 v98, off, off offset:168
	v_cmp_lt_u32_e64 s0, 42, v0
	s_wait_loadcnt 0x0
	ds_store_b32 v1, v98
	s_wait_storecnt_dscnt 0x0
	s_barrier_signal -1
	s_barrier_wait -1
	s_wait_xcnt 0x0
	s_and_saveexec_b32 s2, s0
	s_cbranch_execz .LBB46_36
; %bb.27:
	s_and_not1_b32 vcc_lo, exec_lo, s3
	s_cbranch_vccnz .LBB46_29
; %bb.28:
	scratch_load_b32 v98, v7, off
	ds_load_b32 v99, v1
	s_wait_loadcnt_dscnt 0x0
	v_mul_f32_e32 v98, v98, v99
	s_cbranch_execz .LBB46_30
	s_branch .LBB46_31
.LBB46_29:
                                        ; implicit-def: $vgpr98
.LBB46_30:
	ds_load_b32 v98, v1
.LBB46_31:
	s_and_saveexec_b32 s16, s1
	s_cbranch_execz .LBB46_35
; %bb.32:
	v_subrev_nc_u32_e32 v99, 43, v0
	s_movk_i32 s1, 0xac
	s_movk_i32 s18, 0x16c
	s_mov_b32 s17, 0
.LBB46_33:                              ; =>This Inner Loop Header: Depth=1
	scratch_load_b32 v100, off, s1
	v_dual_mov_b32 v101, s18 :: v_dual_add_nc_u32 v99, -1, v99
	s_add_co_i32 s18, s18, 4
	s_wait_xcnt 0x0
	s_add_co_i32 s1, s1, 4
	ds_load_b32 v101, v101
	v_cmp_eq_u32_e32 vcc_lo, 0, v99
	s_or_b32 s17, vcc_lo, s17
	s_wait_loadcnt_dscnt 0x0
	v_fmac_f32_e32 v98, v100, v101
	s_and_not1_b32 exec_lo, exec_lo, s17
	s_cbranch_execnz .LBB46_33
; %bb.34:
	s_or_b32 exec_lo, exec_lo, s17
.LBB46_35:
	s_delay_alu instid0(SALU_CYCLE_1)
	s_or_b32 exec_lo, exec_lo, s16
	v_mov_b32_e32 v99, 0
	ds_load_b32 v99, v99 offset:168
	s_wait_dscnt 0x0
	v_mul_f32_e32 v98, v98, v99
	scratch_store_b32 off, v98, off offset:168
.LBB46_36:
	s_wait_xcnt 0x0
	s_or_b32 exec_lo, exec_lo, s2
	scratch_load_b32 v98, off, off offset:164
	v_cmp_lt_u32_e64 s1, 41, v0
	s_wait_loadcnt 0x0
	ds_store_b32 v1, v98
	s_wait_storecnt_dscnt 0x0
	s_barrier_signal -1
	s_barrier_wait -1
	s_wait_xcnt 0x0
	s_and_saveexec_b32 s2, s1
	s_cbranch_execz .LBB46_46
; %bb.37:
	s_and_not1_b32 vcc_lo, exec_lo, s3
	s_cbranch_vccnz .LBB46_39
; %bb.38:
	scratch_load_b32 v98, v7, off
	ds_load_b32 v99, v1
	s_wait_loadcnt_dscnt 0x0
	v_mul_f32_e32 v98, v98, v99
	s_cbranch_execz .LBB46_40
	s_branch .LBB46_41
.LBB46_39:
                                        ; implicit-def: $vgpr98
.LBB46_40:
	ds_load_b32 v98, v1
.LBB46_41:
	s_and_saveexec_b32 s16, s0
	s_cbranch_execz .LBB46_45
; %bb.42:
	v_subrev_nc_u32_e32 v99, 42, v0
	s_movk_i32 s0, 0xa8
	s_movk_i32 s18, 0x168
	s_mov_b32 s17, 0
.LBB46_43:                              ; =>This Inner Loop Header: Depth=1
	scratch_load_b32 v100, off, s0
	v_dual_mov_b32 v101, s18 :: v_dual_add_nc_u32 v99, -1, v99
	s_add_co_i32 s18, s18, 4
	s_wait_xcnt 0x0
	s_add_co_i32 s0, s0, 4
	ds_load_b32 v101, v101
	v_cmp_eq_u32_e32 vcc_lo, 0, v99
	s_or_b32 s17, vcc_lo, s17
	s_wait_loadcnt_dscnt 0x0
	v_fmac_f32_e32 v98, v100, v101
	s_and_not1_b32 exec_lo, exec_lo, s17
	s_cbranch_execnz .LBB46_43
; %bb.44:
	s_or_b32 exec_lo, exec_lo, s17
.LBB46_45:
	s_delay_alu instid0(SALU_CYCLE_1)
	s_or_b32 exec_lo, exec_lo, s16
	v_mov_b32_e32 v99, 0
	ds_load_b32 v99, v99 offset:164
	s_wait_dscnt 0x0
	v_mul_f32_e32 v98, v98, v99
	scratch_store_b32 off, v98, off offset:164
.LBB46_46:
	;; [unrolled: 58-line block ×3, first 2 shown]
	s_wait_xcnt 0x0
	s_or_b32 exec_lo, exec_lo, s2
	scratch_load_b32 v98, off, off offset:156
	v_cmp_lt_u32_e64 s1, 39, v0
	s_wait_loadcnt 0x0
	ds_store_b32 v1, v98
	s_wait_storecnt_dscnt 0x0
	s_barrier_signal -1
	s_barrier_wait -1
	s_wait_xcnt 0x0
	s_and_saveexec_b32 s2, s1
	s_cbranch_execz .LBB46_66
; %bb.57:
	s_and_not1_b32 vcc_lo, exec_lo, s3
	s_cbranch_vccnz .LBB46_59
; %bb.58:
	scratch_load_b32 v98, v7, off
	ds_load_b32 v99, v1
	s_wait_loadcnt_dscnt 0x0
	v_mul_f32_e32 v98, v98, v99
	s_cbranch_execz .LBB46_60
	s_branch .LBB46_61
.LBB46_59:
                                        ; implicit-def: $vgpr98
.LBB46_60:
	ds_load_b32 v98, v1
.LBB46_61:
	s_and_saveexec_b32 s16, s0
	s_cbranch_execz .LBB46_65
; %bb.62:
	v_subrev_nc_u32_e32 v99, 40, v0
	s_movk_i32 s17, 0x160
	s_mov_b32 s0, 0
.LBB46_63:                              ; =>This Inner Loop Header: Depth=1
	scratch_load_b32 v100, off, s15
	v_dual_mov_b32 v101, s17 :: v_dual_add_nc_u32 v99, -1, v99
	s_add_co_i32 s17, s17, 4
	s_wait_xcnt 0x0
	s_add_co_i32 s15, s15, 4
	ds_load_b32 v101, v101
	v_cmp_eq_u32_e32 vcc_lo, 0, v99
	s_or_b32 s0, vcc_lo, s0
	s_wait_loadcnt_dscnt 0x0
	v_fmac_f32_e32 v98, v100, v101
	s_and_not1_b32 exec_lo, exec_lo, s0
	s_cbranch_execnz .LBB46_63
; %bb.64:
	s_or_b32 exec_lo, exec_lo, s0
.LBB46_65:
	s_delay_alu instid0(SALU_CYCLE_1)
	s_or_b32 exec_lo, exec_lo, s16
	v_mov_b32_e32 v99, 0
	ds_load_b32 v99, v99 offset:156
	s_wait_dscnt 0x0
	v_mul_f32_e32 v98, v98, v99
	scratch_store_b32 off, v98, off offset:156
.LBB46_66:
	s_wait_xcnt 0x0
	s_or_b32 exec_lo, exec_lo, s2
	scratch_load_b32 v98, off, off offset:152
	v_cmp_lt_u32_e64 s0, 38, v0
	s_wait_loadcnt 0x0
	ds_store_b32 v1, v98
	s_wait_storecnt_dscnt 0x0
	s_barrier_signal -1
	s_barrier_wait -1
	s_wait_xcnt 0x0
	s_and_saveexec_b32 s2, s0
	s_cbranch_execz .LBB46_76
; %bb.67:
	s_and_not1_b32 vcc_lo, exec_lo, s3
	s_cbranch_vccnz .LBB46_69
; %bb.68:
	scratch_load_b32 v98, v7, off
	ds_load_b32 v99, v1
	s_wait_loadcnt_dscnt 0x0
	v_mul_f32_e32 v98, v98, v99
	s_cbranch_execz .LBB46_70
	s_branch .LBB46_71
.LBB46_69:
                                        ; implicit-def: $vgpr98
.LBB46_70:
	ds_load_b32 v98, v1
.LBB46_71:
	s_and_saveexec_b32 s15, s1
	s_cbranch_execz .LBB46_75
; %bb.72:
	v_subrev_nc_u32_e32 v99, 39, v0
	s_movk_i32 s1, 0x9c
	s_movk_i32 s17, 0x15c
	s_mov_b32 s16, 0
.LBB46_73:                              ; =>This Inner Loop Header: Depth=1
	scratch_load_b32 v100, off, s1
	v_dual_mov_b32 v101, s17 :: v_dual_add_nc_u32 v99, -1, v99
	s_add_co_i32 s17, s17, 4
	s_wait_xcnt 0x0
	s_add_co_i32 s1, s1, 4
	ds_load_b32 v101, v101
	v_cmp_eq_u32_e32 vcc_lo, 0, v99
	s_or_b32 s16, vcc_lo, s16
	s_wait_loadcnt_dscnt 0x0
	v_fmac_f32_e32 v98, v100, v101
	s_and_not1_b32 exec_lo, exec_lo, s16
	s_cbranch_execnz .LBB46_73
; %bb.74:
	s_or_b32 exec_lo, exec_lo, s16
.LBB46_75:
	s_delay_alu instid0(SALU_CYCLE_1)
	s_or_b32 exec_lo, exec_lo, s15
	v_mov_b32_e32 v99, 0
	ds_load_b32 v99, v99 offset:152
	s_wait_dscnt 0x0
	v_mul_f32_e32 v98, v98, v99
	scratch_store_b32 off, v98, off offset:152
.LBB46_76:
	s_wait_xcnt 0x0
	s_or_b32 exec_lo, exec_lo, s2
	scratch_load_b32 v98, off, off offset:148
	v_cmp_lt_u32_e64 s1, 37, v0
	s_wait_loadcnt 0x0
	ds_store_b32 v1, v98
	s_wait_storecnt_dscnt 0x0
	s_barrier_signal -1
	s_barrier_wait -1
	s_wait_xcnt 0x0
	s_and_saveexec_b32 s2, s1
	s_cbranch_execz .LBB46_86
; %bb.77:
	s_and_not1_b32 vcc_lo, exec_lo, s3
	s_cbranch_vccnz .LBB46_79
; %bb.78:
	scratch_load_b32 v98, v7, off
	ds_load_b32 v99, v1
	s_wait_loadcnt_dscnt 0x0
	v_mul_f32_e32 v98, v98, v99
	s_cbranch_execz .LBB46_80
	s_branch .LBB46_81
.LBB46_79:
                                        ; implicit-def: $vgpr98
.LBB46_80:
	ds_load_b32 v98, v1
.LBB46_81:
	s_and_saveexec_b32 s15, s0
	s_cbranch_execz .LBB46_85
; %bb.82:
	v_subrev_nc_u32_e32 v99, 38, v0
	s_movk_i32 s0, 0x98
	s_movk_i32 s17, 0x158
	s_mov_b32 s16, 0
.LBB46_83:                              ; =>This Inner Loop Header: Depth=1
	scratch_load_b32 v100, off, s0
	v_dual_mov_b32 v101, s17 :: v_dual_add_nc_u32 v99, -1, v99
	s_add_co_i32 s17, s17, 4
	s_wait_xcnt 0x0
	s_add_co_i32 s0, s0, 4
	ds_load_b32 v101, v101
	v_cmp_eq_u32_e32 vcc_lo, 0, v99
	s_or_b32 s16, vcc_lo, s16
	s_wait_loadcnt_dscnt 0x0
	v_fmac_f32_e32 v98, v100, v101
	s_and_not1_b32 exec_lo, exec_lo, s16
	s_cbranch_execnz .LBB46_83
; %bb.84:
	s_or_b32 exec_lo, exec_lo, s16
.LBB46_85:
	s_delay_alu instid0(SALU_CYCLE_1)
	s_or_b32 exec_lo, exec_lo, s15
	v_mov_b32_e32 v99, 0
	ds_load_b32 v99, v99 offset:148
	s_wait_dscnt 0x0
	v_mul_f32_e32 v98, v98, v99
	scratch_store_b32 off, v98, off offset:148
.LBB46_86:
	;; [unrolled: 58-line block ×3, first 2 shown]
	s_wait_xcnt 0x0
	s_or_b32 exec_lo, exec_lo, s2
	scratch_load_b32 v98, off, off offset:140
	v_cmp_lt_u32_e64 s1, 35, v0
	s_wait_loadcnt 0x0
	ds_store_b32 v1, v98
	s_wait_storecnt_dscnt 0x0
	s_barrier_signal -1
	s_barrier_wait -1
	s_wait_xcnt 0x0
	s_and_saveexec_b32 s2, s1
	s_cbranch_execz .LBB46_106
; %bb.97:
	s_and_not1_b32 vcc_lo, exec_lo, s3
	s_cbranch_vccnz .LBB46_99
; %bb.98:
	scratch_load_b32 v98, v7, off
	ds_load_b32 v99, v1
	s_wait_loadcnt_dscnt 0x0
	v_mul_f32_e32 v98, v98, v99
	s_cbranch_execz .LBB46_100
	s_branch .LBB46_101
.LBB46_99:
                                        ; implicit-def: $vgpr98
.LBB46_100:
	ds_load_b32 v98, v1
.LBB46_101:
	s_and_saveexec_b32 s15, s0
	s_cbranch_execz .LBB46_105
; %bb.102:
	v_subrev_nc_u32_e32 v99, 36, v0
	s_movk_i32 s16, 0x150
	s_mov_b32 s0, 0
.LBB46_103:                             ; =>This Inner Loop Header: Depth=1
	scratch_load_b32 v100, off, s14
	v_dual_mov_b32 v101, s16 :: v_dual_add_nc_u32 v99, -1, v99
	s_add_co_i32 s16, s16, 4
	s_wait_xcnt 0x0
	s_add_co_i32 s14, s14, 4
	ds_load_b32 v101, v101
	v_cmp_eq_u32_e32 vcc_lo, 0, v99
	s_or_b32 s0, vcc_lo, s0
	s_wait_loadcnt_dscnt 0x0
	v_fmac_f32_e32 v98, v100, v101
	s_and_not1_b32 exec_lo, exec_lo, s0
	s_cbranch_execnz .LBB46_103
; %bb.104:
	s_or_b32 exec_lo, exec_lo, s0
.LBB46_105:
	s_delay_alu instid0(SALU_CYCLE_1)
	s_or_b32 exec_lo, exec_lo, s15
	v_mov_b32_e32 v99, 0
	ds_load_b32 v99, v99 offset:140
	s_wait_dscnt 0x0
	v_mul_f32_e32 v98, v98, v99
	scratch_store_b32 off, v98, off offset:140
.LBB46_106:
	s_wait_xcnt 0x0
	s_or_b32 exec_lo, exec_lo, s2
	scratch_load_b32 v98, off, off offset:136
	v_cmp_lt_u32_e64 s0, 34, v0
	s_wait_loadcnt 0x0
	ds_store_b32 v1, v98
	s_wait_storecnt_dscnt 0x0
	s_barrier_signal -1
	s_barrier_wait -1
	s_wait_xcnt 0x0
	s_and_saveexec_b32 s2, s0
	s_cbranch_execz .LBB46_116
; %bb.107:
	s_and_not1_b32 vcc_lo, exec_lo, s3
	s_cbranch_vccnz .LBB46_109
; %bb.108:
	scratch_load_b32 v98, v7, off
	ds_load_b32 v99, v1
	s_wait_loadcnt_dscnt 0x0
	v_mul_f32_e32 v98, v98, v99
	s_cbranch_execz .LBB46_110
	s_branch .LBB46_111
.LBB46_109:
                                        ; implicit-def: $vgpr98
.LBB46_110:
	ds_load_b32 v98, v1
.LBB46_111:
	s_and_saveexec_b32 s14, s1
	s_cbranch_execz .LBB46_115
; %bb.112:
	v_subrev_nc_u32_e32 v99, 35, v0
	s_movk_i32 s1, 0x8c
	s_movk_i32 s16, 0x14c
	s_mov_b32 s15, 0
.LBB46_113:                             ; =>This Inner Loop Header: Depth=1
	scratch_load_b32 v100, off, s1
	v_dual_mov_b32 v101, s16 :: v_dual_add_nc_u32 v99, -1, v99
	s_add_co_i32 s16, s16, 4
	s_wait_xcnt 0x0
	s_add_co_i32 s1, s1, 4
	ds_load_b32 v101, v101
	v_cmp_eq_u32_e32 vcc_lo, 0, v99
	s_or_b32 s15, vcc_lo, s15
	s_wait_loadcnt_dscnt 0x0
	v_fmac_f32_e32 v98, v100, v101
	s_and_not1_b32 exec_lo, exec_lo, s15
	s_cbranch_execnz .LBB46_113
; %bb.114:
	s_or_b32 exec_lo, exec_lo, s15
.LBB46_115:
	s_delay_alu instid0(SALU_CYCLE_1)
	s_or_b32 exec_lo, exec_lo, s14
	v_mov_b32_e32 v99, 0
	ds_load_b32 v99, v99 offset:136
	s_wait_dscnt 0x0
	v_mul_f32_e32 v98, v98, v99
	scratch_store_b32 off, v98, off offset:136
.LBB46_116:
	s_wait_xcnt 0x0
	s_or_b32 exec_lo, exec_lo, s2
	scratch_load_b32 v98, off, off offset:132
	v_cmp_lt_u32_e64 s1, 33, v0
	s_wait_loadcnt 0x0
	ds_store_b32 v1, v98
	s_wait_storecnt_dscnt 0x0
	s_barrier_signal -1
	s_barrier_wait -1
	s_wait_xcnt 0x0
	s_and_saveexec_b32 s2, s1
	s_cbranch_execz .LBB46_126
; %bb.117:
	s_and_not1_b32 vcc_lo, exec_lo, s3
	s_cbranch_vccnz .LBB46_119
; %bb.118:
	scratch_load_b32 v98, v7, off
	ds_load_b32 v99, v1
	s_wait_loadcnt_dscnt 0x0
	v_mul_f32_e32 v98, v98, v99
	s_cbranch_execz .LBB46_120
	s_branch .LBB46_121
.LBB46_119:
                                        ; implicit-def: $vgpr98
.LBB46_120:
	ds_load_b32 v98, v1
.LBB46_121:
	s_and_saveexec_b32 s14, s0
	s_cbranch_execz .LBB46_125
; %bb.122:
	v_subrev_nc_u32_e32 v99, 34, v0
	s_movk_i32 s0, 0x88
	s_movk_i32 s16, 0x148
	s_mov_b32 s15, 0
.LBB46_123:                             ; =>This Inner Loop Header: Depth=1
	scratch_load_b32 v100, off, s0
	v_dual_mov_b32 v101, s16 :: v_dual_add_nc_u32 v99, -1, v99
	s_add_co_i32 s16, s16, 4
	s_wait_xcnt 0x0
	s_add_co_i32 s0, s0, 4
	ds_load_b32 v101, v101
	v_cmp_eq_u32_e32 vcc_lo, 0, v99
	s_or_b32 s15, vcc_lo, s15
	s_wait_loadcnt_dscnt 0x0
	v_fmac_f32_e32 v98, v100, v101
	s_and_not1_b32 exec_lo, exec_lo, s15
	s_cbranch_execnz .LBB46_123
; %bb.124:
	s_or_b32 exec_lo, exec_lo, s15
.LBB46_125:
	s_delay_alu instid0(SALU_CYCLE_1)
	s_or_b32 exec_lo, exec_lo, s14
	v_mov_b32_e32 v99, 0
	ds_load_b32 v99, v99 offset:132
	s_wait_dscnt 0x0
	v_mul_f32_e32 v98, v98, v99
	scratch_store_b32 off, v98, off offset:132
.LBB46_126:
	s_wait_xcnt 0x0
	s_or_b32 exec_lo, exec_lo, s2
	scratch_load_b32 v98, off, off offset:128
	v_cmp_lt_u32_e64 s0, 32, v0
	s_wait_loadcnt 0x0
	ds_store_b32 v1, v98
	s_wait_storecnt_dscnt 0x0
	s_barrier_signal -1
	s_barrier_wait -1
	s_wait_xcnt 0x0
	s_and_saveexec_b32 s2, s0
	s_cbranch_execz .LBB46_136
; %bb.127:
	s_and_not1_b32 vcc_lo, exec_lo, s3
	s_cbranch_vccnz .LBB46_129
; %bb.128:
	scratch_load_b32 v98, v7, off
	ds_load_b32 v99, v1
	s_wait_loadcnt_dscnt 0x0
	v_mul_f32_e32 v98, v98, v99
	s_cbranch_execz .LBB46_130
	s_branch .LBB46_131
.LBB46_129:
                                        ; implicit-def: $vgpr98
.LBB46_130:
	ds_load_b32 v98, v1
.LBB46_131:
	s_and_saveexec_b32 s14, s1
	s_cbranch_execz .LBB46_135
; %bb.132:
	v_subrev_nc_u32_e32 v99, 33, v0
	s_movk_i32 s1, 0x84
	s_movk_i32 s16, 0x144
	s_mov_b32 s15, 0
.LBB46_133:                             ; =>This Inner Loop Header: Depth=1
	scratch_load_b32 v100, off, s1
	v_dual_mov_b32 v101, s16 :: v_dual_add_nc_u32 v99, -1, v99
	s_add_co_i32 s16, s16, 4
	s_wait_xcnt 0x0
	s_add_co_i32 s1, s1, 4
	ds_load_b32 v101, v101
	v_cmp_eq_u32_e32 vcc_lo, 0, v99
	s_or_b32 s15, vcc_lo, s15
	s_wait_loadcnt_dscnt 0x0
	v_fmac_f32_e32 v98, v100, v101
	s_and_not1_b32 exec_lo, exec_lo, s15
	s_cbranch_execnz .LBB46_133
; %bb.134:
	s_or_b32 exec_lo, exec_lo, s15
.LBB46_135:
	s_delay_alu instid0(SALU_CYCLE_1)
	s_or_b32 exec_lo, exec_lo, s14
	v_mov_b32_e32 v99, 0
	ds_load_b32 v99, v99 offset:128
	s_wait_dscnt 0x0
	v_mul_f32_e32 v98, v98, v99
	scratch_store_b32 off, v98, off offset:128
.LBB46_136:
	s_wait_xcnt 0x0
	s_or_b32 exec_lo, exec_lo, s2
	scratch_load_b32 v98, off, off offset:124
	v_cmp_lt_u32_e64 s1, 31, v0
	s_wait_loadcnt 0x0
	ds_store_b32 v1, v98
	s_wait_storecnt_dscnt 0x0
	s_barrier_signal -1
	s_barrier_wait -1
	s_wait_xcnt 0x0
	s_and_saveexec_b32 s2, s1
	s_cbranch_execz .LBB46_146
; %bb.137:
	s_and_not1_b32 vcc_lo, exec_lo, s3
	s_cbranch_vccnz .LBB46_139
; %bb.138:
	scratch_load_b32 v98, v7, off
	ds_load_b32 v99, v1
	s_wait_loadcnt_dscnt 0x0
	v_mul_f32_e32 v98, v98, v99
	s_cbranch_execz .LBB46_140
	s_branch .LBB46_141
.LBB46_139:
                                        ; implicit-def: $vgpr98
.LBB46_140:
	ds_load_b32 v98, v1
.LBB46_141:
	s_and_saveexec_b32 s14, s0
	s_cbranch_execz .LBB46_145
; %bb.142:
	v_subrev_nc_u32_e32 v99, 32, v0
	s_movk_i32 s15, 0x140
	s_mov_b32 s0, 0
.LBB46_143:                             ; =>This Inner Loop Header: Depth=1
	scratch_load_b32 v100, off, s13
	v_dual_mov_b32 v101, s15 :: v_dual_add_nc_u32 v99, -1, v99
	s_add_co_i32 s15, s15, 4
	s_wait_xcnt 0x0
	s_add_co_i32 s13, s13, 4
	ds_load_b32 v101, v101
	v_cmp_eq_u32_e32 vcc_lo, 0, v99
	s_or_b32 s0, vcc_lo, s0
	s_wait_loadcnt_dscnt 0x0
	v_fmac_f32_e32 v98, v100, v101
	s_and_not1_b32 exec_lo, exec_lo, s0
	s_cbranch_execnz .LBB46_143
; %bb.144:
	s_or_b32 exec_lo, exec_lo, s0
.LBB46_145:
	s_delay_alu instid0(SALU_CYCLE_1)
	s_or_b32 exec_lo, exec_lo, s14
	v_mov_b32_e32 v99, 0
	ds_load_b32 v99, v99 offset:124
	s_wait_dscnt 0x0
	v_mul_f32_e32 v98, v98, v99
	scratch_store_b32 off, v98, off offset:124
.LBB46_146:
	s_wait_xcnt 0x0
	s_or_b32 exec_lo, exec_lo, s2
	scratch_load_b32 v98, off, off offset:120
	v_cmp_lt_u32_e64 s0, 30, v0
	s_wait_loadcnt 0x0
	ds_store_b32 v1, v98
	s_wait_storecnt_dscnt 0x0
	s_barrier_signal -1
	s_barrier_wait -1
	s_wait_xcnt 0x0
	s_and_saveexec_b32 s2, s0
	s_cbranch_execz .LBB46_156
; %bb.147:
	s_and_not1_b32 vcc_lo, exec_lo, s3
	s_cbranch_vccnz .LBB46_149
; %bb.148:
	scratch_load_b32 v98, v7, off
	ds_load_b32 v99, v1
	s_wait_loadcnt_dscnt 0x0
	v_mul_f32_e32 v98, v98, v99
	s_cbranch_execz .LBB46_150
	s_branch .LBB46_151
.LBB46_149:
                                        ; implicit-def: $vgpr98
.LBB46_150:
	ds_load_b32 v98, v1
.LBB46_151:
	s_and_saveexec_b32 s13, s1
	s_cbranch_execz .LBB46_155
; %bb.152:
	v_subrev_nc_u32_e32 v99, 31, v0
	s_movk_i32 s1, 0x7c
	s_movk_i32 s15, 0x13c
	s_mov_b32 s14, 0
.LBB46_153:                             ; =>This Inner Loop Header: Depth=1
	scratch_load_b32 v100, off, s1
	v_dual_mov_b32 v101, s15 :: v_dual_add_nc_u32 v99, -1, v99
	s_add_co_i32 s15, s15, 4
	s_wait_xcnt 0x0
	s_add_co_i32 s1, s1, 4
	ds_load_b32 v101, v101
	v_cmp_eq_u32_e32 vcc_lo, 0, v99
	s_or_b32 s14, vcc_lo, s14
	s_wait_loadcnt_dscnt 0x0
	v_fmac_f32_e32 v98, v100, v101
	s_and_not1_b32 exec_lo, exec_lo, s14
	s_cbranch_execnz .LBB46_153
; %bb.154:
	s_or_b32 exec_lo, exec_lo, s14
.LBB46_155:
	s_delay_alu instid0(SALU_CYCLE_1)
	s_or_b32 exec_lo, exec_lo, s13
	v_mov_b32_e32 v99, 0
	ds_load_b32 v99, v99 offset:120
	s_wait_dscnt 0x0
	v_mul_f32_e32 v98, v98, v99
	scratch_store_b32 off, v98, off offset:120
.LBB46_156:
	s_wait_xcnt 0x0
	s_or_b32 exec_lo, exec_lo, s2
	scratch_load_b32 v98, off, off offset:116
	v_cmp_lt_u32_e64 s1, 29, v0
	s_wait_loadcnt 0x0
	ds_store_b32 v1, v98
	s_wait_storecnt_dscnt 0x0
	s_barrier_signal -1
	s_barrier_wait -1
	s_wait_xcnt 0x0
	s_and_saveexec_b32 s2, s1
	s_cbranch_execz .LBB46_166
; %bb.157:
	s_and_not1_b32 vcc_lo, exec_lo, s3
	s_cbranch_vccnz .LBB46_159
; %bb.158:
	scratch_load_b32 v98, v7, off
	ds_load_b32 v99, v1
	s_wait_loadcnt_dscnt 0x0
	v_mul_f32_e32 v98, v98, v99
	s_cbranch_execz .LBB46_160
	s_branch .LBB46_161
.LBB46_159:
                                        ; implicit-def: $vgpr98
.LBB46_160:
	ds_load_b32 v98, v1
.LBB46_161:
	s_and_saveexec_b32 s13, s0
	s_cbranch_execz .LBB46_165
; %bb.162:
	v_subrev_nc_u32_e32 v99, 30, v0
	s_movk_i32 s0, 0x78
	s_movk_i32 s15, 0x138
	s_mov_b32 s14, 0
.LBB46_163:                             ; =>This Inner Loop Header: Depth=1
	scratch_load_b32 v100, off, s0
	v_dual_mov_b32 v101, s15 :: v_dual_add_nc_u32 v99, -1, v99
	s_add_co_i32 s15, s15, 4
	s_wait_xcnt 0x0
	s_add_co_i32 s0, s0, 4
	ds_load_b32 v101, v101
	v_cmp_eq_u32_e32 vcc_lo, 0, v99
	s_or_b32 s14, vcc_lo, s14
	s_wait_loadcnt_dscnt 0x0
	v_fmac_f32_e32 v98, v100, v101
	s_and_not1_b32 exec_lo, exec_lo, s14
	s_cbranch_execnz .LBB46_163
; %bb.164:
	s_or_b32 exec_lo, exec_lo, s14
.LBB46_165:
	s_delay_alu instid0(SALU_CYCLE_1)
	s_or_b32 exec_lo, exec_lo, s13
	v_mov_b32_e32 v99, 0
	ds_load_b32 v99, v99 offset:116
	s_wait_dscnt 0x0
	v_mul_f32_e32 v98, v98, v99
	scratch_store_b32 off, v98, off offset:116
.LBB46_166:
	;; [unrolled: 58-line block ×3, first 2 shown]
	s_wait_xcnt 0x0
	s_or_b32 exec_lo, exec_lo, s2
	scratch_load_b32 v98, off, off offset:108
	v_cmp_lt_u32_e64 s1, 27, v0
	s_wait_loadcnt 0x0
	ds_store_b32 v1, v98
	s_wait_storecnt_dscnt 0x0
	s_barrier_signal -1
	s_barrier_wait -1
	s_wait_xcnt 0x0
	s_and_saveexec_b32 s2, s1
	s_cbranch_execz .LBB46_186
; %bb.177:
	s_and_not1_b32 vcc_lo, exec_lo, s3
	s_cbranch_vccnz .LBB46_179
; %bb.178:
	scratch_load_b32 v98, v7, off
	ds_load_b32 v99, v1
	s_wait_loadcnt_dscnt 0x0
	v_mul_f32_e32 v98, v98, v99
	s_cbranch_execz .LBB46_180
	s_branch .LBB46_181
.LBB46_179:
                                        ; implicit-def: $vgpr98
.LBB46_180:
	ds_load_b32 v98, v1
.LBB46_181:
	s_and_saveexec_b32 s13, s0
	s_cbranch_execz .LBB46_185
; %bb.182:
	v_subrev_nc_u32_e32 v99, 28, v0
	s_movk_i32 s14, 0x130
	s_mov_b32 s0, 0
.LBB46_183:                             ; =>This Inner Loop Header: Depth=1
	scratch_load_b32 v100, off, s12
	v_dual_mov_b32 v101, s14 :: v_dual_add_nc_u32 v99, -1, v99
	s_add_co_i32 s14, s14, 4
	s_wait_xcnt 0x0
	s_add_co_i32 s12, s12, 4
	ds_load_b32 v101, v101
	v_cmp_eq_u32_e32 vcc_lo, 0, v99
	s_or_b32 s0, vcc_lo, s0
	s_wait_loadcnt_dscnt 0x0
	v_fmac_f32_e32 v98, v100, v101
	s_and_not1_b32 exec_lo, exec_lo, s0
	s_cbranch_execnz .LBB46_183
; %bb.184:
	s_or_b32 exec_lo, exec_lo, s0
.LBB46_185:
	s_delay_alu instid0(SALU_CYCLE_1)
	s_or_b32 exec_lo, exec_lo, s13
	v_mov_b32_e32 v99, 0
	ds_load_b32 v99, v99 offset:108
	s_wait_dscnt 0x0
	v_mul_f32_e32 v98, v98, v99
	scratch_store_b32 off, v98, off offset:108
.LBB46_186:
	s_wait_xcnt 0x0
	s_or_b32 exec_lo, exec_lo, s2
	scratch_load_b32 v98, off, off offset:104
	v_cmp_lt_u32_e64 s0, 26, v0
	s_wait_loadcnt 0x0
	ds_store_b32 v1, v98
	s_wait_storecnt_dscnt 0x0
	s_barrier_signal -1
	s_barrier_wait -1
	s_wait_xcnt 0x0
	s_and_saveexec_b32 s2, s0
	s_cbranch_execz .LBB46_196
; %bb.187:
	s_and_not1_b32 vcc_lo, exec_lo, s3
	s_cbranch_vccnz .LBB46_189
; %bb.188:
	scratch_load_b32 v98, v7, off
	ds_load_b32 v99, v1
	s_wait_loadcnt_dscnt 0x0
	v_mul_f32_e32 v98, v98, v99
	s_cbranch_execz .LBB46_190
	s_branch .LBB46_191
.LBB46_189:
                                        ; implicit-def: $vgpr98
.LBB46_190:
	ds_load_b32 v98, v1
.LBB46_191:
	s_and_saveexec_b32 s12, s1
	s_cbranch_execz .LBB46_195
; %bb.192:
	v_subrev_nc_u32_e32 v99, 27, v0
	s_movk_i32 s1, 0x6c
	s_movk_i32 s14, 0x12c
	s_mov_b32 s13, 0
.LBB46_193:                             ; =>This Inner Loop Header: Depth=1
	scratch_load_b32 v100, off, s1
	v_dual_mov_b32 v101, s14 :: v_dual_add_nc_u32 v99, -1, v99
	s_add_co_i32 s14, s14, 4
	s_wait_xcnt 0x0
	s_add_co_i32 s1, s1, 4
	ds_load_b32 v101, v101
	v_cmp_eq_u32_e32 vcc_lo, 0, v99
	s_or_b32 s13, vcc_lo, s13
	s_wait_loadcnt_dscnt 0x0
	v_fmac_f32_e32 v98, v100, v101
	s_and_not1_b32 exec_lo, exec_lo, s13
	s_cbranch_execnz .LBB46_193
; %bb.194:
	s_or_b32 exec_lo, exec_lo, s13
.LBB46_195:
	s_delay_alu instid0(SALU_CYCLE_1)
	s_or_b32 exec_lo, exec_lo, s12
	v_mov_b32_e32 v99, 0
	ds_load_b32 v99, v99 offset:104
	s_wait_dscnt 0x0
	v_mul_f32_e32 v98, v98, v99
	scratch_store_b32 off, v98, off offset:104
.LBB46_196:
	s_wait_xcnt 0x0
	s_or_b32 exec_lo, exec_lo, s2
	scratch_load_b32 v98, off, off offset:100
	v_cmp_lt_u32_e64 s1, 25, v0
	s_wait_loadcnt 0x0
	ds_store_b32 v1, v98
	s_wait_storecnt_dscnt 0x0
	s_barrier_signal -1
	s_barrier_wait -1
	s_wait_xcnt 0x0
	s_and_saveexec_b32 s2, s1
	s_cbranch_execz .LBB46_206
; %bb.197:
	s_and_not1_b32 vcc_lo, exec_lo, s3
	s_cbranch_vccnz .LBB46_199
; %bb.198:
	scratch_load_b32 v98, v7, off
	ds_load_b32 v99, v1
	s_wait_loadcnt_dscnt 0x0
	v_mul_f32_e32 v98, v98, v99
	s_cbranch_execz .LBB46_200
	s_branch .LBB46_201
.LBB46_199:
                                        ; implicit-def: $vgpr98
.LBB46_200:
	ds_load_b32 v98, v1
.LBB46_201:
	s_and_saveexec_b32 s12, s0
	s_cbranch_execz .LBB46_205
; %bb.202:
	v_subrev_nc_u32_e32 v99, 26, v0
	s_movk_i32 s0, 0x68
	s_movk_i32 s14, 0x128
	s_mov_b32 s13, 0
.LBB46_203:                             ; =>This Inner Loop Header: Depth=1
	scratch_load_b32 v100, off, s0
	v_dual_mov_b32 v101, s14 :: v_dual_add_nc_u32 v99, -1, v99
	s_add_co_i32 s14, s14, 4
	s_wait_xcnt 0x0
	s_add_co_i32 s0, s0, 4
	ds_load_b32 v101, v101
	v_cmp_eq_u32_e32 vcc_lo, 0, v99
	s_or_b32 s13, vcc_lo, s13
	s_wait_loadcnt_dscnt 0x0
	v_fmac_f32_e32 v98, v100, v101
	s_and_not1_b32 exec_lo, exec_lo, s13
	s_cbranch_execnz .LBB46_203
; %bb.204:
	s_or_b32 exec_lo, exec_lo, s13
.LBB46_205:
	s_delay_alu instid0(SALU_CYCLE_1)
	s_or_b32 exec_lo, exec_lo, s12
	v_mov_b32_e32 v99, 0
	ds_load_b32 v99, v99 offset:100
	s_wait_dscnt 0x0
	v_mul_f32_e32 v98, v98, v99
	scratch_store_b32 off, v98, off offset:100
.LBB46_206:
	;; [unrolled: 58-line block ×3, first 2 shown]
	s_wait_xcnt 0x0
	s_or_b32 exec_lo, exec_lo, s2
	scratch_load_b32 v98, off, off offset:92
	v_cmp_lt_u32_e64 s1, 23, v0
	s_wait_loadcnt 0x0
	ds_store_b32 v1, v98
	s_wait_storecnt_dscnt 0x0
	s_barrier_signal -1
	s_barrier_wait -1
	s_wait_xcnt 0x0
	s_and_saveexec_b32 s2, s1
	s_cbranch_execz .LBB46_226
; %bb.217:
	s_and_not1_b32 vcc_lo, exec_lo, s3
	s_cbranch_vccnz .LBB46_219
; %bb.218:
	scratch_load_b32 v98, v7, off
	ds_load_b32 v99, v1
	s_wait_loadcnt_dscnt 0x0
	v_mul_f32_e32 v98, v98, v99
	s_cbranch_execz .LBB46_220
	s_branch .LBB46_221
.LBB46_219:
                                        ; implicit-def: $vgpr98
.LBB46_220:
	ds_load_b32 v98, v1
.LBB46_221:
	s_and_saveexec_b32 s12, s0
	s_cbranch_execz .LBB46_225
; %bb.222:
	v_subrev_nc_u32_e32 v99, 24, v0
	s_movk_i32 s13, 0x120
	s_mov_b32 s0, 0
.LBB46_223:                             ; =>This Inner Loop Header: Depth=1
	scratch_load_b32 v100, off, s11
	v_dual_mov_b32 v101, s13 :: v_dual_add_nc_u32 v99, -1, v99
	s_add_co_i32 s13, s13, 4
	s_wait_xcnt 0x0
	s_add_co_i32 s11, s11, 4
	ds_load_b32 v101, v101
	v_cmp_eq_u32_e32 vcc_lo, 0, v99
	s_or_b32 s0, vcc_lo, s0
	s_wait_loadcnt_dscnt 0x0
	v_fmac_f32_e32 v98, v100, v101
	s_and_not1_b32 exec_lo, exec_lo, s0
	s_cbranch_execnz .LBB46_223
; %bb.224:
	s_or_b32 exec_lo, exec_lo, s0
.LBB46_225:
	s_delay_alu instid0(SALU_CYCLE_1)
	s_or_b32 exec_lo, exec_lo, s12
	v_mov_b32_e32 v99, 0
	ds_load_b32 v99, v99 offset:92
	s_wait_dscnt 0x0
	v_mul_f32_e32 v98, v98, v99
	scratch_store_b32 off, v98, off offset:92
.LBB46_226:
	s_wait_xcnt 0x0
	s_or_b32 exec_lo, exec_lo, s2
	scratch_load_b32 v98, off, off offset:88
	v_cmp_lt_u32_e64 s0, 22, v0
	s_wait_loadcnt 0x0
	ds_store_b32 v1, v98
	s_wait_storecnt_dscnt 0x0
	s_barrier_signal -1
	s_barrier_wait -1
	s_wait_xcnt 0x0
	s_and_saveexec_b32 s2, s0
	s_cbranch_execz .LBB46_236
; %bb.227:
	s_and_not1_b32 vcc_lo, exec_lo, s3
	s_cbranch_vccnz .LBB46_229
; %bb.228:
	scratch_load_b32 v98, v7, off
	ds_load_b32 v99, v1
	s_wait_loadcnt_dscnt 0x0
	v_mul_f32_e32 v98, v98, v99
	s_cbranch_execz .LBB46_230
	s_branch .LBB46_231
.LBB46_229:
                                        ; implicit-def: $vgpr98
.LBB46_230:
	ds_load_b32 v98, v1
.LBB46_231:
	s_and_saveexec_b32 s11, s1
	s_cbranch_execz .LBB46_235
; %bb.232:
	v_subrev_nc_u32_e32 v99, 23, v0
	s_movk_i32 s1, 0x5c
	s_movk_i32 s13, 0x11c
	s_mov_b32 s12, 0
.LBB46_233:                             ; =>This Inner Loop Header: Depth=1
	scratch_load_b32 v100, off, s1
	v_dual_mov_b32 v101, s13 :: v_dual_add_nc_u32 v99, -1, v99
	s_add_co_i32 s13, s13, 4
	s_wait_xcnt 0x0
	s_add_co_i32 s1, s1, 4
	ds_load_b32 v101, v101
	v_cmp_eq_u32_e32 vcc_lo, 0, v99
	s_or_b32 s12, vcc_lo, s12
	s_wait_loadcnt_dscnt 0x0
	v_fmac_f32_e32 v98, v100, v101
	s_and_not1_b32 exec_lo, exec_lo, s12
	s_cbranch_execnz .LBB46_233
; %bb.234:
	s_or_b32 exec_lo, exec_lo, s12
.LBB46_235:
	s_delay_alu instid0(SALU_CYCLE_1)
	s_or_b32 exec_lo, exec_lo, s11
	v_mov_b32_e32 v99, 0
	ds_load_b32 v99, v99 offset:88
	s_wait_dscnt 0x0
	v_mul_f32_e32 v98, v98, v99
	scratch_store_b32 off, v98, off offset:88
.LBB46_236:
	s_wait_xcnt 0x0
	s_or_b32 exec_lo, exec_lo, s2
	scratch_load_b32 v98, off, off offset:84
	v_cmp_lt_u32_e64 s1, 21, v0
	s_wait_loadcnt 0x0
	ds_store_b32 v1, v98
	s_wait_storecnt_dscnt 0x0
	s_barrier_signal -1
	s_barrier_wait -1
	s_wait_xcnt 0x0
	s_and_saveexec_b32 s2, s1
	s_cbranch_execz .LBB46_246
; %bb.237:
	s_and_not1_b32 vcc_lo, exec_lo, s3
	s_cbranch_vccnz .LBB46_239
; %bb.238:
	scratch_load_b32 v98, v7, off
	ds_load_b32 v99, v1
	s_wait_loadcnt_dscnt 0x0
	v_mul_f32_e32 v98, v98, v99
	s_cbranch_execz .LBB46_240
	s_branch .LBB46_241
.LBB46_239:
                                        ; implicit-def: $vgpr98
.LBB46_240:
	ds_load_b32 v98, v1
.LBB46_241:
	s_and_saveexec_b32 s11, s0
	s_cbranch_execz .LBB46_245
; %bb.242:
	v_subrev_nc_u32_e32 v99, 22, v0
	s_movk_i32 s0, 0x58
	s_movk_i32 s13, 0x118
	s_mov_b32 s12, 0
.LBB46_243:                             ; =>This Inner Loop Header: Depth=1
	scratch_load_b32 v100, off, s0
	v_dual_mov_b32 v101, s13 :: v_dual_add_nc_u32 v99, -1, v99
	s_add_co_i32 s13, s13, 4
	s_wait_xcnt 0x0
	s_add_co_i32 s0, s0, 4
	ds_load_b32 v101, v101
	v_cmp_eq_u32_e32 vcc_lo, 0, v99
	s_or_b32 s12, vcc_lo, s12
	s_wait_loadcnt_dscnt 0x0
	v_fmac_f32_e32 v98, v100, v101
	s_and_not1_b32 exec_lo, exec_lo, s12
	s_cbranch_execnz .LBB46_243
; %bb.244:
	s_or_b32 exec_lo, exec_lo, s12
.LBB46_245:
	s_delay_alu instid0(SALU_CYCLE_1)
	s_or_b32 exec_lo, exec_lo, s11
	v_mov_b32_e32 v99, 0
	ds_load_b32 v99, v99 offset:84
	s_wait_dscnt 0x0
	v_mul_f32_e32 v98, v98, v99
	scratch_store_b32 off, v98, off offset:84
.LBB46_246:
	;; [unrolled: 58-line block ×3, first 2 shown]
	s_wait_xcnt 0x0
	s_or_b32 exec_lo, exec_lo, s2
	scratch_load_b32 v98, off, off offset:76
	v_cmp_lt_u32_e64 s1, 19, v0
	s_wait_loadcnt 0x0
	ds_store_b32 v1, v98
	s_wait_storecnt_dscnt 0x0
	s_barrier_signal -1
	s_barrier_wait -1
	s_wait_xcnt 0x0
	s_and_saveexec_b32 s2, s1
	s_cbranch_execz .LBB46_266
; %bb.257:
	s_and_not1_b32 vcc_lo, exec_lo, s3
	s_cbranch_vccnz .LBB46_259
; %bb.258:
	scratch_load_b32 v98, v7, off
	ds_load_b32 v99, v1
	s_wait_loadcnt_dscnt 0x0
	v_mul_f32_e32 v98, v98, v99
	s_cbranch_execz .LBB46_260
	s_branch .LBB46_261
.LBB46_259:
                                        ; implicit-def: $vgpr98
.LBB46_260:
	ds_load_b32 v98, v1
.LBB46_261:
	s_and_saveexec_b32 s11, s0
	s_cbranch_execz .LBB46_265
; %bb.262:
	v_subrev_nc_u32_e32 v99, 20, v0
	s_movk_i32 s12, 0x110
	s_mov_b32 s0, 0
.LBB46_263:                             ; =>This Inner Loop Header: Depth=1
	scratch_load_b32 v100, off, s10
	v_dual_mov_b32 v101, s12 :: v_dual_add_nc_u32 v99, -1, v99
	s_add_co_i32 s12, s12, 4
	s_wait_xcnt 0x0
	s_add_co_i32 s10, s10, 4
	ds_load_b32 v101, v101
	v_cmp_eq_u32_e32 vcc_lo, 0, v99
	s_or_b32 s0, vcc_lo, s0
	s_wait_loadcnt_dscnt 0x0
	v_fmac_f32_e32 v98, v100, v101
	s_and_not1_b32 exec_lo, exec_lo, s0
	s_cbranch_execnz .LBB46_263
; %bb.264:
	s_or_b32 exec_lo, exec_lo, s0
.LBB46_265:
	s_delay_alu instid0(SALU_CYCLE_1)
	s_or_b32 exec_lo, exec_lo, s11
	v_mov_b32_e32 v99, 0
	ds_load_b32 v99, v99 offset:76
	s_wait_dscnt 0x0
	v_mul_f32_e32 v98, v98, v99
	scratch_store_b32 off, v98, off offset:76
.LBB46_266:
	s_wait_xcnt 0x0
	s_or_b32 exec_lo, exec_lo, s2
	scratch_load_b32 v98, off, off offset:72
	v_cmp_lt_u32_e64 s0, 18, v0
	s_wait_loadcnt 0x0
	ds_store_b32 v1, v98
	s_wait_storecnt_dscnt 0x0
	s_barrier_signal -1
	s_barrier_wait -1
	s_wait_xcnt 0x0
	s_and_saveexec_b32 s2, s0
	s_cbranch_execz .LBB46_276
; %bb.267:
	s_and_not1_b32 vcc_lo, exec_lo, s3
	s_cbranch_vccnz .LBB46_269
; %bb.268:
	scratch_load_b32 v98, v7, off
	ds_load_b32 v99, v1
	s_wait_loadcnt_dscnt 0x0
	v_mul_f32_e32 v98, v98, v99
	s_cbranch_execz .LBB46_270
	s_branch .LBB46_271
.LBB46_269:
                                        ; implicit-def: $vgpr98
.LBB46_270:
	ds_load_b32 v98, v1
.LBB46_271:
	s_and_saveexec_b32 s10, s1
	s_cbranch_execz .LBB46_275
; %bb.272:
	v_subrev_nc_u32_e32 v99, 19, v0
	s_movk_i32 s1, 0x4c
	s_movk_i32 s12, 0x10c
	s_mov_b32 s11, 0
.LBB46_273:                             ; =>This Inner Loop Header: Depth=1
	scratch_load_b32 v100, off, s1
	v_dual_mov_b32 v101, s12 :: v_dual_add_nc_u32 v99, -1, v99
	s_add_co_i32 s12, s12, 4
	s_wait_xcnt 0x0
	s_add_co_i32 s1, s1, 4
	ds_load_b32 v101, v101
	v_cmp_eq_u32_e32 vcc_lo, 0, v99
	s_or_b32 s11, vcc_lo, s11
	s_wait_loadcnt_dscnt 0x0
	v_fmac_f32_e32 v98, v100, v101
	s_and_not1_b32 exec_lo, exec_lo, s11
	s_cbranch_execnz .LBB46_273
; %bb.274:
	s_or_b32 exec_lo, exec_lo, s11
.LBB46_275:
	s_delay_alu instid0(SALU_CYCLE_1)
	s_or_b32 exec_lo, exec_lo, s10
	v_mov_b32_e32 v99, 0
	ds_load_b32 v99, v99 offset:72
	s_wait_dscnt 0x0
	v_mul_f32_e32 v98, v98, v99
	scratch_store_b32 off, v98, off offset:72
.LBB46_276:
	s_wait_xcnt 0x0
	s_or_b32 exec_lo, exec_lo, s2
	scratch_load_b32 v98, off, off offset:68
	v_cmp_lt_u32_e64 s1, 17, v0
	s_wait_loadcnt 0x0
	ds_store_b32 v1, v98
	s_wait_storecnt_dscnt 0x0
	s_barrier_signal -1
	s_barrier_wait -1
	s_wait_xcnt 0x0
	s_and_saveexec_b32 s2, s1
	s_cbranch_execz .LBB46_286
; %bb.277:
	s_and_not1_b32 vcc_lo, exec_lo, s3
	s_cbranch_vccnz .LBB46_279
; %bb.278:
	scratch_load_b32 v98, v7, off
	ds_load_b32 v99, v1
	s_wait_loadcnt_dscnt 0x0
	v_mul_f32_e32 v98, v98, v99
	s_cbranch_execz .LBB46_280
	s_branch .LBB46_281
.LBB46_279:
                                        ; implicit-def: $vgpr98
.LBB46_280:
	ds_load_b32 v98, v1
.LBB46_281:
	s_and_saveexec_b32 s10, s0
	s_cbranch_execz .LBB46_285
; %bb.282:
	v_subrev_nc_u32_e32 v99, 18, v0
	s_movk_i32 s0, 0x48
	s_movk_i32 s12, 0x108
	s_mov_b32 s11, 0
.LBB46_283:                             ; =>This Inner Loop Header: Depth=1
	scratch_load_b32 v100, off, s0
	v_dual_mov_b32 v101, s12 :: v_dual_add_nc_u32 v99, -1, v99
	s_add_co_i32 s12, s12, 4
	s_wait_xcnt 0x0
	s_add_co_i32 s0, s0, 4
	ds_load_b32 v101, v101
	v_cmp_eq_u32_e32 vcc_lo, 0, v99
	s_or_b32 s11, vcc_lo, s11
	s_wait_loadcnt_dscnt 0x0
	v_fmac_f32_e32 v98, v100, v101
	s_and_not1_b32 exec_lo, exec_lo, s11
	s_cbranch_execnz .LBB46_283
; %bb.284:
	s_or_b32 exec_lo, exec_lo, s11
.LBB46_285:
	s_delay_alu instid0(SALU_CYCLE_1)
	s_or_b32 exec_lo, exec_lo, s10
	v_mov_b32_e32 v99, 0
	ds_load_b32 v99, v99 offset:68
	s_wait_dscnt 0x0
	v_mul_f32_e32 v98, v98, v99
	scratch_store_b32 off, v98, off offset:68
.LBB46_286:
	;; [unrolled: 58-line block ×3, first 2 shown]
	s_wait_xcnt 0x0
	s_or_b32 exec_lo, exec_lo, s2
	scratch_load_b32 v98, off, off offset:60
	v_cmp_lt_u32_e64 s1, 15, v0
	s_wait_loadcnt 0x0
	ds_store_b32 v1, v98
	s_wait_storecnt_dscnt 0x0
	s_barrier_signal -1
	s_barrier_wait -1
	s_wait_xcnt 0x0
	s_and_saveexec_b32 s2, s1
	s_cbranch_execz .LBB46_306
; %bb.297:
	s_and_not1_b32 vcc_lo, exec_lo, s3
	s_cbranch_vccnz .LBB46_299
; %bb.298:
	scratch_load_b32 v98, v7, off
	ds_load_b32 v99, v1
	s_wait_loadcnt_dscnt 0x0
	v_mul_f32_e32 v98, v98, v99
	s_cbranch_execz .LBB46_300
	s_branch .LBB46_301
.LBB46_299:
                                        ; implicit-def: $vgpr98
.LBB46_300:
	ds_load_b32 v98, v1
.LBB46_301:
	s_and_saveexec_b32 s10, s0
	s_cbranch_execz .LBB46_305
; %bb.302:
	v_add_nc_u32_e32 v99, -16, v0
	s_movk_i32 s11, 0x100
	s_mov_b32 s0, 0
.LBB46_303:                             ; =>This Inner Loop Header: Depth=1
	scratch_load_b32 v100, off, s9
	v_dual_mov_b32 v101, s11 :: v_dual_add_nc_u32 v99, -1, v99
	s_add_co_i32 s11, s11, 4
	s_wait_xcnt 0x0
	s_add_co_i32 s9, s9, 4
	ds_load_b32 v101, v101
	v_cmp_eq_u32_e32 vcc_lo, 0, v99
	s_or_b32 s0, vcc_lo, s0
	s_wait_loadcnt_dscnt 0x0
	v_fmac_f32_e32 v98, v100, v101
	s_and_not1_b32 exec_lo, exec_lo, s0
	s_cbranch_execnz .LBB46_303
; %bb.304:
	s_or_b32 exec_lo, exec_lo, s0
.LBB46_305:
	s_delay_alu instid0(SALU_CYCLE_1)
	s_or_b32 exec_lo, exec_lo, s10
	v_mov_b32_e32 v99, 0
	ds_load_b32 v99, v99 offset:60
	s_wait_dscnt 0x0
	v_mul_f32_e32 v98, v98, v99
	scratch_store_b32 off, v98, off offset:60
.LBB46_306:
	s_wait_xcnt 0x0
	s_or_b32 exec_lo, exec_lo, s2
	scratch_load_b32 v98, off, off offset:56
	v_cmp_lt_u32_e64 s0, 14, v0
	s_wait_loadcnt 0x0
	ds_store_b32 v1, v98
	s_wait_storecnt_dscnt 0x0
	s_barrier_signal -1
	s_barrier_wait -1
	s_wait_xcnt 0x0
	s_and_saveexec_b32 s2, s0
	s_cbranch_execz .LBB46_316
; %bb.307:
	s_and_not1_b32 vcc_lo, exec_lo, s3
	s_cbranch_vccnz .LBB46_309
; %bb.308:
	scratch_load_b32 v98, v7, off
	ds_load_b32 v99, v1
	s_wait_loadcnt_dscnt 0x0
	v_mul_f32_e32 v98, v98, v99
	s_cbranch_execz .LBB46_310
	s_branch .LBB46_311
.LBB46_309:
                                        ; implicit-def: $vgpr98
.LBB46_310:
	ds_load_b32 v98, v1
.LBB46_311:
	s_and_saveexec_b32 s9, s1
	s_cbranch_execz .LBB46_315
; %bb.312:
	v_add_nc_u32_e32 v99, -15, v0
	s_mov_b32 s1, 60
	s_movk_i32 s11, 0xfc
	s_mov_b32 s10, 0
.LBB46_313:                             ; =>This Inner Loop Header: Depth=1
	scratch_load_b32 v100, off, s1
	v_dual_mov_b32 v101, s11 :: v_dual_add_nc_u32 v99, -1, v99
	s_add_co_i32 s11, s11, 4
	s_wait_xcnt 0x0
	s_add_co_i32 s1, s1, 4
	ds_load_b32 v101, v101
	v_cmp_eq_u32_e32 vcc_lo, 0, v99
	s_or_b32 s10, vcc_lo, s10
	s_wait_loadcnt_dscnt 0x0
	v_fmac_f32_e32 v98, v100, v101
	s_and_not1_b32 exec_lo, exec_lo, s10
	s_cbranch_execnz .LBB46_313
; %bb.314:
	s_or_b32 exec_lo, exec_lo, s10
.LBB46_315:
	s_delay_alu instid0(SALU_CYCLE_1)
	s_or_b32 exec_lo, exec_lo, s9
	v_mov_b32_e32 v99, 0
	ds_load_b32 v99, v99 offset:56
	s_wait_dscnt 0x0
	v_mul_f32_e32 v98, v98, v99
	scratch_store_b32 off, v98, off offset:56
.LBB46_316:
	s_wait_xcnt 0x0
	s_or_b32 exec_lo, exec_lo, s2
	scratch_load_b32 v98, off, off offset:52
	v_cmp_lt_u32_e64 s1, 13, v0
	s_wait_loadcnt 0x0
	ds_store_b32 v1, v98
	s_wait_storecnt_dscnt 0x0
	s_barrier_signal -1
	s_barrier_wait -1
	s_wait_xcnt 0x0
	s_and_saveexec_b32 s2, s1
	s_cbranch_execz .LBB46_326
; %bb.317:
	s_and_not1_b32 vcc_lo, exec_lo, s3
	s_cbranch_vccnz .LBB46_319
; %bb.318:
	scratch_load_b32 v98, v7, off
	ds_load_b32 v99, v1
	s_wait_loadcnt_dscnt 0x0
	v_mul_f32_e32 v98, v98, v99
	s_cbranch_execz .LBB46_320
	s_branch .LBB46_321
.LBB46_319:
                                        ; implicit-def: $vgpr98
.LBB46_320:
	ds_load_b32 v98, v1
.LBB46_321:
	s_and_saveexec_b32 s9, s0
	s_cbranch_execz .LBB46_325
; %bb.322:
	v_add_nc_u32_e32 v99, -14, v0
	s_mov_b32 s0, 56
	s_movk_i32 s11, 0xf8
	s_mov_b32 s10, 0
.LBB46_323:                             ; =>This Inner Loop Header: Depth=1
	scratch_load_b32 v100, off, s0
	v_dual_mov_b32 v101, s11 :: v_dual_add_nc_u32 v99, -1, v99
	s_add_co_i32 s11, s11, 4
	s_wait_xcnt 0x0
	s_add_co_i32 s0, s0, 4
	ds_load_b32 v101, v101
	v_cmp_eq_u32_e32 vcc_lo, 0, v99
	s_or_b32 s10, vcc_lo, s10
	s_wait_loadcnt_dscnt 0x0
	v_fmac_f32_e32 v98, v100, v101
	s_and_not1_b32 exec_lo, exec_lo, s10
	s_cbranch_execnz .LBB46_323
; %bb.324:
	s_or_b32 exec_lo, exec_lo, s10
.LBB46_325:
	s_delay_alu instid0(SALU_CYCLE_1)
	s_or_b32 exec_lo, exec_lo, s9
	v_mov_b32_e32 v99, 0
	ds_load_b32 v99, v99 offset:52
	s_wait_dscnt 0x0
	v_mul_f32_e32 v98, v98, v99
	scratch_store_b32 off, v98, off offset:52
.LBB46_326:
	s_wait_xcnt 0x0
	s_or_b32 exec_lo, exec_lo, s2
	scratch_load_b32 v98, off, off offset:48
	v_cmp_lt_u32_e64 s0, 12, v0
	s_wait_loadcnt 0x0
	ds_store_b32 v1, v98
	s_wait_storecnt_dscnt 0x0
	s_barrier_signal -1
	s_barrier_wait -1
	s_wait_xcnt 0x0
	s_and_saveexec_b32 s2, s0
	s_cbranch_execz .LBB46_336
; %bb.327:
	s_and_not1_b32 vcc_lo, exec_lo, s3
	s_cbranch_vccnz .LBB46_329
; %bb.328:
	scratch_load_b32 v98, v7, off
	ds_load_b32 v99, v1
	s_wait_loadcnt_dscnt 0x0
	v_mul_f32_e32 v98, v98, v99
	s_cbranch_execz .LBB46_330
	s_branch .LBB46_331
.LBB46_329:
                                        ; implicit-def: $vgpr98
.LBB46_330:
	ds_load_b32 v98, v1
.LBB46_331:
	s_and_saveexec_b32 s9, s1
	s_cbranch_execz .LBB46_335
; %bb.332:
	v_add_nc_u32_e32 v99, -13, v0
	s_mov_b32 s1, 52
	s_movk_i32 s11, 0xf4
	s_mov_b32 s10, 0
.LBB46_333:                             ; =>This Inner Loop Header: Depth=1
	scratch_load_b32 v100, off, s1
	v_dual_mov_b32 v101, s11 :: v_dual_add_nc_u32 v99, -1, v99
	s_add_co_i32 s11, s11, 4
	s_wait_xcnt 0x0
	s_add_co_i32 s1, s1, 4
	ds_load_b32 v101, v101
	v_cmp_eq_u32_e32 vcc_lo, 0, v99
	s_or_b32 s10, vcc_lo, s10
	s_wait_loadcnt_dscnt 0x0
	v_fmac_f32_e32 v98, v100, v101
	s_and_not1_b32 exec_lo, exec_lo, s10
	s_cbranch_execnz .LBB46_333
; %bb.334:
	s_or_b32 exec_lo, exec_lo, s10
.LBB46_335:
	s_delay_alu instid0(SALU_CYCLE_1)
	s_or_b32 exec_lo, exec_lo, s9
	v_mov_b32_e32 v99, 0
	ds_load_b32 v99, v99 offset:48
	s_wait_dscnt 0x0
	v_mul_f32_e32 v98, v98, v99
	scratch_store_b32 off, v98, off offset:48
.LBB46_336:
	s_wait_xcnt 0x0
	s_or_b32 exec_lo, exec_lo, s2
	scratch_load_b32 v98, off, off offset:44
	v_cmp_lt_u32_e64 s1, 11, v0
	s_wait_loadcnt 0x0
	ds_store_b32 v1, v98
	s_wait_storecnt_dscnt 0x0
	s_barrier_signal -1
	s_barrier_wait -1
	s_wait_xcnt 0x0
	s_and_saveexec_b32 s2, s1
	s_cbranch_execz .LBB46_346
; %bb.337:
	s_and_not1_b32 vcc_lo, exec_lo, s3
	s_cbranch_vccnz .LBB46_339
; %bb.338:
	scratch_load_b32 v98, v7, off
	ds_load_b32 v99, v1
	s_wait_loadcnt_dscnt 0x0
	v_mul_f32_e32 v98, v98, v99
	s_cbranch_execz .LBB46_340
	s_branch .LBB46_341
.LBB46_339:
                                        ; implicit-def: $vgpr98
.LBB46_340:
	ds_load_b32 v98, v1
.LBB46_341:
	s_and_saveexec_b32 s9, s0
	s_cbranch_execz .LBB46_345
; %bb.342:
	v_add_nc_u32_e32 v99, -12, v0
	s_movk_i32 s10, 0xf0
	s_mov_b32 s0, 0
.LBB46_343:                             ; =>This Inner Loop Header: Depth=1
	scratch_load_b32 v100, off, s8
	v_dual_mov_b32 v101, s10 :: v_dual_add_nc_u32 v99, -1, v99
	s_add_co_i32 s10, s10, 4
	s_wait_xcnt 0x0
	s_add_co_i32 s8, s8, 4
	ds_load_b32 v101, v101
	v_cmp_eq_u32_e32 vcc_lo, 0, v99
	s_or_b32 s0, vcc_lo, s0
	s_wait_loadcnt_dscnt 0x0
	v_fmac_f32_e32 v98, v100, v101
	s_and_not1_b32 exec_lo, exec_lo, s0
	s_cbranch_execnz .LBB46_343
; %bb.344:
	s_or_b32 exec_lo, exec_lo, s0
.LBB46_345:
	s_delay_alu instid0(SALU_CYCLE_1)
	s_or_b32 exec_lo, exec_lo, s9
	v_mov_b32_e32 v99, 0
	ds_load_b32 v99, v99 offset:44
	s_wait_dscnt 0x0
	v_mul_f32_e32 v98, v98, v99
	scratch_store_b32 off, v98, off offset:44
.LBB46_346:
	s_wait_xcnt 0x0
	s_or_b32 exec_lo, exec_lo, s2
	scratch_load_b32 v98, off, off offset:40
	v_cmp_lt_u32_e64 s0, 10, v0
	s_wait_loadcnt 0x0
	ds_store_b32 v1, v98
	s_wait_storecnt_dscnt 0x0
	s_barrier_signal -1
	s_barrier_wait -1
	s_wait_xcnt 0x0
	s_and_saveexec_b32 s2, s0
	s_cbranch_execz .LBB46_356
; %bb.347:
	s_and_not1_b32 vcc_lo, exec_lo, s3
	s_cbranch_vccnz .LBB46_349
; %bb.348:
	scratch_load_b32 v98, v7, off
	ds_load_b32 v99, v1
	s_wait_loadcnt_dscnt 0x0
	v_mul_f32_e32 v98, v98, v99
	s_cbranch_execz .LBB46_350
	s_branch .LBB46_351
.LBB46_349:
                                        ; implicit-def: $vgpr98
.LBB46_350:
	ds_load_b32 v98, v1
.LBB46_351:
	s_and_saveexec_b32 s8, s1
	s_cbranch_execz .LBB46_355
; %bb.352:
	v_add_nc_u32_e32 v99, -11, v0
	s_mov_b32 s1, 44
	s_movk_i32 s10, 0xec
	s_mov_b32 s9, 0
.LBB46_353:                             ; =>This Inner Loop Header: Depth=1
	scratch_load_b32 v100, off, s1
	v_dual_mov_b32 v101, s10 :: v_dual_add_nc_u32 v99, -1, v99
	s_add_co_i32 s10, s10, 4
	s_wait_xcnt 0x0
	s_add_co_i32 s1, s1, 4
	ds_load_b32 v101, v101
	v_cmp_eq_u32_e32 vcc_lo, 0, v99
	s_or_b32 s9, vcc_lo, s9
	s_wait_loadcnt_dscnt 0x0
	v_fmac_f32_e32 v98, v100, v101
	s_and_not1_b32 exec_lo, exec_lo, s9
	s_cbranch_execnz .LBB46_353
; %bb.354:
	s_or_b32 exec_lo, exec_lo, s9
.LBB46_355:
	s_delay_alu instid0(SALU_CYCLE_1)
	s_or_b32 exec_lo, exec_lo, s8
	v_mov_b32_e32 v99, 0
	ds_load_b32 v99, v99 offset:40
	s_wait_dscnt 0x0
	v_mul_f32_e32 v98, v98, v99
	scratch_store_b32 off, v98, off offset:40
.LBB46_356:
	s_wait_xcnt 0x0
	s_or_b32 exec_lo, exec_lo, s2
	scratch_load_b32 v98, off, off offset:36
	v_cmp_lt_u32_e64 s1, 9, v0
	s_wait_loadcnt 0x0
	ds_store_b32 v1, v98
	s_wait_storecnt_dscnt 0x0
	s_barrier_signal -1
	s_barrier_wait -1
	s_wait_xcnt 0x0
	s_and_saveexec_b32 s2, s1
	s_cbranch_execz .LBB46_366
; %bb.357:
	s_and_not1_b32 vcc_lo, exec_lo, s3
	s_cbranch_vccnz .LBB46_359
; %bb.358:
	scratch_load_b32 v98, v7, off
	ds_load_b32 v99, v1
	s_wait_loadcnt_dscnt 0x0
	v_mul_f32_e32 v98, v98, v99
	s_cbranch_execz .LBB46_360
	s_branch .LBB46_361
.LBB46_359:
                                        ; implicit-def: $vgpr98
.LBB46_360:
	ds_load_b32 v98, v1
.LBB46_361:
	s_and_saveexec_b32 s8, s0
	s_cbranch_execz .LBB46_365
; %bb.362:
	v_add_nc_u32_e32 v99, -10, v0
	s_mov_b32 s0, 40
	s_movk_i32 s10, 0xe8
	s_mov_b32 s9, 0
.LBB46_363:                             ; =>This Inner Loop Header: Depth=1
	scratch_load_b32 v100, off, s0
	v_dual_mov_b32 v101, s10 :: v_dual_add_nc_u32 v99, -1, v99
	s_add_co_i32 s10, s10, 4
	s_wait_xcnt 0x0
	s_add_co_i32 s0, s0, 4
	ds_load_b32 v101, v101
	v_cmp_eq_u32_e32 vcc_lo, 0, v99
	s_or_b32 s9, vcc_lo, s9
	s_wait_loadcnt_dscnt 0x0
	v_fmac_f32_e32 v98, v100, v101
	s_and_not1_b32 exec_lo, exec_lo, s9
	s_cbranch_execnz .LBB46_363
; %bb.364:
	s_or_b32 exec_lo, exec_lo, s9
.LBB46_365:
	s_delay_alu instid0(SALU_CYCLE_1)
	s_or_b32 exec_lo, exec_lo, s8
	v_mov_b32_e32 v99, 0
	ds_load_b32 v99, v99 offset:36
	s_wait_dscnt 0x0
	v_mul_f32_e32 v98, v98, v99
	scratch_store_b32 off, v98, off offset:36
.LBB46_366:
	;; [unrolled: 58-line block ×3, first 2 shown]
	s_wait_xcnt 0x0
	s_or_b32 exec_lo, exec_lo, s2
	scratch_load_b32 v98, off, off offset:28
	v_cmp_lt_u32_e64 s1, 7, v0
	s_wait_loadcnt 0x0
	ds_store_b32 v1, v98
	s_wait_storecnt_dscnt 0x0
	s_barrier_signal -1
	s_barrier_wait -1
	s_wait_xcnt 0x0
	s_and_saveexec_b32 s2, s1
	s_cbranch_execz .LBB46_386
; %bb.377:
	s_and_not1_b32 vcc_lo, exec_lo, s3
	s_cbranch_vccnz .LBB46_379
; %bb.378:
	scratch_load_b32 v98, v7, off
	ds_load_b32 v99, v1
	s_wait_loadcnt_dscnt 0x0
	v_mul_f32_e32 v98, v98, v99
	s_cbranch_execz .LBB46_380
	s_branch .LBB46_381
.LBB46_379:
                                        ; implicit-def: $vgpr98
.LBB46_380:
	ds_load_b32 v98, v1
.LBB46_381:
	s_and_saveexec_b32 s8, s0
	s_cbranch_execz .LBB46_385
; %bb.382:
	v_add_nc_u32_e32 v99, -8, v0
	s_movk_i32 s9, 0xe0
	s_mov_b32 s0, 0
.LBB46_383:                             ; =>This Inner Loop Header: Depth=1
	scratch_load_b32 v100, off, s5
	v_dual_mov_b32 v101, s9 :: v_dual_add_nc_u32 v99, -1, v99
	s_add_co_i32 s9, s9, 4
	s_wait_xcnt 0x0
	s_add_co_i32 s5, s5, 4
	ds_load_b32 v101, v101
	v_cmp_eq_u32_e32 vcc_lo, 0, v99
	s_or_b32 s0, vcc_lo, s0
	s_wait_loadcnt_dscnt 0x0
	v_fmac_f32_e32 v98, v100, v101
	s_and_not1_b32 exec_lo, exec_lo, s0
	s_cbranch_execnz .LBB46_383
; %bb.384:
	s_or_b32 exec_lo, exec_lo, s0
.LBB46_385:
	s_delay_alu instid0(SALU_CYCLE_1)
	s_or_b32 exec_lo, exec_lo, s8
	v_mov_b32_e32 v99, 0
	ds_load_b32 v99, v99 offset:28
	s_wait_dscnt 0x0
	v_mul_f32_e32 v98, v98, v99
	scratch_store_b32 off, v98, off offset:28
.LBB46_386:
	s_wait_xcnt 0x0
	s_or_b32 exec_lo, exec_lo, s2
	scratch_load_b32 v98, off, off offset:24
	v_cmp_lt_u32_e64 s0, 6, v0
	s_wait_loadcnt 0x0
	ds_store_b32 v1, v98
	s_wait_storecnt_dscnt 0x0
	s_barrier_signal -1
	s_barrier_wait -1
	s_wait_xcnt 0x0
	s_and_saveexec_b32 s2, s0
	s_cbranch_execz .LBB46_396
; %bb.387:
	s_and_not1_b32 vcc_lo, exec_lo, s3
	s_cbranch_vccnz .LBB46_389
; %bb.388:
	scratch_load_b32 v98, v7, off
	ds_load_b32 v99, v1
	s_wait_loadcnt_dscnt 0x0
	v_mul_f32_e32 v98, v98, v99
	s_cbranch_execz .LBB46_390
	s_branch .LBB46_391
.LBB46_389:
                                        ; implicit-def: $vgpr98
.LBB46_390:
	ds_load_b32 v98, v1
.LBB46_391:
	s_and_saveexec_b32 s5, s1
	s_cbranch_execz .LBB46_395
; %bb.392:
	v_add_nc_u32_e32 v99, -7, v0
	s_mov_b32 s1, 28
	s_movk_i32 s9, 0xdc
	s_mov_b32 s8, 0
.LBB46_393:                             ; =>This Inner Loop Header: Depth=1
	scratch_load_b32 v100, off, s1
	v_dual_mov_b32 v101, s9 :: v_dual_add_nc_u32 v99, -1, v99
	s_add_co_i32 s9, s9, 4
	s_wait_xcnt 0x0
	s_add_co_i32 s1, s1, 4
	ds_load_b32 v101, v101
	v_cmp_eq_u32_e32 vcc_lo, 0, v99
	s_or_b32 s8, vcc_lo, s8
	s_wait_loadcnt_dscnt 0x0
	v_fmac_f32_e32 v98, v100, v101
	s_and_not1_b32 exec_lo, exec_lo, s8
	s_cbranch_execnz .LBB46_393
; %bb.394:
	s_or_b32 exec_lo, exec_lo, s8
.LBB46_395:
	s_delay_alu instid0(SALU_CYCLE_1)
	s_or_b32 exec_lo, exec_lo, s5
	v_mov_b32_e32 v99, 0
	ds_load_b32 v99, v99 offset:24
	s_wait_dscnt 0x0
	v_mul_f32_e32 v98, v98, v99
	scratch_store_b32 off, v98, off offset:24
.LBB46_396:
	s_wait_xcnt 0x0
	s_or_b32 exec_lo, exec_lo, s2
	scratch_load_b32 v98, off, off offset:20
	v_cmp_lt_u32_e64 s1, 5, v0
	s_wait_loadcnt 0x0
	ds_store_b32 v1, v98
	s_wait_storecnt_dscnt 0x0
	s_barrier_signal -1
	s_barrier_wait -1
	s_wait_xcnt 0x0
	s_and_saveexec_b32 s2, s1
	s_cbranch_execz .LBB46_406
; %bb.397:
	s_and_not1_b32 vcc_lo, exec_lo, s3
	s_cbranch_vccnz .LBB46_399
; %bb.398:
	scratch_load_b32 v98, v7, off
	ds_load_b32 v99, v1
	s_wait_loadcnt_dscnt 0x0
	v_mul_f32_e32 v98, v98, v99
	s_cbranch_execz .LBB46_400
	s_branch .LBB46_401
.LBB46_399:
                                        ; implicit-def: $vgpr98
.LBB46_400:
	ds_load_b32 v98, v1
.LBB46_401:
	s_and_saveexec_b32 s5, s0
	s_cbranch_execz .LBB46_405
; %bb.402:
	v_add_nc_u32_e32 v99, -6, v0
	s_mov_b32 s0, 24
	s_movk_i32 s9, 0xd8
	s_mov_b32 s8, 0
.LBB46_403:                             ; =>This Inner Loop Header: Depth=1
	scratch_load_b32 v100, off, s0
	v_dual_mov_b32 v101, s9 :: v_dual_add_nc_u32 v99, -1, v99
	s_add_co_i32 s9, s9, 4
	s_wait_xcnt 0x0
	s_add_co_i32 s0, s0, 4
	ds_load_b32 v101, v101
	v_cmp_eq_u32_e32 vcc_lo, 0, v99
	s_or_b32 s8, vcc_lo, s8
	s_wait_loadcnt_dscnt 0x0
	v_fmac_f32_e32 v98, v100, v101
	s_and_not1_b32 exec_lo, exec_lo, s8
	s_cbranch_execnz .LBB46_403
; %bb.404:
	s_or_b32 exec_lo, exec_lo, s8
.LBB46_405:
	s_delay_alu instid0(SALU_CYCLE_1)
	s_or_b32 exec_lo, exec_lo, s5
	v_mov_b32_e32 v99, 0
	ds_load_b32 v99, v99 offset:20
	s_wait_dscnt 0x0
	v_mul_f32_e32 v98, v98, v99
	scratch_store_b32 off, v98, off offset:20
.LBB46_406:
	;; [unrolled: 58-line block ×3, first 2 shown]
	s_wait_xcnt 0x0
	s_or_b32 exec_lo, exec_lo, s2
	scratch_load_b32 v98, off, off offset:12
	v_cmp_lt_u32_e64 s2, 3, v0
	s_wait_loadcnt 0x0
	ds_store_b32 v1, v98
	s_wait_storecnt_dscnt 0x0
	s_barrier_signal -1
	s_barrier_wait -1
	s_wait_xcnt 0x0
	s_and_saveexec_b32 s1, s2
	s_cbranch_execz .LBB46_426
; %bb.417:
	s_and_not1_b32 vcc_lo, exec_lo, s3
	s_cbranch_vccnz .LBB46_419
; %bb.418:
	scratch_load_b32 v98, v7, off
	ds_load_b32 v99, v1
	s_wait_loadcnt_dscnt 0x0
	v_mul_f32_e32 v98, v98, v99
	s_cbranch_execz .LBB46_420
	s_branch .LBB46_421
.LBB46_419:
                                        ; implicit-def: $vgpr98
.LBB46_420:
	ds_load_b32 v98, v1
.LBB46_421:
	s_and_saveexec_b32 s5, s0
	s_cbranch_execz .LBB46_425
; %bb.422:
	v_add_nc_u32_e32 v99, -4, v0
	s_movk_i32 s8, 0xd0
	s_mov_b32 s0, 0
.LBB46_423:                             ; =>This Inner Loop Header: Depth=1
	scratch_load_b32 v100, off, s4
	v_dual_mov_b32 v101, s8 :: v_dual_add_nc_u32 v99, -1, v99
	s_add_co_i32 s8, s8, 4
	s_wait_xcnt 0x0
	s_add_co_i32 s4, s4, 4
	ds_load_b32 v101, v101
	v_cmp_eq_u32_e32 vcc_lo, 0, v99
	s_or_b32 s0, vcc_lo, s0
	s_wait_loadcnt_dscnt 0x0
	v_fmac_f32_e32 v98, v100, v101
	s_and_not1_b32 exec_lo, exec_lo, s0
	s_cbranch_execnz .LBB46_423
; %bb.424:
	s_or_b32 exec_lo, exec_lo, s0
.LBB46_425:
	s_delay_alu instid0(SALU_CYCLE_1)
	s_or_b32 exec_lo, exec_lo, s5
	v_mov_b32_e32 v99, 0
	ds_load_b32 v99, v99 offset:12
	s_wait_dscnt 0x0
	v_mul_f32_e32 v98, v98, v99
	scratch_store_b32 off, v98, off offset:12
.LBB46_426:
	s_wait_xcnt 0x0
	s_or_b32 exec_lo, exec_lo, s1
	scratch_load_b32 v98, off, off offset:8
	v_cmp_lt_u32_e64 s1, 2, v0
	s_wait_loadcnt 0x0
	ds_store_b32 v1, v98
	s_wait_storecnt_dscnt 0x0
	s_barrier_signal -1
	s_barrier_wait -1
	s_wait_xcnt 0x0
	s_and_saveexec_b32 s0, s1
	s_cbranch_execz .LBB46_436
; %bb.427:
	s_and_not1_b32 vcc_lo, exec_lo, s3
	s_cbranch_vccnz .LBB46_429
; %bb.428:
	scratch_load_b32 v98, v7, off
	ds_load_b32 v99, v1
	s_wait_loadcnt_dscnt 0x0
	v_mul_f32_e32 v98, v98, v99
	s_cbranch_execz .LBB46_430
	s_branch .LBB46_431
.LBB46_429:
                                        ; implicit-def: $vgpr98
.LBB46_430:
	ds_load_b32 v98, v1
.LBB46_431:
	s_and_saveexec_b32 s4, s2
	s_cbranch_execz .LBB46_435
; %bb.432:
	v_add_nc_u32_e32 v99, -3, v0
	s_or_b32 s2, 0, 12
	s_movk_i32 s8, 0xcc
	s_mov_b32 s5, 0
.LBB46_433:                             ; =>This Inner Loop Header: Depth=1
	scratch_load_b32 v100, off, s2
	v_dual_mov_b32 v101, s8 :: v_dual_add_nc_u32 v99, -1, v99
	s_add_co_i32 s8, s8, 4
	s_wait_xcnt 0x0
	s_add_co_i32 s2, s2, 4
	ds_load_b32 v101, v101
	v_cmp_eq_u32_e32 vcc_lo, 0, v99
	s_or_b32 s5, vcc_lo, s5
	s_wait_loadcnt_dscnt 0x0
	v_fmac_f32_e32 v98, v100, v101
	s_and_not1_b32 exec_lo, exec_lo, s5
	s_cbranch_execnz .LBB46_433
; %bb.434:
	s_or_b32 exec_lo, exec_lo, s5
.LBB46_435:
	s_delay_alu instid0(SALU_CYCLE_1)
	s_or_b32 exec_lo, exec_lo, s4
	v_mov_b32_e32 v99, 0
	ds_load_b32 v99, v99 offset:8
	s_wait_dscnt 0x0
	v_mul_f32_e32 v98, v98, v99
	scratch_store_b32 off, v98, off offset:8
.LBB46_436:
	s_wait_xcnt 0x0
	s_or_b32 exec_lo, exec_lo, s0
	scratch_load_b32 v98, off, off offset:4
	v_cmp_lt_u32_e64 s0, 1, v0
	s_wait_loadcnt 0x0
	ds_store_b32 v1, v98
	s_wait_storecnt_dscnt 0x0
	s_barrier_signal -1
	s_barrier_wait -1
	s_wait_xcnt 0x0
	s_and_saveexec_b32 s2, s0
	s_cbranch_execz .LBB46_446
; %bb.437:
	s_and_not1_b32 vcc_lo, exec_lo, s3
	s_cbranch_vccnz .LBB46_439
; %bb.438:
	scratch_load_b32 v98, v7, off
	ds_load_b32 v99, v1
	s_wait_loadcnt_dscnt 0x0
	v_mul_f32_e32 v98, v98, v99
	s_cbranch_execz .LBB46_440
	s_branch .LBB46_441
.LBB46_439:
                                        ; implicit-def: $vgpr98
.LBB46_440:
	ds_load_b32 v98, v1
.LBB46_441:
	s_and_saveexec_b32 s4, s1
	s_cbranch_execz .LBB46_445
; %bb.442:
	v_add_nc_u32_e32 v99, -2, v0
	s_or_b32 s1, 0, 8
	s_movk_i32 s8, 0xc8
	s_mov_b32 s5, 0
.LBB46_443:                             ; =>This Inner Loop Header: Depth=1
	scratch_load_b32 v100, off, s1
	v_dual_mov_b32 v101, s8 :: v_dual_add_nc_u32 v99, -1, v99
	s_add_co_i32 s8, s8, 4
	s_wait_xcnt 0x0
	s_add_co_i32 s1, s1, 4
	ds_load_b32 v101, v101
	v_cmp_eq_u32_e32 vcc_lo, 0, v99
	s_or_b32 s5, vcc_lo, s5
	s_wait_loadcnt_dscnt 0x0
	v_fmac_f32_e32 v98, v100, v101
	s_and_not1_b32 exec_lo, exec_lo, s5
	s_cbranch_execnz .LBB46_443
; %bb.444:
	s_or_b32 exec_lo, exec_lo, s5
.LBB46_445:
	s_delay_alu instid0(SALU_CYCLE_1)
	s_or_b32 exec_lo, exec_lo, s4
	v_mov_b32_e32 v99, 0
	ds_load_b32 v99, v99 offset:4
	s_wait_dscnt 0x0
	v_mul_f32_e32 v98, v98, v99
	scratch_store_b32 off, v98, off offset:4
.LBB46_446:
	s_wait_xcnt 0x0
	s_or_b32 exec_lo, exec_lo, s2
	scratch_load_b32 v98, off, off
	s_mov_b32 s1, 0
	s_mov_b32 s2, exec_lo
	s_wait_loadcnt 0x0
	ds_store_b32 v1, v98
	s_wait_storecnt_dscnt 0x0
	s_barrier_signal -1
	s_barrier_wait -1
	s_wait_xcnt 0x0
	v_cmpx_ne_u32_e32 0, v0
	s_cbranch_execz .LBB46_456
; %bb.447:
	s_and_not1_b32 vcc_lo, exec_lo, s3
	s_cbranch_vccnz .LBB46_449
; %bb.448:
	scratch_load_b32 v98, v7, off
	ds_load_b32 v99, v1
	s_wait_loadcnt_dscnt 0x0
	v_mul_f32_e32 v98, v98, v99
	s_cbranch_execz .LBB46_450
	s_branch .LBB46_451
.LBB46_449:
                                        ; implicit-def: $vgpr98
.LBB46_450:
	ds_load_b32 v98, v1
.LBB46_451:
	s_and_saveexec_b32 s4, s0
	s_cbranch_execz .LBB46_455
; %bb.452:
	v_add_nc_u32_e32 v99, -1, v0
	s_or_b32 s0, 0, 4
	s_movk_i32 s8, 0xc4
	s_mov_b32 s5, 0
.LBB46_453:                             ; =>This Inner Loop Header: Depth=1
	scratch_load_b32 v100, off, s0
	v_dual_mov_b32 v101, s8 :: v_dual_add_nc_u32 v99, -1, v99
	s_add_co_i32 s8, s8, 4
	s_wait_xcnt 0x0
	s_add_co_i32 s0, s0, 4
	ds_load_b32 v101, v101
	v_cmp_eq_u32_e32 vcc_lo, 0, v99
	s_or_b32 s5, vcc_lo, s5
	s_wait_loadcnt_dscnt 0x0
	v_fmac_f32_e32 v98, v100, v101
	s_and_not1_b32 exec_lo, exec_lo, s5
	s_cbranch_execnz .LBB46_453
; %bb.454:
	s_or_b32 exec_lo, exec_lo, s5
.LBB46_455:
	s_delay_alu instid0(SALU_CYCLE_1)
	s_or_b32 exec_lo, exec_lo, s4
	v_mov_b32_e32 v99, 0
	ds_load_b32 v99, v99
	s_wait_dscnt 0x0
	v_mul_f32_e32 v98, v98, v99
	scratch_store_b32 off, v98, off
.LBB46_456:
	s_wait_xcnt 0x0
	s_or_b32 exec_lo, exec_lo, s2
.LBB46_457:
	v_lshl_add_u64 v[116:117], v[8:9], 2, s[6:7]
	v_lshl_add_u64 v[114:115], v[10:11], 2, s[6:7]
	;; [unrolled: 1-line block ×45, first 2 shown]
	s_and_b32 vcc_lo, exec_lo, s1
	s_cbranch_vccz .LBB46_909
; %bb.458:
	scratch_load_b32 v78, off, off offset:4
	v_cmp_eq_u32_e64 s0, 0, v0
	s_wait_loadcnt 0x0
	ds_store_b32 v1, v78
	s_wait_storecnt_dscnt 0x0
	s_barrier_signal -1
	s_barrier_wait -1
	s_wait_xcnt 0x0
	s_and_saveexec_b32 s1, s0
	s_cbranch_execz .LBB46_464
; %bb.459:
	s_and_b32 vcc_lo, exec_lo, s3
	s_cbranch_vccz .LBB46_461
; %bb.460:
	scratch_load_b32 v78, v7, off
	ds_load_b32 v79, v1
	s_wait_loadcnt_dscnt 0x0
	v_mul_f32_e32 v78, v78, v79
	s_cbranch_execz .LBB46_462
	s_branch .LBB46_463
.LBB46_461:
                                        ; implicit-def: $vgpr78
.LBB46_462:
	ds_load_b32 v78, v1
.LBB46_463:
	v_mov_b32_e32 v79, 0
	ds_load_b32 v79, v79 offset:4
	s_wait_dscnt 0x0
	v_mul_f32_e32 v78, v78, v79
	scratch_store_b32 off, v78, off offset:4
.LBB46_464:
	s_wait_xcnt 0x0
	s_or_b32 exec_lo, exec_lo, s1
	scratch_load_b32 v79, off, off offset:8
	v_cndmask_b32_e64 v78, 0, 1, s3
	s_mov_b32 s1, exec_lo
	s_wait_loadcnt 0x0
	ds_store_b32 v1, v79
	s_wait_storecnt_dscnt 0x0
	s_barrier_signal -1
	s_barrier_wait -1
	s_wait_xcnt 0x0
	v_cmpx_gt_u32_e32 2, v0
	s_cbranch_execz .LBB46_470
; %bb.465:
	s_and_not1_b32 vcc_lo, exec_lo, s3
	s_cbranch_vccnz .LBB46_467
; %bb.466:
	scratch_load_b32 v79, v7, off
	ds_load_b32 v80, v1
	s_wait_loadcnt_dscnt 0x0
	v_mul_f32_e32 v79, v79, v80
	s_cbranch_execz .LBB46_468
	s_branch .LBB46_469
.LBB46_467:
                                        ; implicit-def: $vgpr79
.LBB46_468:
	ds_load_b32 v79, v1
.LBB46_469:
	scratch_load_b32 v82, off, off offset:4
	v_mov_b32_e32 v80, 0
	ds_load_2addr_b32 v[80:81], v80 offset0:2 offset1:49
	s_wait_loadcnt_dscnt 0x0
	v_fma_f32 v81, v82, v81, v79
	s_delay_alu instid0(VALU_DEP_1) | instskip(NEXT) | instid1(VALU_DEP_1)
	v_cndmask_b32_e64 v79, v79, v81, s0
	v_mul_f32_e32 v79, v79, v80
	scratch_store_b32 off, v79, off offset:8
.LBB46_470:
	s_wait_xcnt 0x0
	s_or_b32 exec_lo, exec_lo, s1
	scratch_load_b32 v79, off, off offset:12
	s_mov_b32 s1, exec_lo
	s_wait_loadcnt 0x0
	ds_store_b32 v1, v79
	s_wait_storecnt_dscnt 0x0
	s_barrier_signal -1
	s_barrier_wait -1
	s_wait_xcnt 0x0
	v_cmpx_gt_u32_e32 3, v0
	s_cbranch_execz .LBB46_478
; %bb.471:
	v_cmp_ne_u32_e32 vcc_lo, 1, v78
	s_cbranch_vccnz .LBB46_473
; %bb.472:
	scratch_load_b32 v79, v7, off
	ds_load_b32 v80, v1
	s_wait_loadcnt_dscnt 0x0
	v_mul_f32_e32 v79, v79, v80
	s_cbranch_execz .LBB46_474
	s_branch .LBB46_475
.LBB46_473:
                                        ; implicit-def: $vgpr79
.LBB46_474:
	ds_load_b32 v79, v1
.LBB46_475:
	s_mov_b32 s2, exec_lo
	v_cmpx_ne_u32_e32 2, v0
	s_cbranch_execz .LBB46_477
; %bb.476:
	scratch_load_b32 v80, v7, off offset:4
	scratch_load_b32 v81, off, off offset:8
	ds_load_b32 v82, v1 offset:4
	v_mov_b32_e32 v83, 0
	ds_load_b32 v83, v83 offset:200
	s_wait_loadcnt_dscnt 0x101
	v_fmac_f32_e32 v79, v80, v82
	s_wait_loadcnt_dscnt 0x0
	s_delay_alu instid0(VALU_DEP_1) | instskip(NEXT) | instid1(VALU_DEP_1)
	v_fma_f32 v80, v81, v83, v79
	v_cndmask_b32_e64 v79, v79, v80, s0
.LBB46_477:
	s_or_b32 exec_lo, exec_lo, s2
	v_mov_b32_e32 v80, 0
	ds_load_b32 v80, v80 offset:12
	s_wait_dscnt 0x0
	v_mul_f32_e32 v79, v79, v80
	scratch_store_b32 off, v79, off offset:12
.LBB46_478:
	s_wait_xcnt 0x0
	s_or_b32 exec_lo, exec_lo, s1
	scratch_load_b32 v79, off, off offset:16
	s_mov_b32 s0, exec_lo
	s_wait_loadcnt 0x0
	ds_store_b32 v1, v79
	s_wait_storecnt_dscnt 0x0
	s_barrier_signal -1
	s_barrier_wait -1
	s_wait_xcnt 0x0
	v_cmpx_gt_u32_e32 4, v0
	s_cbranch_execz .LBB46_488
; %bb.479:
	v_cmp_ne_u32_e32 vcc_lo, 1, v78
	s_cbranch_vccnz .LBB46_481
; %bb.480:
	scratch_load_b32 v79, v7, off
	ds_load_b32 v80, v1
	s_wait_loadcnt_dscnt 0x0
	v_mul_f32_e32 v79, v79, v80
	s_cbranch_execz .LBB46_482
	s_branch .LBB46_483
.LBB46_481:
                                        ; implicit-def: $vgpr79
.LBB46_482:
	ds_load_b32 v79, v1
.LBB46_483:
	s_mov_b32 s1, exec_lo
	v_cmpx_ne_u32_e32 3, v0
	s_cbranch_execz .LBB46_487
; %bb.484:
	v_add_nc_u32_e32 v80, 0xc4, v6
	v_add3_u32 v81, 0, v6, 4
	v_mov_b32_e32 v82, v0
	s_mov_b32 s2, 0
.LBB46_485:                             ; =>This Inner Loop Header: Depth=1
	scratch_load_b32 v83, v81, off
	ds_load_b32 v84, v80
	v_dual_add_nc_u32 v82, 1, v82 :: v_dual_add_nc_u32 v80, 4, v80
	s_wait_xcnt 0x0
	v_add_nc_u32_e32 v81, 4, v81
	s_delay_alu instid0(VALU_DEP_2)
	v_cmp_lt_u32_e32 vcc_lo, 2, v82
	s_or_b32 s2, vcc_lo, s2
	s_wait_loadcnt_dscnt 0x0
	v_fmac_f32_e32 v79, v83, v84
	s_and_not1_b32 exec_lo, exec_lo, s2
	s_cbranch_execnz .LBB46_485
; %bb.486:
	s_or_b32 exec_lo, exec_lo, s2
.LBB46_487:
	s_delay_alu instid0(SALU_CYCLE_1)
	s_or_b32 exec_lo, exec_lo, s1
	v_mov_b32_e32 v80, 0
	ds_load_b32 v80, v80 offset:16
	s_wait_dscnt 0x0
	v_mul_f32_e32 v79, v79, v80
	scratch_store_b32 off, v79, off offset:16
.LBB46_488:
	s_wait_xcnt 0x0
	s_or_b32 exec_lo, exec_lo, s0
	scratch_load_b32 v79, off, off offset:20
	s_mov_b32 s0, exec_lo
	s_wait_loadcnt 0x0
	ds_store_b32 v1, v79
	s_wait_storecnt_dscnt 0x0
	s_barrier_signal -1
	s_barrier_wait -1
	s_wait_xcnt 0x0
	v_cmpx_gt_u32_e32 5, v0
	s_cbranch_execz .LBB46_498
; %bb.489:
	v_cmp_ne_u32_e32 vcc_lo, 1, v78
	s_cbranch_vccnz .LBB46_491
; %bb.490:
	scratch_load_b32 v79, v7, off
	ds_load_b32 v80, v1
	s_wait_loadcnt_dscnt 0x0
	v_mul_f32_e32 v79, v79, v80
	s_cbranch_execz .LBB46_492
	s_branch .LBB46_493
.LBB46_491:
                                        ; implicit-def: $vgpr79
.LBB46_492:
	ds_load_b32 v79, v1
.LBB46_493:
	s_mov_b32 s1, exec_lo
	v_cmpx_ne_u32_e32 4, v0
	s_cbranch_execz .LBB46_497
; %bb.494:
	v_add_nc_u32_e32 v80, 0xc4, v6
	v_add3_u32 v81, 0, v6, 4
	v_mov_b32_e32 v82, v0
	s_mov_b32 s2, 0
.LBB46_495:                             ; =>This Inner Loop Header: Depth=1
	scratch_load_b32 v83, v81, off
	ds_load_b32 v84, v80
	v_dual_add_nc_u32 v82, 1, v82 :: v_dual_add_nc_u32 v80, 4, v80
	s_wait_xcnt 0x0
	v_add_nc_u32_e32 v81, 4, v81
	s_delay_alu instid0(VALU_DEP_2)
	v_cmp_lt_u32_e32 vcc_lo, 3, v82
	s_or_b32 s2, vcc_lo, s2
	s_wait_loadcnt_dscnt 0x0
	v_fmac_f32_e32 v79, v83, v84
	s_and_not1_b32 exec_lo, exec_lo, s2
	s_cbranch_execnz .LBB46_495
; %bb.496:
	s_or_b32 exec_lo, exec_lo, s2
.LBB46_497:
	s_delay_alu instid0(SALU_CYCLE_1)
	s_or_b32 exec_lo, exec_lo, s1
	v_mov_b32_e32 v80, 0
	ds_load_b32 v80, v80 offset:20
	s_wait_dscnt 0x0
	v_mul_f32_e32 v79, v79, v80
	scratch_store_b32 off, v79, off offset:20
.LBB46_498:
	;; [unrolled: 59-line block ×41, first 2 shown]
	s_wait_xcnt 0x0
	s_or_b32 exec_lo, exec_lo, s0
	scratch_load_b32 v79, off, off offset:180
	v_cmp_gt_u32_e64 s0, 45, v0
	s_wait_loadcnt 0x0
	ds_store_b32 v1, v79
	s_wait_storecnt_dscnt 0x0
	s_barrier_signal -1
	s_barrier_wait -1
	s_wait_xcnt 0x0
	s_and_saveexec_b32 s1, s0
	s_cbranch_execz .LBB46_898
; %bb.889:
	v_cmp_ne_u32_e32 vcc_lo, 1, v78
	s_cbranch_vccnz .LBB46_891
; %bb.890:
	scratch_load_b32 v79, v7, off
	ds_load_b32 v80, v1
	s_wait_loadcnt_dscnt 0x0
	v_mul_f32_e32 v79, v79, v80
	s_cbranch_execz .LBB46_892
	s_branch .LBB46_893
.LBB46_891:
                                        ; implicit-def: $vgpr79
.LBB46_892:
	ds_load_b32 v79, v1
.LBB46_893:
	s_mov_b32 s2, exec_lo
	v_cmpx_ne_u32_e32 44, v0
	s_cbranch_execz .LBB46_897
; %bb.894:
	v_add_nc_u32_e32 v80, 0xc4, v6
	v_add3_u32 v81, 0, v6, 4
	v_mov_b32_e32 v82, v0
	s_mov_b32 s3, 0
.LBB46_895:                             ; =>This Inner Loop Header: Depth=1
	scratch_load_b32 v83, v81, off
	ds_load_b32 v84, v80
	v_dual_add_nc_u32 v82, 1, v82 :: v_dual_add_nc_u32 v80, 4, v80
	s_wait_xcnt 0x0
	v_add_nc_u32_e32 v81, 4, v81
	s_delay_alu instid0(VALU_DEP_2)
	v_cmp_lt_u32_e32 vcc_lo, 43, v82
	s_or_b32 s3, vcc_lo, s3
	s_wait_loadcnt_dscnt 0x0
	v_fmac_f32_e32 v79, v83, v84
	s_and_not1_b32 exec_lo, exec_lo, s3
	s_cbranch_execnz .LBB46_895
; %bb.896:
	s_or_b32 exec_lo, exec_lo, s3
.LBB46_897:
	s_delay_alu instid0(SALU_CYCLE_1)
	s_or_b32 exec_lo, exec_lo, s2
	v_mov_b32_e32 v80, 0
	ds_load_b32 v80, v80 offset:180
	s_wait_dscnt 0x0
	v_mul_f32_e32 v79, v79, v80
	scratch_store_b32 off, v79, off offset:180
.LBB46_898:
	s_wait_xcnt 0x0
	s_or_b32 exec_lo, exec_lo, s1
	scratch_load_b32 v79, off, off offset:184
	s_mov_b32 s1, exec_lo
	s_wait_loadcnt 0x0
	ds_store_b32 v1, v79
	s_wait_storecnt_dscnt 0x0
	s_barrier_signal -1
	s_barrier_wait -1
	s_wait_xcnt 0x0
	v_cmpx_ne_u32_e32 46, v0
	s_cbranch_execz .LBB46_908
; %bb.899:
	v_cmp_ne_u32_e32 vcc_lo, 1, v78
	s_cbranch_vccnz .LBB46_901
; %bb.900:
	scratch_load_b32 v7, v7, off
	ds_load_b32 v78, v1
	s_wait_loadcnt_dscnt 0x0
	v_mul_f32_e32 v7, v7, v78
	s_cbranch_execz .LBB46_902
	s_branch .LBB46_903
.LBB46_901:
                                        ; implicit-def: $vgpr7
.LBB46_902:
	ds_load_b32 v7, v1
.LBB46_903:
	s_and_saveexec_b32 s2, s0
	s_cbranch_execz .LBB46_907
; %bb.904:
	v_add_nc_u32_e32 v1, 0xc4, v6
	v_add3_u32 v6, 0, v6, 4
	s_mov_b32 s0, 0
.LBB46_905:                             ; =>This Inner Loop Header: Depth=1
	scratch_load_b32 v78, v6, off
	ds_load_b32 v79, v1
	v_dual_add_nc_u32 v0, 1, v0 :: v_dual_add_nc_u32 v1, 4, v1
	s_wait_xcnt 0x0
	v_add_nc_u32_e32 v6, 4, v6
	s_delay_alu instid0(VALU_DEP_2)
	v_cmp_lt_u32_e32 vcc_lo, 44, v0
	s_or_b32 s0, vcc_lo, s0
	s_wait_loadcnt_dscnt 0x0
	v_fmac_f32_e32 v7, v78, v79
	s_and_not1_b32 exec_lo, exec_lo, s0
	s_cbranch_execnz .LBB46_905
; %bb.906:
	s_or_b32 exec_lo, exec_lo, s0
.LBB46_907:
	s_delay_alu instid0(SALU_CYCLE_1)
	s_or_b32 exec_lo, exec_lo, s2
	v_mov_b32_e32 v0, 0
	ds_load_b32 v0, v0 offset:184
	s_wait_dscnt 0x0
	v_mul_f32_e32 v0, v7, v0
	scratch_store_b32 off, v0, off offset:184
.LBB46_908:
	s_wait_xcnt 0x0
	s_or_b32 exec_lo, exec_lo, s1
.LBB46_909:
	s_clause 0x2
	scratch_load_b128 v[78:81], off, off
	scratch_load_b128 v[82:85], off, off offset:16
	scratch_load_b128 v[86:89], off, off offset:32
	s_wait_loadcnt 0x2
	global_store_b32 v[4:5], v78, off
	scratch_load_b128 v[4:7], off, off offset:48
	s_clause 0x1
	global_store_b32 v[2:3], v79, off
	global_store_b32 v[116:117], v80, off
	scratch_load_b128 v[0:3], off, off offset:64
	global_store_b32 v[114:115], v81, off
	s_clause 0x1
	scratch_load_b128 v[78:81], off, off offset:80
	scratch_load_b128 v[90:93], off, off offset:96
	s_wait_loadcnt 0x5
	s_clause 0x2
	global_store_b32 v[112:113], v82, off
	global_store_b32 v[108:109], v83, off
	;; [unrolled: 1-line block ×3, first 2 shown]
	scratch_load_b128 v[94:97], off, off offset:112
	global_store_b32 v[106:107], v85, off
	scratch_load_b128 v[82:85], off, off offset:128
	s_wait_loadcnt 0x6
	global_store_b32 v[104:105], v86, off
	scratch_load_b128 v[104:107], off, off offset:144
	s_clause 0x1
	global_store_b32 v[100:101], v87, off
	global_store_b32 v[102:103], v88, off
	s_clause 0x1
	scratch_load_b128 v[100:103], off, off offset:160
	scratch_load_b96 v[86:88], off, off offset:176
	global_store_b32 v[98:99], v89, off
	s_wait_loadcnt 0x8
	s_clause 0x3
	global_store_b32 v[8:9], v4, off
	global_store_b32 v[10:11], v5, off
	global_store_b32 v[12:13], v6, off
	global_store_b32 v[14:15], v7, off
	s_wait_loadcnt 0x7
	s_clause 0x3
	global_store_b32 v[16:17], v0, off
	global_store_b32 v[18:19], v1, off
	global_store_b32 v[20:21], v2, off
	;; [unrolled: 6-line block ×9, first 2 shown]
.LBB46_910:
	s_sendmsg sendmsg(MSG_DEALLOC_VGPRS)
	s_endpgm
	.section	.rodata,"a",@progbits
	.p2align	6, 0x0
	.amdhsa_kernel _ZN9rocsolver6v33100L18trti2_kernel_smallILi47EfPfEEv13rocblas_fill_17rocblas_diagonal_T1_iil
		.amdhsa_group_segment_fixed_size 380
		.amdhsa_private_segment_fixed_size 192
		.amdhsa_kernarg_size 32
		.amdhsa_user_sgpr_count 2
		.amdhsa_user_sgpr_dispatch_ptr 0
		.amdhsa_user_sgpr_queue_ptr 0
		.amdhsa_user_sgpr_kernarg_segment_ptr 1
		.amdhsa_user_sgpr_dispatch_id 0
		.amdhsa_user_sgpr_kernarg_preload_length 0
		.amdhsa_user_sgpr_kernarg_preload_offset 0
		.amdhsa_user_sgpr_private_segment_size 0
		.amdhsa_wavefront_size32 1
		.amdhsa_uses_dynamic_stack 0
		.amdhsa_enable_private_segment 1
		.amdhsa_system_sgpr_workgroup_id_x 1
		.amdhsa_system_sgpr_workgroup_id_y 0
		.amdhsa_system_sgpr_workgroup_id_z 0
		.amdhsa_system_sgpr_workgroup_info 0
		.amdhsa_system_vgpr_workitem_id 0
		.amdhsa_next_free_vgpr 118
		.amdhsa_next_free_sgpr 19
		.amdhsa_named_barrier_count 0
		.amdhsa_reserve_vcc 1
		.amdhsa_float_round_mode_32 0
		.amdhsa_float_round_mode_16_64 0
		.amdhsa_float_denorm_mode_32 3
		.amdhsa_float_denorm_mode_16_64 3
		.amdhsa_fp16_overflow 0
		.amdhsa_memory_ordered 1
		.amdhsa_forward_progress 1
		.amdhsa_inst_pref_size 204
		.amdhsa_round_robin_scheduling 0
		.amdhsa_exception_fp_ieee_invalid_op 0
		.amdhsa_exception_fp_denorm_src 0
		.amdhsa_exception_fp_ieee_div_zero 0
		.amdhsa_exception_fp_ieee_overflow 0
		.amdhsa_exception_fp_ieee_underflow 0
		.amdhsa_exception_fp_ieee_inexact 0
		.amdhsa_exception_int_div_zero 0
	.end_amdhsa_kernel
	.section	.text._ZN9rocsolver6v33100L18trti2_kernel_smallILi47EfPfEEv13rocblas_fill_17rocblas_diagonal_T1_iil,"axG",@progbits,_ZN9rocsolver6v33100L18trti2_kernel_smallILi47EfPfEEv13rocblas_fill_17rocblas_diagonal_T1_iil,comdat
.Lfunc_end46:
	.size	_ZN9rocsolver6v33100L18trti2_kernel_smallILi47EfPfEEv13rocblas_fill_17rocblas_diagonal_T1_iil, .Lfunc_end46-_ZN9rocsolver6v33100L18trti2_kernel_smallILi47EfPfEEv13rocblas_fill_17rocblas_diagonal_T1_iil
                                        ; -- End function
	.set _ZN9rocsolver6v33100L18trti2_kernel_smallILi47EfPfEEv13rocblas_fill_17rocblas_diagonal_T1_iil.num_vgpr, 118
	.set _ZN9rocsolver6v33100L18trti2_kernel_smallILi47EfPfEEv13rocblas_fill_17rocblas_diagonal_T1_iil.num_agpr, 0
	.set _ZN9rocsolver6v33100L18trti2_kernel_smallILi47EfPfEEv13rocblas_fill_17rocblas_diagonal_T1_iil.numbered_sgpr, 19
	.set _ZN9rocsolver6v33100L18trti2_kernel_smallILi47EfPfEEv13rocblas_fill_17rocblas_diagonal_T1_iil.num_named_barrier, 0
	.set _ZN9rocsolver6v33100L18trti2_kernel_smallILi47EfPfEEv13rocblas_fill_17rocblas_diagonal_T1_iil.private_seg_size, 192
	.set _ZN9rocsolver6v33100L18trti2_kernel_smallILi47EfPfEEv13rocblas_fill_17rocblas_diagonal_T1_iil.uses_vcc, 1
	.set _ZN9rocsolver6v33100L18trti2_kernel_smallILi47EfPfEEv13rocblas_fill_17rocblas_diagonal_T1_iil.uses_flat_scratch, 1
	.set _ZN9rocsolver6v33100L18trti2_kernel_smallILi47EfPfEEv13rocblas_fill_17rocblas_diagonal_T1_iil.has_dyn_sized_stack, 0
	.set _ZN9rocsolver6v33100L18trti2_kernel_smallILi47EfPfEEv13rocblas_fill_17rocblas_diagonal_T1_iil.has_recursion, 0
	.set _ZN9rocsolver6v33100L18trti2_kernel_smallILi47EfPfEEv13rocblas_fill_17rocblas_diagonal_T1_iil.has_indirect_call, 0
	.section	.AMDGPU.csdata,"",@progbits
; Kernel info:
; codeLenInByte = 26064
; TotalNumSgprs: 21
; NumVgprs: 118
; ScratchSize: 192
; MemoryBound: 0
; FloatMode: 240
; IeeeMode: 1
; LDSByteSize: 380 bytes/workgroup (compile time only)
; SGPRBlocks: 0
; VGPRBlocks: 7
; NumSGPRsForWavesPerEU: 21
; NumVGPRsForWavesPerEU: 118
; NamedBarCnt: 0
; Occupancy: 8
; WaveLimiterHint : 0
; COMPUTE_PGM_RSRC2:SCRATCH_EN: 1
; COMPUTE_PGM_RSRC2:USER_SGPR: 2
; COMPUTE_PGM_RSRC2:TRAP_HANDLER: 0
; COMPUTE_PGM_RSRC2:TGID_X_EN: 1
; COMPUTE_PGM_RSRC2:TGID_Y_EN: 0
; COMPUTE_PGM_RSRC2:TGID_Z_EN: 0
; COMPUTE_PGM_RSRC2:TIDIG_COMP_CNT: 0
	.section	.text._ZN9rocsolver6v33100L18trti2_kernel_smallILi48EfPfEEv13rocblas_fill_17rocblas_diagonal_T1_iil,"axG",@progbits,_ZN9rocsolver6v33100L18trti2_kernel_smallILi48EfPfEEv13rocblas_fill_17rocblas_diagonal_T1_iil,comdat
	.globl	_ZN9rocsolver6v33100L18trti2_kernel_smallILi48EfPfEEv13rocblas_fill_17rocblas_diagonal_T1_iil ; -- Begin function _ZN9rocsolver6v33100L18trti2_kernel_smallILi48EfPfEEv13rocblas_fill_17rocblas_diagonal_T1_iil
	.p2align	8
	.type	_ZN9rocsolver6v33100L18trti2_kernel_smallILi48EfPfEEv13rocblas_fill_17rocblas_diagonal_T1_iil,@function
_ZN9rocsolver6v33100L18trti2_kernel_smallILi48EfPfEEv13rocblas_fill_17rocblas_diagonal_T1_iil: ; @_ZN9rocsolver6v33100L18trti2_kernel_smallILi48EfPfEEv13rocblas_fill_17rocblas_diagonal_T1_iil
; %bb.0:
	s_mov_b32 s2, exec_lo
	v_cmpx_gt_u32_e32 48, v0
	s_cbranch_execz .LBB47_930
; %bb.1:
	s_load_b256 s[4:11], s[0:1], 0x0
	s_wait_xcnt 0x0
	s_bfe_u32 s0, ttmp6, 0x4000c
	s_and_b32 s1, ttmp6, 15
	s_add_co_i32 s0, s0, 1
	s_getreg_b32 s2, hwreg(HW_REG_IB_STS2, 6, 4)
	s_mul_i32 s0, ttmp9, s0
	v_mov_b32_e32 v7, 0
	s_add_co_i32 s0, s1, s0
	s_wait_kmcnt 0x0
	v_add3_u32 v8, s9, s9, v0
	s_ashr_i32 s1, s8, 31
	s_cmp_eq_u32 s2, 0
	s_cselect_b32 s2, ttmp9, s0
	s_delay_alu instid0(VALU_DEP_1)
	v_add_nc_u32_e32 v10, s9, v8
	s_ashr_i32 s3, s2, 31
	s_mov_b32 s0, s8
	s_mul_u64 s[2:3], s[10:11], s[2:3]
	s_lshl_b64 s[0:1], s[0:1], 2
	v_add_nc_u32_e32 v12, s9, v10
	s_lshl_b64 s[2:3], s[2:3], 2
	s_delay_alu instid0(SALU_CYCLE_1) | instskip(NEXT) | instid1(VALU_DEP_1)
	s_add_nc_u64 s[2:3], s[6:7], s[2:3]
	v_add_nc_u32_e32 v14, s9, v12
	s_add_nc_u64 s[6:7], s[2:3], s[0:1]
	s_mov_b32 s0, s9
	s_ashr_i32 s1, s9, 31
	s_cmp_lg_u32 s5, 0x84
	v_add_nc_u32_e32 v16, s9, v14
	s_cselect_b32 s3, -1, 0
	s_cmp_eq_u32 s5, 0x84
	s_delay_alu instid0(VALU_DEP_1) | instskip(NEXT) | instid1(VALU_DEP_1)
	v_dual_ashrrev_i32 v11, 31, v10 :: v_dual_add_nc_u32 v18, s9, v16
	v_dual_ashrrev_i32 v13, 31, v12 :: v_dual_ashrrev_i32 v19, 31, v18
	v_dual_add_nc_u32 v20, s9, v18 :: v_dual_ashrrev_i32 v9, 31, v8
	s_delay_alu instid0(VALU_DEP_1) | instskip(SKIP_1) | instid1(VALU_DEP_2)
	v_dual_ashrrev_i32 v15, 31, v14 :: v_dual_add_nc_u32 v22, s9, v20
	v_lshlrev_b32_e32 v6, 2, v0
	v_dual_ashrrev_i32 v17, 31, v16 :: v_dual_ashrrev_i32 v23, 31, v22
	v_add_nc_u32_e32 v24, s9, v22
	s_delay_alu instid0(VALU_DEP_3) | instskip(NEXT) | instid1(VALU_DEP_2)
	v_add_nc_u64_e32 v[2:3], s[6:7], v[6:7]
	v_add_nc_u32_e32 v26, s9, v24
	s_delay_alu instid0(VALU_DEP_2)
	v_lshl_add_u64 v[4:5], s[0:1], 2, v[2:3]
	s_clause 0x7
	global_load_b32 v80, v0, s[6:7] scale_offset
	global_load_b32 v82, v8, s[6:7] scale_offset
	;; [unrolled: 1-line block ×7, first 2 shown]
	global_load_b32 v81, v[4:5], off
	v_add_nc_u32_e32 v28, s9, v26
	s_delay_alu instid0(VALU_DEP_1) | instskip(NEXT) | instid1(VALU_DEP_1)
	v_add_nc_u32_e32 v30, s9, v28
	v_dual_add_nc_u32 v32, s9, v30 :: v_dual_ashrrev_i32 v21, 31, v20
	s_delay_alu instid0(VALU_DEP_1) | instskip(NEXT) | instid1(VALU_DEP_1)
	v_dual_ashrrev_i32 v27, 31, v26 :: v_dual_add_nc_u32 v34, s9, v32
	v_dual_ashrrev_i32 v29, 31, v28 :: v_dual_ashrrev_i32 v35, 31, v34
	v_add_nc_u32_e32 v36, s9, v34
	s_clause 0x7
	global_load_b32 v88, v20, s[6:7] scale_offset
	global_load_b32 v89, v22, s[6:7] scale_offset
	;; [unrolled: 1-line block ×8, first 2 shown]
	v_dual_ashrrev_i32 v25, 31, v24 :: v_dual_ashrrev_i32 v31, 31, v30
	v_add_nc_u32_e32 v38, s9, v36
	s_delay_alu instid0(VALU_DEP_1) | instskip(NEXT) | instid1(VALU_DEP_1)
	v_add_nc_u32_e32 v40, s9, v38
	v_add_nc_u32_e32 v42, s9, v40
	s_delay_alu instid0(VALU_DEP_1) | instskip(NEXT) | instid1(VALU_DEP_1)
	v_dual_add_nc_u32 v44, s9, v42 :: v_dual_ashrrev_i32 v33, 31, v32
	v_dual_ashrrev_i32 v39, 31, v38 :: v_dual_add_nc_u32 v46, s9, v44
	s_delay_alu instid0(VALU_DEP_1)
	v_dual_ashrrev_i32 v41, 31, v40 :: v_dual_ashrrev_i32 v47, 31, v46
	v_add_nc_u32_e32 v48, s9, v46
	s_clause 0x3
	global_load_b32 v96, v36, s[6:7] scale_offset
	global_load_b32 v97, v38, s[6:7] scale_offset
	;; [unrolled: 1-line block ×4, first 2 shown]
	v_dual_ashrrev_i32 v37, 31, v36 :: v_dual_ashrrev_i32 v43, 31, v42
	v_add_nc_u32_e32 v50, s9, v48
	s_delay_alu instid0(VALU_DEP_1) | instskip(NEXT) | instid1(VALU_DEP_1)
	v_add_nc_u32_e32 v52, s9, v50
	v_add_nc_u32_e32 v54, s9, v52
	s_delay_alu instid0(VALU_DEP_1)
	v_add_nc_u32_e32 v56, s9, v54
	s_clause 0x3
	global_load_b32 v100, v44, s[6:7] scale_offset
	global_load_b32 v101, v46, s[6:7] scale_offset
	;; [unrolled: 1-line block ×4, first 2 shown]
	v_dual_ashrrev_i32 v45, 31, v44 :: v_dual_ashrrev_i32 v51, 31, v50
	v_add_nc_u32_e32 v58, s9, v56
	s_delay_alu instid0(VALU_DEP_1)
	v_dual_ashrrev_i32 v53, 31, v52 :: v_dual_ashrrev_i32 v59, 31, v58
	v_add_nc_u32_e32 v60, s9, v58
	s_clause 0x3
	global_load_b32 v104, v52, s[6:7] scale_offset
	global_load_b32 v105, v54, s[6:7] scale_offset
	global_load_b32 v106, v56, s[6:7] scale_offset
	global_load_b32 v107, v58, s[6:7] scale_offset
	v_dual_ashrrev_i32 v49, 31, v48 :: v_dual_ashrrev_i32 v55, 31, v54
	v_add_nc_u32_e32 v62, s9, v60
	s_delay_alu instid0(VALU_DEP_1) | instskip(NEXT) | instid1(VALU_DEP_1)
	v_add_nc_u32_e32 v64, s9, v62
	v_add_nc_u32_e32 v66, s9, v64
	s_delay_alu instid0(VALU_DEP_1) | instskip(NEXT) | instid1(VALU_DEP_1)
	v_dual_add_nc_u32 v68, s9, v66 :: v_dual_ashrrev_i32 v57, 31, v56
	v_dual_ashrrev_i32 v63, 31, v62 :: v_dual_add_nc_u32 v70, s9, v68
	s_delay_alu instid0(VALU_DEP_1) | instskip(SKIP_1) | instid1(VALU_DEP_1)
	v_dual_ashrrev_i32 v65, 31, v64 :: v_dual_ashrrev_i32 v71, 31, v70
	v_dual_add_nc_u32 v72, s9, v70 :: v_dual_ashrrev_i32 v61, 31, v60
	v_dual_ashrrev_i32 v67, 31, v66 :: v_dual_add_nc_u32 v74, s9, v72
	s_delay_alu instid0(VALU_DEP_1) | instskip(NEXT) | instid1(VALU_DEP_1)
	v_add_nc_u32_e32 v76, s9, v74
	v_add_nc_u32_e32 v78, s9, v76
	s_wait_loadcnt 0x15
	scratch_store_b128 off, v[84:87], off offset:16
	s_wait_loadcnt 0x14
	scratch_store_b128 off, v[80:83], off
	s_wait_xcnt 0x0
	v_add_nc_u32_e32 v80, s9, v78
	s_clause 0x3
	global_load_b32 v108, v60, s[6:7] scale_offset
	global_load_b32 v109, v62, s[6:7] scale_offset
	;; [unrolled: 1-line block ×4, first 2 shown]
	s_wait_loadcnt 0x14
	scratch_store_b128 off, v[88:91], off offset:32
	s_wait_loadcnt 0x10
	scratch_store_b128 off, v[92:95], off offset:48
	v_add_nc_u32_e32 v82, s9, v80
	v_dual_ashrrev_i32 v69, 31, v68 :: v_dual_ashrrev_i32 v75, 31, v74
	s_delay_alu instid0(VALU_DEP_2)
	v_dual_ashrrev_i32 v77, 31, v76 :: v_dual_ashrrev_i32 v83, 31, v82
	v_add_nc_u32_e32 v84, s9, v82
	s_clause 0x7
	global_load_b32 v112, v68, s[6:7] scale_offset
	global_load_b32 v113, v70, s[6:7] scale_offset
	global_load_b32 v114, v72, s[6:7] scale_offset
	global_load_b32 v115, v74, s[6:7] scale_offset
	global_load_b32 v116, v76, s[6:7] scale_offset
	global_load_b32 v117, v78, s[6:7] scale_offset
	global_load_b32 v118, v80, s[6:7] scale_offset
	global_load_b32 v119, v82, s[6:7] scale_offset
	v_dual_ashrrev_i32 v73, 31, v72 :: v_dual_ashrrev_i32 v79, 31, v78
	v_add_nc_u32_e32 v86, s9, v84
	s_wait_xcnt 0x9
	s_delay_alu instid0(VALU_DEP_1) | instskip(NEXT) | instid1(VALU_DEP_1)
	v_add_nc_u32_e32 v88, s9, v86
	v_add_nc_u32_e32 v90, s9, v88
	s_wait_xcnt 0x8
	s_delay_alu instid0(VALU_DEP_1) | instskip(SKIP_4) | instid1(VALU_DEP_1)
	v_dual_add_nc_u32 v92, s9, v90 :: v_dual_ashrrev_i32 v81, 31, v80
	v_ashrrev_i32_e32 v87, 31, v86
	s_wait_loadcnt 0x14
	scratch_store_b128 off, v[96:99], off offset:64
	v_add_nc_u32_e32 v94, s9, v92
	v_dual_ashrrev_i32 v89, 31, v88 :: v_dual_ashrrev_i32 v95, 31, v94
	s_wait_xcnt 0x0
	v_dual_add_nc_u32 v96, s9, v94 :: v_dual_ashrrev_i32 v85, 31, v84
	s_delay_alu instid0(VALU_DEP_1) | instskip(SKIP_1) | instid1(VALU_DEP_2)
	v_dual_ashrrev_i32 v91, 31, v90 :: v_dual_add_nc_u32 v98, s9, v96
	v_ashrrev_i32_e32 v93, 31, v92
	v_dual_ashrrev_i32 v97, 31, v96 :: v_dual_ashrrev_i32 v99, 31, v98
	s_wait_loadcnt 0x10
	scratch_store_b128 off, v[100:103], off offset:80
	s_wait_xcnt 0x0
	v_mov_b32_e32 v100, -1.0
	s_wait_loadcnt 0xc
	scratch_store_b128 off, v[104:107], off offset:96
	s_wait_loadcnt 0x8
	scratch_store_b128 off, v[108:111], off offset:112
	;; [unrolled: 2-line block ×4, first 2 shown]
	s_clause 0x7
	global_load_b32 v102, v84, s[6:7] scale_offset
	global_load_b32 v103, v86, s[6:7] scale_offset
	;; [unrolled: 1-line block ×8, first 2 shown]
	s_wait_loadcnt 0x4
	scratch_store_b128 off, v[102:105], off offset:160
	s_wait_loadcnt 0x0
	scratch_store_b128 off, v[106:109], off offset:176
	s_cbranch_scc1 .LBB47_3
; %bb.2:
	scratch_load_b32 v1, v0, off scale_offset
	s_wait_loadcnt 0x0
	v_div_scale_f32 v7, null, v1, v1, 1.0
	s_delay_alu instid0(VALU_DEP_1) | instskip(SKIP_1) | instid1(TRANS32_DEP_1)
	v_rcp_f32_e32 v100, v7
	v_nop
	v_fma_f32 v101, -v7, v100, 1.0
	s_delay_alu instid0(VALU_DEP_1) | instskip(SKIP_2) | instid1(VALU_DEP_1)
	v_fmac_f32_e32 v100, v101, v100
	v_div_scale_f32 v101, vcc_lo, 1.0, v1, 1.0
	s_wait_xcnt 0x2
	v_mul_f32_e32 v102, v101, v100
	s_delay_alu instid0(VALU_DEP_1) | instskip(NEXT) | instid1(VALU_DEP_1)
	v_fma_f32 v103, -v7, v102, v101
	v_fmac_f32_e32 v102, v103, v100
	s_delay_alu instid0(VALU_DEP_1) | instskip(NEXT) | instid1(VALU_DEP_1)
	v_fma_f32 v7, -v7, v102, v101
	v_div_fmas_f32 v7, v7, v100, v102
	s_delay_alu instid0(VALU_DEP_1) | instskip(NEXT) | instid1(VALU_DEP_1)
	v_div_fixup_f32 v1, v7, v1, 1.0
	v_xor_b32_e32 v100, 0x80000000, v1
	scratch_store_b32 v0, v1, off scale_offset
.LBB47_3:
	s_wait_xcnt 0x0
	v_add_nc_u32_e32 v1, 0xc0, v6
	v_mov_b32_e32 v7, v6
	s_cmp_eq_u32 s4, 0x79
	s_mov_b32 s1, -1
	ds_store_b32 v6, v100
	s_cbranch_scc1 .LBB47_467
; %bb.4:
	scratch_load_b32 v100, off, off offset:184
	v_cmp_eq_u32_e64 s0, 47, v0
	s_movk_i32 s1, 0x50
	s_movk_i32 s10, 0x60
	;; [unrolled: 1-line block ×7, first 2 shown]
	s_wait_loadcnt 0x0
	ds_store_b32 v1, v100
	s_wait_storecnt_dscnt 0x0
	s_barrier_signal -1
	s_barrier_wait -1
	s_wait_xcnt 0x0
	s_and_saveexec_b32 s2, s0
	s_cbranch_execz .LBB47_10
; %bb.5:
	s_and_b32 vcc_lo, exec_lo, s3
	s_cbranch_vccz .LBB47_7
; %bb.6:
	scratch_load_b32 v100, v7, off
	ds_load_b32 v101, v1
	s_wait_loadcnt_dscnt 0x0
	v_mul_f32_e32 v100, v100, v101
	s_cbranch_execz .LBB47_8
	s_branch .LBB47_9
.LBB47_7:
                                        ; implicit-def: $vgpr100
.LBB47_8:
	ds_load_b32 v100, v1
.LBB47_9:
	v_mov_b32_e32 v101, 0
	ds_load_b32 v101, v101 offset:184
	s_wait_dscnt 0x0
	v_mul_f32_e32 v100, v100, v101
	scratch_store_b32 off, v100, off offset:184
.LBB47_10:
	s_wait_xcnt 0x0
	s_or_b32 exec_lo, exec_lo, s2
	scratch_load_b32 v100, off, off offset:180
	s_mov_b32 s9, s1
	v_cmp_lt_u32_e64 s1, 45, v0
	s_mov_b32 s4, 16
	s_mov_b32 s2, 32
	;; [unrolled: 1-line block ×4, first 2 shown]
	s_wait_loadcnt 0x0
	ds_store_b32 v1, v100
	s_wait_storecnt_dscnt 0x0
	s_barrier_signal -1
	s_barrier_wait -1
	s_wait_xcnt 0x0
	s_and_saveexec_b32 s16, s1
	s_cbranch_execz .LBB47_16
; %bb.11:
	s_and_not1_b32 vcc_lo, exec_lo, s3
	s_cbranch_vccnz .LBB47_13
; %bb.12:
	scratch_load_b32 v100, v7, off
	ds_load_b32 v101, v1
	s_wait_loadcnt_dscnt 0x0
	v_mul_f32_e32 v100, v100, v101
	s_cbranch_execz .LBB47_14
	s_branch .LBB47_15
.LBB47_13:
                                        ; implicit-def: $vgpr100
.LBB47_14:
	ds_load_b32 v100, v1
.LBB47_15:
	scratch_load_b32 v101, off, off offset:184
	v_mov_b32_e32 v102, 0
	ds_load_2addr_b32 v[102:103], v102 offset0:45 offset1:94
	s_wait_loadcnt_dscnt 0x0
	v_fma_f32 v101, v101, v103, v100
	s_delay_alu instid0(VALU_DEP_1) | instskip(NEXT) | instid1(VALU_DEP_1)
	v_cndmask_b32_e64 v100, v100, v101, s0
	v_mul_f32_e32 v100, v100, v102
	scratch_store_b32 off, v100, off offset:180
.LBB47_16:
	s_wait_xcnt 0x0
	s_or_b32 exec_lo, exec_lo, s16
	scratch_load_b32 v100, off, off offset:176
	v_cmp_lt_u32_e64 s0, 44, v0
	s_wait_loadcnt 0x0
	ds_store_b32 v1, v100
	s_wait_storecnt_dscnt 0x0
	s_barrier_signal -1
	s_barrier_wait -1
	s_wait_xcnt 0x0
	s_and_saveexec_b32 s16, s0
	s_cbranch_execz .LBB47_26
; %bb.17:
	s_and_not1_b32 vcc_lo, exec_lo, s3
	s_cbranch_vccnz .LBB47_19
; %bb.18:
	scratch_load_b32 v100, v7, off
	ds_load_b32 v101, v1
	s_wait_loadcnt_dscnt 0x0
	v_mul_f32_e32 v100, v100, v101
	s_cbranch_execz .LBB47_20
	s_branch .LBB47_21
.LBB47_19:
                                        ; implicit-def: $vgpr100
.LBB47_20:
	ds_load_b32 v100, v1
.LBB47_21:
	s_and_saveexec_b32 s17, s1
	s_cbranch_execz .LBB47_25
; %bb.22:
	v_subrev_nc_u32_e32 v101, 45, v0
	s_movk_i32 s1, 0xb4
	s_movk_i32 s19, 0x174
	s_mov_b32 s18, 0
.LBB47_23:                              ; =>This Inner Loop Header: Depth=1
	scratch_load_b32 v102, off, s1
	v_dual_mov_b32 v103, s19 :: v_dual_add_nc_u32 v101, -1, v101
	s_add_co_i32 s19, s19, 4
	s_wait_xcnt 0x0
	s_add_co_i32 s1, s1, 4
	ds_load_b32 v103, v103
	v_cmp_eq_u32_e32 vcc_lo, 0, v101
	s_or_b32 s18, vcc_lo, s18
	s_wait_loadcnt_dscnt 0x0
	v_fmac_f32_e32 v100, v102, v103
	s_and_not1_b32 exec_lo, exec_lo, s18
	s_cbranch_execnz .LBB47_23
; %bb.24:
	s_or_b32 exec_lo, exec_lo, s18
.LBB47_25:
	s_delay_alu instid0(SALU_CYCLE_1)
	s_or_b32 exec_lo, exec_lo, s17
	v_mov_b32_e32 v101, 0
	ds_load_b32 v101, v101 offset:176
	s_wait_dscnt 0x0
	v_mul_f32_e32 v100, v100, v101
	scratch_store_b32 off, v100, off offset:176
.LBB47_26:
	s_wait_xcnt 0x0
	s_or_b32 exec_lo, exec_lo, s16
	scratch_load_b32 v100, off, off offset:172
	v_cmp_lt_u32_e64 s1, 43, v0
	s_wait_loadcnt 0x0
	ds_store_b32 v1, v100
	s_wait_storecnt_dscnt 0x0
	s_barrier_signal -1
	s_barrier_wait -1
	s_wait_xcnt 0x0
	s_and_saveexec_b32 s16, s1
	s_cbranch_execz .LBB47_36
; %bb.27:
	s_and_not1_b32 vcc_lo, exec_lo, s3
	s_cbranch_vccnz .LBB47_29
; %bb.28:
	scratch_load_b32 v100, v7, off
	ds_load_b32 v101, v1
	s_wait_loadcnt_dscnt 0x0
	v_mul_f32_e32 v100, v100, v101
	s_cbranch_execz .LBB47_30
	s_branch .LBB47_31
.LBB47_29:
                                        ; implicit-def: $vgpr100
.LBB47_30:
	ds_load_b32 v100, v1
.LBB47_31:
	s_and_saveexec_b32 s17, s0
	s_cbranch_execz .LBB47_35
; %bb.32:
	v_subrev_nc_u32_e32 v101, 44, v0
	s_movk_i32 s18, 0x170
	s_mov_b32 s0, 0
.LBB47_33:                              ; =>This Inner Loop Header: Depth=1
	scratch_load_b32 v102, off, s15
	v_dual_mov_b32 v103, s18 :: v_dual_add_nc_u32 v101, -1, v101
	s_add_co_i32 s18, s18, 4
	s_wait_xcnt 0x0
	s_add_co_i32 s15, s15, 4
	ds_load_b32 v103, v103
	v_cmp_eq_u32_e32 vcc_lo, 0, v101
	s_or_b32 s0, vcc_lo, s0
	s_wait_loadcnt_dscnt 0x0
	v_fmac_f32_e32 v100, v102, v103
	s_and_not1_b32 exec_lo, exec_lo, s0
	s_cbranch_execnz .LBB47_33
; %bb.34:
	s_or_b32 exec_lo, exec_lo, s0
.LBB47_35:
	s_delay_alu instid0(SALU_CYCLE_1)
	s_or_b32 exec_lo, exec_lo, s17
	v_mov_b32_e32 v101, 0
	ds_load_b32 v101, v101 offset:172
	s_wait_dscnt 0x0
	v_mul_f32_e32 v100, v100, v101
	scratch_store_b32 off, v100, off offset:172
.LBB47_36:
	s_wait_xcnt 0x0
	s_or_b32 exec_lo, exec_lo, s16
	scratch_load_b32 v100, off, off offset:168
	v_cmp_lt_u32_e64 s0, 42, v0
	s_wait_loadcnt 0x0
	ds_store_b32 v1, v100
	s_wait_storecnt_dscnt 0x0
	s_barrier_signal -1
	s_barrier_wait -1
	s_wait_xcnt 0x0
	s_and_saveexec_b32 s15, s0
	s_cbranch_execz .LBB47_46
; %bb.37:
	s_and_not1_b32 vcc_lo, exec_lo, s3
	s_cbranch_vccnz .LBB47_39
; %bb.38:
	scratch_load_b32 v100, v7, off
	ds_load_b32 v101, v1
	s_wait_loadcnt_dscnt 0x0
	v_mul_f32_e32 v100, v100, v101
	s_cbranch_execz .LBB47_40
	s_branch .LBB47_41
.LBB47_39:
                                        ; implicit-def: $vgpr100
.LBB47_40:
	ds_load_b32 v100, v1
.LBB47_41:
	s_and_saveexec_b32 s16, s1
	s_cbranch_execz .LBB47_45
; %bb.42:
	v_subrev_nc_u32_e32 v101, 43, v0
	s_movk_i32 s1, 0xac
	s_movk_i32 s18, 0x16c
	s_mov_b32 s17, 0
.LBB47_43:                              ; =>This Inner Loop Header: Depth=1
	scratch_load_b32 v102, off, s1
	v_dual_mov_b32 v103, s18 :: v_dual_add_nc_u32 v101, -1, v101
	s_add_co_i32 s18, s18, 4
	s_wait_xcnt 0x0
	s_add_co_i32 s1, s1, 4
	ds_load_b32 v103, v103
	v_cmp_eq_u32_e32 vcc_lo, 0, v101
	s_or_b32 s17, vcc_lo, s17
	s_wait_loadcnt_dscnt 0x0
	v_fmac_f32_e32 v100, v102, v103
	s_and_not1_b32 exec_lo, exec_lo, s17
	s_cbranch_execnz .LBB47_43
; %bb.44:
	s_or_b32 exec_lo, exec_lo, s17
.LBB47_45:
	s_delay_alu instid0(SALU_CYCLE_1)
	s_or_b32 exec_lo, exec_lo, s16
	v_mov_b32_e32 v101, 0
	ds_load_b32 v101, v101 offset:168
	s_wait_dscnt 0x0
	v_mul_f32_e32 v100, v100, v101
	scratch_store_b32 off, v100, off offset:168
.LBB47_46:
	s_wait_xcnt 0x0
	s_or_b32 exec_lo, exec_lo, s15
	scratch_load_b32 v100, off, off offset:164
	v_cmp_lt_u32_e64 s1, 41, v0
	s_wait_loadcnt 0x0
	ds_store_b32 v1, v100
	s_wait_storecnt_dscnt 0x0
	s_barrier_signal -1
	s_barrier_wait -1
	s_wait_xcnt 0x0
	s_and_saveexec_b32 s15, s1
	s_cbranch_execz .LBB47_56
; %bb.47:
	s_and_not1_b32 vcc_lo, exec_lo, s3
	s_cbranch_vccnz .LBB47_49
; %bb.48:
	scratch_load_b32 v100, v7, off
	ds_load_b32 v101, v1
	s_wait_loadcnt_dscnt 0x0
	v_mul_f32_e32 v100, v100, v101
	s_cbranch_execz .LBB47_50
	s_branch .LBB47_51
.LBB47_49:
                                        ; implicit-def: $vgpr100
.LBB47_50:
	ds_load_b32 v100, v1
.LBB47_51:
	s_and_saveexec_b32 s16, s0
	s_cbranch_execz .LBB47_55
; %bb.52:
	v_subrev_nc_u32_e32 v101, 42, v0
	s_movk_i32 s0, 0xa8
	s_movk_i32 s18, 0x168
	s_mov_b32 s17, 0
.LBB47_53:                              ; =>This Inner Loop Header: Depth=1
	scratch_load_b32 v102, off, s0
	v_dual_mov_b32 v103, s18 :: v_dual_add_nc_u32 v101, -1, v101
	s_add_co_i32 s18, s18, 4
	s_wait_xcnt 0x0
	s_add_co_i32 s0, s0, 4
	ds_load_b32 v103, v103
	v_cmp_eq_u32_e32 vcc_lo, 0, v101
	s_or_b32 s17, vcc_lo, s17
	s_wait_loadcnt_dscnt 0x0
	v_fmac_f32_e32 v100, v102, v103
	s_and_not1_b32 exec_lo, exec_lo, s17
	s_cbranch_execnz .LBB47_53
; %bb.54:
	s_or_b32 exec_lo, exec_lo, s17
.LBB47_55:
	s_delay_alu instid0(SALU_CYCLE_1)
	s_or_b32 exec_lo, exec_lo, s16
	v_mov_b32_e32 v101, 0
	ds_load_b32 v101, v101 offset:164
	s_wait_dscnt 0x0
	v_mul_f32_e32 v100, v100, v101
	scratch_store_b32 off, v100, off offset:164
.LBB47_56:
	;; [unrolled: 58-line block ×3, first 2 shown]
	s_wait_xcnt 0x0
	s_or_b32 exec_lo, exec_lo, s15
	scratch_load_b32 v100, off, off offset:156
	v_cmp_lt_u32_e64 s1, 39, v0
	s_wait_loadcnt 0x0
	ds_store_b32 v1, v100
	s_wait_storecnt_dscnt 0x0
	s_barrier_signal -1
	s_barrier_wait -1
	s_wait_xcnt 0x0
	s_and_saveexec_b32 s15, s1
	s_cbranch_execz .LBB47_76
; %bb.67:
	s_and_not1_b32 vcc_lo, exec_lo, s3
	s_cbranch_vccnz .LBB47_69
; %bb.68:
	scratch_load_b32 v100, v7, off
	ds_load_b32 v101, v1
	s_wait_loadcnt_dscnt 0x0
	v_mul_f32_e32 v100, v100, v101
	s_cbranch_execz .LBB47_70
	s_branch .LBB47_71
.LBB47_69:
                                        ; implicit-def: $vgpr100
.LBB47_70:
	ds_load_b32 v100, v1
.LBB47_71:
	s_and_saveexec_b32 s16, s0
	s_cbranch_execz .LBB47_75
; %bb.72:
	v_subrev_nc_u32_e32 v101, 40, v0
	s_movk_i32 s17, 0x160
	s_mov_b32 s0, 0
.LBB47_73:                              ; =>This Inner Loop Header: Depth=1
	scratch_load_b32 v102, off, s14
	v_dual_mov_b32 v103, s17 :: v_dual_add_nc_u32 v101, -1, v101
	s_add_co_i32 s17, s17, 4
	s_wait_xcnt 0x0
	s_add_co_i32 s14, s14, 4
	ds_load_b32 v103, v103
	v_cmp_eq_u32_e32 vcc_lo, 0, v101
	s_or_b32 s0, vcc_lo, s0
	s_wait_loadcnt_dscnt 0x0
	v_fmac_f32_e32 v100, v102, v103
	s_and_not1_b32 exec_lo, exec_lo, s0
	s_cbranch_execnz .LBB47_73
; %bb.74:
	s_or_b32 exec_lo, exec_lo, s0
.LBB47_75:
	s_delay_alu instid0(SALU_CYCLE_1)
	s_or_b32 exec_lo, exec_lo, s16
	v_mov_b32_e32 v101, 0
	ds_load_b32 v101, v101 offset:156
	s_wait_dscnt 0x0
	v_mul_f32_e32 v100, v100, v101
	scratch_store_b32 off, v100, off offset:156
.LBB47_76:
	s_wait_xcnt 0x0
	s_or_b32 exec_lo, exec_lo, s15
	scratch_load_b32 v100, off, off offset:152
	v_cmp_lt_u32_e64 s0, 38, v0
	s_wait_loadcnt 0x0
	ds_store_b32 v1, v100
	s_wait_storecnt_dscnt 0x0
	s_barrier_signal -1
	s_barrier_wait -1
	s_wait_xcnt 0x0
	s_and_saveexec_b32 s14, s0
	s_cbranch_execz .LBB47_86
; %bb.77:
	s_and_not1_b32 vcc_lo, exec_lo, s3
	s_cbranch_vccnz .LBB47_79
; %bb.78:
	scratch_load_b32 v100, v7, off
	ds_load_b32 v101, v1
	s_wait_loadcnt_dscnt 0x0
	v_mul_f32_e32 v100, v100, v101
	s_cbranch_execz .LBB47_80
	s_branch .LBB47_81
.LBB47_79:
                                        ; implicit-def: $vgpr100
.LBB47_80:
	ds_load_b32 v100, v1
.LBB47_81:
	s_and_saveexec_b32 s15, s1
	s_cbranch_execz .LBB47_85
; %bb.82:
	v_subrev_nc_u32_e32 v101, 39, v0
	s_movk_i32 s1, 0x9c
	s_movk_i32 s17, 0x15c
	s_mov_b32 s16, 0
.LBB47_83:                              ; =>This Inner Loop Header: Depth=1
	scratch_load_b32 v102, off, s1
	v_dual_mov_b32 v103, s17 :: v_dual_add_nc_u32 v101, -1, v101
	s_add_co_i32 s17, s17, 4
	s_wait_xcnt 0x0
	s_add_co_i32 s1, s1, 4
	ds_load_b32 v103, v103
	v_cmp_eq_u32_e32 vcc_lo, 0, v101
	s_or_b32 s16, vcc_lo, s16
	s_wait_loadcnt_dscnt 0x0
	v_fmac_f32_e32 v100, v102, v103
	s_and_not1_b32 exec_lo, exec_lo, s16
	s_cbranch_execnz .LBB47_83
; %bb.84:
	s_or_b32 exec_lo, exec_lo, s16
.LBB47_85:
	s_delay_alu instid0(SALU_CYCLE_1)
	s_or_b32 exec_lo, exec_lo, s15
	v_mov_b32_e32 v101, 0
	ds_load_b32 v101, v101 offset:152
	s_wait_dscnt 0x0
	v_mul_f32_e32 v100, v100, v101
	scratch_store_b32 off, v100, off offset:152
.LBB47_86:
	s_wait_xcnt 0x0
	s_or_b32 exec_lo, exec_lo, s14
	scratch_load_b32 v100, off, off offset:148
	v_cmp_lt_u32_e64 s1, 37, v0
	s_wait_loadcnt 0x0
	ds_store_b32 v1, v100
	s_wait_storecnt_dscnt 0x0
	s_barrier_signal -1
	s_barrier_wait -1
	s_wait_xcnt 0x0
	s_and_saveexec_b32 s14, s1
	s_cbranch_execz .LBB47_96
; %bb.87:
	s_and_not1_b32 vcc_lo, exec_lo, s3
	s_cbranch_vccnz .LBB47_89
; %bb.88:
	scratch_load_b32 v100, v7, off
	ds_load_b32 v101, v1
	s_wait_loadcnt_dscnt 0x0
	v_mul_f32_e32 v100, v100, v101
	s_cbranch_execz .LBB47_90
	s_branch .LBB47_91
.LBB47_89:
                                        ; implicit-def: $vgpr100
.LBB47_90:
	ds_load_b32 v100, v1
.LBB47_91:
	s_and_saveexec_b32 s15, s0
	s_cbranch_execz .LBB47_95
; %bb.92:
	v_subrev_nc_u32_e32 v101, 38, v0
	s_movk_i32 s0, 0x98
	s_movk_i32 s17, 0x158
	s_mov_b32 s16, 0
.LBB47_93:                              ; =>This Inner Loop Header: Depth=1
	scratch_load_b32 v102, off, s0
	v_dual_mov_b32 v103, s17 :: v_dual_add_nc_u32 v101, -1, v101
	s_add_co_i32 s17, s17, 4
	s_wait_xcnt 0x0
	s_add_co_i32 s0, s0, 4
	ds_load_b32 v103, v103
	v_cmp_eq_u32_e32 vcc_lo, 0, v101
	s_or_b32 s16, vcc_lo, s16
	s_wait_loadcnt_dscnt 0x0
	v_fmac_f32_e32 v100, v102, v103
	s_and_not1_b32 exec_lo, exec_lo, s16
	s_cbranch_execnz .LBB47_93
; %bb.94:
	s_or_b32 exec_lo, exec_lo, s16
.LBB47_95:
	s_delay_alu instid0(SALU_CYCLE_1)
	s_or_b32 exec_lo, exec_lo, s15
	v_mov_b32_e32 v101, 0
	ds_load_b32 v101, v101 offset:148
	s_wait_dscnt 0x0
	v_mul_f32_e32 v100, v100, v101
	scratch_store_b32 off, v100, off offset:148
.LBB47_96:
	s_wait_xcnt 0x0
	s_or_b32 exec_lo, exec_lo, s14
	scratch_load_b32 v100, off, off offset:144
	v_cmp_lt_u32_e64 s0, 36, v0
	s_wait_loadcnt 0x0
	ds_store_b32 v1, v100
	s_wait_storecnt_dscnt 0x0
	s_barrier_signal -1
	s_barrier_wait -1
	s_wait_xcnt 0x0
	s_and_saveexec_b32 s14, s0
	s_cbranch_execz .LBB47_106
; %bb.97:
	s_and_not1_b32 vcc_lo, exec_lo, s3
	s_cbranch_vccnz .LBB47_99
; %bb.98:
	scratch_load_b32 v100, v7, off
	ds_load_b32 v101, v1
	s_wait_loadcnt_dscnt 0x0
	v_mul_f32_e32 v100, v100, v101
	s_cbranch_execz .LBB47_100
	s_branch .LBB47_101
.LBB47_99:
                                        ; implicit-def: $vgpr100
.LBB47_100:
	ds_load_b32 v100, v1
.LBB47_101:
	s_and_saveexec_b32 s15, s1
	s_cbranch_execz .LBB47_105
; %bb.102:
	v_subrev_nc_u32_e32 v101, 37, v0
	s_movk_i32 s1, 0x94
	s_movk_i32 s17, 0x154
	s_mov_b32 s16, 0
.LBB47_103:                             ; =>This Inner Loop Header: Depth=1
	scratch_load_b32 v102, off, s1
	v_dual_mov_b32 v103, s17 :: v_dual_add_nc_u32 v101, -1, v101
	s_add_co_i32 s17, s17, 4
	s_wait_xcnt 0x0
	s_add_co_i32 s1, s1, 4
	ds_load_b32 v103, v103
	v_cmp_eq_u32_e32 vcc_lo, 0, v101
	s_or_b32 s16, vcc_lo, s16
	s_wait_loadcnt_dscnt 0x0
	v_fmac_f32_e32 v100, v102, v103
	s_and_not1_b32 exec_lo, exec_lo, s16
	s_cbranch_execnz .LBB47_103
; %bb.104:
	s_or_b32 exec_lo, exec_lo, s16
.LBB47_105:
	s_delay_alu instid0(SALU_CYCLE_1)
	s_or_b32 exec_lo, exec_lo, s15
	v_mov_b32_e32 v101, 0
	ds_load_b32 v101, v101 offset:144
	s_wait_dscnt 0x0
	v_mul_f32_e32 v100, v100, v101
	scratch_store_b32 off, v100, off offset:144
.LBB47_106:
	s_wait_xcnt 0x0
	s_or_b32 exec_lo, exec_lo, s14
	scratch_load_b32 v100, off, off offset:140
	v_cmp_lt_u32_e64 s1, 35, v0
	s_wait_loadcnt 0x0
	ds_store_b32 v1, v100
	s_wait_storecnt_dscnt 0x0
	s_barrier_signal -1
	s_barrier_wait -1
	s_wait_xcnt 0x0
	s_and_saveexec_b32 s14, s1
	s_cbranch_execz .LBB47_116
; %bb.107:
	s_and_not1_b32 vcc_lo, exec_lo, s3
	s_cbranch_vccnz .LBB47_109
; %bb.108:
	scratch_load_b32 v100, v7, off
	ds_load_b32 v101, v1
	s_wait_loadcnt_dscnt 0x0
	v_mul_f32_e32 v100, v100, v101
	s_cbranch_execz .LBB47_110
	s_branch .LBB47_111
.LBB47_109:
                                        ; implicit-def: $vgpr100
.LBB47_110:
	ds_load_b32 v100, v1
.LBB47_111:
	s_and_saveexec_b32 s15, s0
	s_cbranch_execz .LBB47_115
; %bb.112:
	v_subrev_nc_u32_e32 v101, 36, v0
	s_movk_i32 s16, 0x150
	s_mov_b32 s0, 0
.LBB47_113:                             ; =>This Inner Loop Header: Depth=1
	scratch_load_b32 v102, off, s13
	v_dual_mov_b32 v103, s16 :: v_dual_add_nc_u32 v101, -1, v101
	s_add_co_i32 s16, s16, 4
	s_wait_xcnt 0x0
	s_add_co_i32 s13, s13, 4
	ds_load_b32 v103, v103
	v_cmp_eq_u32_e32 vcc_lo, 0, v101
	s_or_b32 s0, vcc_lo, s0
	s_wait_loadcnt_dscnt 0x0
	v_fmac_f32_e32 v100, v102, v103
	s_and_not1_b32 exec_lo, exec_lo, s0
	s_cbranch_execnz .LBB47_113
; %bb.114:
	s_or_b32 exec_lo, exec_lo, s0
.LBB47_115:
	s_delay_alu instid0(SALU_CYCLE_1)
	s_or_b32 exec_lo, exec_lo, s15
	v_mov_b32_e32 v101, 0
	ds_load_b32 v101, v101 offset:140
	s_wait_dscnt 0x0
	v_mul_f32_e32 v100, v100, v101
	scratch_store_b32 off, v100, off offset:140
.LBB47_116:
	s_wait_xcnt 0x0
	s_or_b32 exec_lo, exec_lo, s14
	scratch_load_b32 v100, off, off offset:136
	v_cmp_lt_u32_e64 s0, 34, v0
	s_wait_loadcnt 0x0
	ds_store_b32 v1, v100
	s_wait_storecnt_dscnt 0x0
	s_barrier_signal -1
	s_barrier_wait -1
	s_wait_xcnt 0x0
	s_and_saveexec_b32 s13, s0
	s_cbranch_execz .LBB47_126
; %bb.117:
	s_and_not1_b32 vcc_lo, exec_lo, s3
	s_cbranch_vccnz .LBB47_119
; %bb.118:
	scratch_load_b32 v100, v7, off
	ds_load_b32 v101, v1
	s_wait_loadcnt_dscnt 0x0
	v_mul_f32_e32 v100, v100, v101
	s_cbranch_execz .LBB47_120
	s_branch .LBB47_121
.LBB47_119:
                                        ; implicit-def: $vgpr100
.LBB47_120:
	ds_load_b32 v100, v1
.LBB47_121:
	s_and_saveexec_b32 s14, s1
	s_cbranch_execz .LBB47_125
; %bb.122:
	v_subrev_nc_u32_e32 v101, 35, v0
	s_movk_i32 s1, 0x8c
	s_movk_i32 s16, 0x14c
	s_mov_b32 s15, 0
.LBB47_123:                             ; =>This Inner Loop Header: Depth=1
	scratch_load_b32 v102, off, s1
	v_dual_mov_b32 v103, s16 :: v_dual_add_nc_u32 v101, -1, v101
	s_add_co_i32 s16, s16, 4
	s_wait_xcnt 0x0
	s_add_co_i32 s1, s1, 4
	ds_load_b32 v103, v103
	v_cmp_eq_u32_e32 vcc_lo, 0, v101
	s_or_b32 s15, vcc_lo, s15
	s_wait_loadcnt_dscnt 0x0
	v_fmac_f32_e32 v100, v102, v103
	s_and_not1_b32 exec_lo, exec_lo, s15
	s_cbranch_execnz .LBB47_123
; %bb.124:
	s_or_b32 exec_lo, exec_lo, s15
.LBB47_125:
	s_delay_alu instid0(SALU_CYCLE_1)
	s_or_b32 exec_lo, exec_lo, s14
	v_mov_b32_e32 v101, 0
	ds_load_b32 v101, v101 offset:136
	s_wait_dscnt 0x0
	v_mul_f32_e32 v100, v100, v101
	scratch_store_b32 off, v100, off offset:136
.LBB47_126:
	s_wait_xcnt 0x0
	s_or_b32 exec_lo, exec_lo, s13
	scratch_load_b32 v100, off, off offset:132
	v_cmp_lt_u32_e64 s1, 33, v0
	s_wait_loadcnt 0x0
	ds_store_b32 v1, v100
	s_wait_storecnt_dscnt 0x0
	s_barrier_signal -1
	s_barrier_wait -1
	s_wait_xcnt 0x0
	s_and_saveexec_b32 s13, s1
	s_cbranch_execz .LBB47_136
; %bb.127:
	s_and_not1_b32 vcc_lo, exec_lo, s3
	s_cbranch_vccnz .LBB47_129
; %bb.128:
	scratch_load_b32 v100, v7, off
	ds_load_b32 v101, v1
	s_wait_loadcnt_dscnt 0x0
	v_mul_f32_e32 v100, v100, v101
	s_cbranch_execz .LBB47_130
	s_branch .LBB47_131
.LBB47_129:
                                        ; implicit-def: $vgpr100
.LBB47_130:
	ds_load_b32 v100, v1
.LBB47_131:
	s_and_saveexec_b32 s14, s0
	s_cbranch_execz .LBB47_135
; %bb.132:
	v_subrev_nc_u32_e32 v101, 34, v0
	s_movk_i32 s0, 0x88
	s_movk_i32 s16, 0x148
	s_mov_b32 s15, 0
.LBB47_133:                             ; =>This Inner Loop Header: Depth=1
	scratch_load_b32 v102, off, s0
	v_dual_mov_b32 v103, s16 :: v_dual_add_nc_u32 v101, -1, v101
	s_add_co_i32 s16, s16, 4
	s_wait_xcnt 0x0
	s_add_co_i32 s0, s0, 4
	ds_load_b32 v103, v103
	v_cmp_eq_u32_e32 vcc_lo, 0, v101
	s_or_b32 s15, vcc_lo, s15
	s_wait_loadcnt_dscnt 0x0
	v_fmac_f32_e32 v100, v102, v103
	s_and_not1_b32 exec_lo, exec_lo, s15
	s_cbranch_execnz .LBB47_133
; %bb.134:
	s_or_b32 exec_lo, exec_lo, s15
.LBB47_135:
	s_delay_alu instid0(SALU_CYCLE_1)
	s_or_b32 exec_lo, exec_lo, s14
	v_mov_b32_e32 v101, 0
	ds_load_b32 v101, v101 offset:132
	s_wait_dscnt 0x0
	v_mul_f32_e32 v100, v100, v101
	scratch_store_b32 off, v100, off offset:132
.LBB47_136:
	;; [unrolled: 58-line block ×3, first 2 shown]
	s_wait_xcnt 0x0
	s_or_b32 exec_lo, exec_lo, s13
	scratch_load_b32 v100, off, off offset:124
	v_cmp_lt_u32_e64 s1, 31, v0
	s_wait_loadcnt 0x0
	ds_store_b32 v1, v100
	s_wait_storecnt_dscnt 0x0
	s_barrier_signal -1
	s_barrier_wait -1
	s_wait_xcnt 0x0
	s_and_saveexec_b32 s13, s1
	s_cbranch_execz .LBB47_156
; %bb.147:
	s_and_not1_b32 vcc_lo, exec_lo, s3
	s_cbranch_vccnz .LBB47_149
; %bb.148:
	scratch_load_b32 v100, v7, off
	ds_load_b32 v101, v1
	s_wait_loadcnt_dscnt 0x0
	v_mul_f32_e32 v100, v100, v101
	s_cbranch_execz .LBB47_150
	s_branch .LBB47_151
.LBB47_149:
                                        ; implicit-def: $vgpr100
.LBB47_150:
	ds_load_b32 v100, v1
.LBB47_151:
	s_and_saveexec_b32 s14, s0
	s_cbranch_execz .LBB47_155
; %bb.152:
	v_subrev_nc_u32_e32 v101, 32, v0
	s_movk_i32 s15, 0x140
	s_mov_b32 s0, 0
.LBB47_153:                             ; =>This Inner Loop Header: Depth=1
	scratch_load_b32 v102, off, s12
	v_dual_mov_b32 v103, s15 :: v_dual_add_nc_u32 v101, -1, v101
	s_add_co_i32 s15, s15, 4
	s_wait_xcnt 0x0
	s_add_co_i32 s12, s12, 4
	ds_load_b32 v103, v103
	v_cmp_eq_u32_e32 vcc_lo, 0, v101
	s_or_b32 s0, vcc_lo, s0
	s_wait_loadcnt_dscnt 0x0
	v_fmac_f32_e32 v100, v102, v103
	s_and_not1_b32 exec_lo, exec_lo, s0
	s_cbranch_execnz .LBB47_153
; %bb.154:
	s_or_b32 exec_lo, exec_lo, s0
.LBB47_155:
	s_delay_alu instid0(SALU_CYCLE_1)
	s_or_b32 exec_lo, exec_lo, s14
	v_mov_b32_e32 v101, 0
	ds_load_b32 v101, v101 offset:124
	s_wait_dscnt 0x0
	v_mul_f32_e32 v100, v100, v101
	scratch_store_b32 off, v100, off offset:124
.LBB47_156:
	s_wait_xcnt 0x0
	s_or_b32 exec_lo, exec_lo, s13
	scratch_load_b32 v100, off, off offset:120
	v_cmp_lt_u32_e64 s0, 30, v0
	s_wait_loadcnt 0x0
	ds_store_b32 v1, v100
	s_wait_storecnt_dscnt 0x0
	s_barrier_signal -1
	s_barrier_wait -1
	s_wait_xcnt 0x0
	s_and_saveexec_b32 s12, s0
	s_cbranch_execz .LBB47_166
; %bb.157:
	s_and_not1_b32 vcc_lo, exec_lo, s3
	s_cbranch_vccnz .LBB47_159
; %bb.158:
	scratch_load_b32 v100, v7, off
	ds_load_b32 v101, v1
	s_wait_loadcnt_dscnt 0x0
	v_mul_f32_e32 v100, v100, v101
	s_cbranch_execz .LBB47_160
	s_branch .LBB47_161
.LBB47_159:
                                        ; implicit-def: $vgpr100
.LBB47_160:
	ds_load_b32 v100, v1
.LBB47_161:
	s_and_saveexec_b32 s13, s1
	s_cbranch_execz .LBB47_165
; %bb.162:
	v_subrev_nc_u32_e32 v101, 31, v0
	s_movk_i32 s1, 0x7c
	s_movk_i32 s15, 0x13c
	s_mov_b32 s14, 0
.LBB47_163:                             ; =>This Inner Loop Header: Depth=1
	scratch_load_b32 v102, off, s1
	v_dual_mov_b32 v103, s15 :: v_dual_add_nc_u32 v101, -1, v101
	s_add_co_i32 s15, s15, 4
	s_wait_xcnt 0x0
	s_add_co_i32 s1, s1, 4
	ds_load_b32 v103, v103
	v_cmp_eq_u32_e32 vcc_lo, 0, v101
	s_or_b32 s14, vcc_lo, s14
	s_wait_loadcnt_dscnt 0x0
	v_fmac_f32_e32 v100, v102, v103
	s_and_not1_b32 exec_lo, exec_lo, s14
	s_cbranch_execnz .LBB47_163
; %bb.164:
	s_or_b32 exec_lo, exec_lo, s14
.LBB47_165:
	s_delay_alu instid0(SALU_CYCLE_1)
	s_or_b32 exec_lo, exec_lo, s13
	v_mov_b32_e32 v101, 0
	ds_load_b32 v101, v101 offset:120
	s_wait_dscnt 0x0
	v_mul_f32_e32 v100, v100, v101
	scratch_store_b32 off, v100, off offset:120
.LBB47_166:
	s_wait_xcnt 0x0
	s_or_b32 exec_lo, exec_lo, s12
	scratch_load_b32 v100, off, off offset:116
	v_cmp_lt_u32_e64 s1, 29, v0
	s_wait_loadcnt 0x0
	ds_store_b32 v1, v100
	s_wait_storecnt_dscnt 0x0
	s_barrier_signal -1
	s_barrier_wait -1
	s_wait_xcnt 0x0
	s_and_saveexec_b32 s12, s1
	s_cbranch_execz .LBB47_176
; %bb.167:
	s_and_not1_b32 vcc_lo, exec_lo, s3
	s_cbranch_vccnz .LBB47_169
; %bb.168:
	scratch_load_b32 v100, v7, off
	ds_load_b32 v101, v1
	s_wait_loadcnt_dscnt 0x0
	v_mul_f32_e32 v100, v100, v101
	s_cbranch_execz .LBB47_170
	s_branch .LBB47_171
.LBB47_169:
                                        ; implicit-def: $vgpr100
.LBB47_170:
	ds_load_b32 v100, v1
.LBB47_171:
	s_and_saveexec_b32 s13, s0
	s_cbranch_execz .LBB47_175
; %bb.172:
	v_subrev_nc_u32_e32 v101, 30, v0
	s_movk_i32 s0, 0x78
	s_movk_i32 s15, 0x138
	s_mov_b32 s14, 0
.LBB47_173:                             ; =>This Inner Loop Header: Depth=1
	scratch_load_b32 v102, off, s0
	v_dual_mov_b32 v103, s15 :: v_dual_add_nc_u32 v101, -1, v101
	s_add_co_i32 s15, s15, 4
	s_wait_xcnt 0x0
	s_add_co_i32 s0, s0, 4
	ds_load_b32 v103, v103
	v_cmp_eq_u32_e32 vcc_lo, 0, v101
	s_or_b32 s14, vcc_lo, s14
	s_wait_loadcnt_dscnt 0x0
	v_fmac_f32_e32 v100, v102, v103
	s_and_not1_b32 exec_lo, exec_lo, s14
	s_cbranch_execnz .LBB47_173
; %bb.174:
	s_or_b32 exec_lo, exec_lo, s14
.LBB47_175:
	s_delay_alu instid0(SALU_CYCLE_1)
	s_or_b32 exec_lo, exec_lo, s13
	v_mov_b32_e32 v101, 0
	ds_load_b32 v101, v101 offset:116
	s_wait_dscnt 0x0
	v_mul_f32_e32 v100, v100, v101
	scratch_store_b32 off, v100, off offset:116
.LBB47_176:
	s_wait_xcnt 0x0
	s_or_b32 exec_lo, exec_lo, s12
	scratch_load_b32 v100, off, off offset:112
	v_cmp_lt_u32_e64 s0, 28, v0
	s_wait_loadcnt 0x0
	ds_store_b32 v1, v100
	s_wait_storecnt_dscnt 0x0
	s_barrier_signal -1
	s_barrier_wait -1
	s_wait_xcnt 0x0
	s_and_saveexec_b32 s12, s0
	s_cbranch_execz .LBB47_186
; %bb.177:
	s_and_not1_b32 vcc_lo, exec_lo, s3
	s_cbranch_vccnz .LBB47_179
; %bb.178:
	scratch_load_b32 v100, v7, off
	ds_load_b32 v101, v1
	s_wait_loadcnt_dscnt 0x0
	v_mul_f32_e32 v100, v100, v101
	s_cbranch_execz .LBB47_180
	s_branch .LBB47_181
.LBB47_179:
                                        ; implicit-def: $vgpr100
.LBB47_180:
	ds_load_b32 v100, v1
.LBB47_181:
	s_and_saveexec_b32 s13, s1
	s_cbranch_execz .LBB47_185
; %bb.182:
	v_subrev_nc_u32_e32 v101, 29, v0
	s_movk_i32 s1, 0x74
	s_movk_i32 s15, 0x134
	s_mov_b32 s14, 0
.LBB47_183:                             ; =>This Inner Loop Header: Depth=1
	scratch_load_b32 v102, off, s1
	v_dual_mov_b32 v103, s15 :: v_dual_add_nc_u32 v101, -1, v101
	s_add_co_i32 s15, s15, 4
	s_wait_xcnt 0x0
	s_add_co_i32 s1, s1, 4
	ds_load_b32 v103, v103
	v_cmp_eq_u32_e32 vcc_lo, 0, v101
	s_or_b32 s14, vcc_lo, s14
	s_wait_loadcnt_dscnt 0x0
	v_fmac_f32_e32 v100, v102, v103
	s_and_not1_b32 exec_lo, exec_lo, s14
	s_cbranch_execnz .LBB47_183
; %bb.184:
	s_or_b32 exec_lo, exec_lo, s14
.LBB47_185:
	s_delay_alu instid0(SALU_CYCLE_1)
	s_or_b32 exec_lo, exec_lo, s13
	v_mov_b32_e32 v101, 0
	ds_load_b32 v101, v101 offset:112
	s_wait_dscnt 0x0
	v_mul_f32_e32 v100, v100, v101
	scratch_store_b32 off, v100, off offset:112
.LBB47_186:
	s_wait_xcnt 0x0
	s_or_b32 exec_lo, exec_lo, s12
	scratch_load_b32 v100, off, off offset:108
	v_cmp_lt_u32_e64 s1, 27, v0
	s_wait_loadcnt 0x0
	ds_store_b32 v1, v100
	s_wait_storecnt_dscnt 0x0
	s_barrier_signal -1
	s_barrier_wait -1
	s_wait_xcnt 0x0
	s_and_saveexec_b32 s12, s1
	s_cbranch_execz .LBB47_196
; %bb.187:
	s_and_not1_b32 vcc_lo, exec_lo, s3
	s_cbranch_vccnz .LBB47_189
; %bb.188:
	scratch_load_b32 v100, v7, off
	ds_load_b32 v101, v1
	s_wait_loadcnt_dscnt 0x0
	v_mul_f32_e32 v100, v100, v101
	s_cbranch_execz .LBB47_190
	s_branch .LBB47_191
.LBB47_189:
                                        ; implicit-def: $vgpr100
.LBB47_190:
	ds_load_b32 v100, v1
.LBB47_191:
	s_and_saveexec_b32 s13, s0
	s_cbranch_execz .LBB47_195
; %bb.192:
	v_subrev_nc_u32_e32 v101, 28, v0
	s_movk_i32 s14, 0x130
	s_mov_b32 s0, 0
.LBB47_193:                             ; =>This Inner Loop Header: Depth=1
	scratch_load_b32 v102, off, s11
	v_dual_mov_b32 v103, s14 :: v_dual_add_nc_u32 v101, -1, v101
	s_add_co_i32 s14, s14, 4
	s_wait_xcnt 0x0
	s_add_co_i32 s11, s11, 4
	ds_load_b32 v103, v103
	v_cmp_eq_u32_e32 vcc_lo, 0, v101
	s_or_b32 s0, vcc_lo, s0
	s_wait_loadcnt_dscnt 0x0
	v_fmac_f32_e32 v100, v102, v103
	s_and_not1_b32 exec_lo, exec_lo, s0
	s_cbranch_execnz .LBB47_193
; %bb.194:
	s_or_b32 exec_lo, exec_lo, s0
.LBB47_195:
	s_delay_alu instid0(SALU_CYCLE_1)
	s_or_b32 exec_lo, exec_lo, s13
	v_mov_b32_e32 v101, 0
	ds_load_b32 v101, v101 offset:108
	s_wait_dscnt 0x0
	v_mul_f32_e32 v100, v100, v101
	scratch_store_b32 off, v100, off offset:108
.LBB47_196:
	s_wait_xcnt 0x0
	s_or_b32 exec_lo, exec_lo, s12
	scratch_load_b32 v100, off, off offset:104
	v_cmp_lt_u32_e64 s0, 26, v0
	s_wait_loadcnt 0x0
	ds_store_b32 v1, v100
	s_wait_storecnt_dscnt 0x0
	s_barrier_signal -1
	s_barrier_wait -1
	s_wait_xcnt 0x0
	s_and_saveexec_b32 s11, s0
	s_cbranch_execz .LBB47_206
; %bb.197:
	s_and_not1_b32 vcc_lo, exec_lo, s3
	s_cbranch_vccnz .LBB47_199
; %bb.198:
	scratch_load_b32 v100, v7, off
	ds_load_b32 v101, v1
	s_wait_loadcnt_dscnt 0x0
	v_mul_f32_e32 v100, v100, v101
	s_cbranch_execz .LBB47_200
	s_branch .LBB47_201
.LBB47_199:
                                        ; implicit-def: $vgpr100
.LBB47_200:
	ds_load_b32 v100, v1
.LBB47_201:
	s_and_saveexec_b32 s12, s1
	s_cbranch_execz .LBB47_205
; %bb.202:
	v_subrev_nc_u32_e32 v101, 27, v0
	s_movk_i32 s1, 0x6c
	s_movk_i32 s14, 0x12c
	s_mov_b32 s13, 0
.LBB47_203:                             ; =>This Inner Loop Header: Depth=1
	scratch_load_b32 v102, off, s1
	v_dual_mov_b32 v103, s14 :: v_dual_add_nc_u32 v101, -1, v101
	s_add_co_i32 s14, s14, 4
	s_wait_xcnt 0x0
	s_add_co_i32 s1, s1, 4
	ds_load_b32 v103, v103
	v_cmp_eq_u32_e32 vcc_lo, 0, v101
	s_or_b32 s13, vcc_lo, s13
	s_wait_loadcnt_dscnt 0x0
	v_fmac_f32_e32 v100, v102, v103
	s_and_not1_b32 exec_lo, exec_lo, s13
	s_cbranch_execnz .LBB47_203
; %bb.204:
	s_or_b32 exec_lo, exec_lo, s13
.LBB47_205:
	s_delay_alu instid0(SALU_CYCLE_1)
	s_or_b32 exec_lo, exec_lo, s12
	v_mov_b32_e32 v101, 0
	ds_load_b32 v101, v101 offset:104
	s_wait_dscnt 0x0
	v_mul_f32_e32 v100, v100, v101
	scratch_store_b32 off, v100, off offset:104
.LBB47_206:
	s_wait_xcnt 0x0
	s_or_b32 exec_lo, exec_lo, s11
	scratch_load_b32 v100, off, off offset:100
	v_cmp_lt_u32_e64 s1, 25, v0
	s_wait_loadcnt 0x0
	ds_store_b32 v1, v100
	s_wait_storecnt_dscnt 0x0
	s_barrier_signal -1
	s_barrier_wait -1
	s_wait_xcnt 0x0
	s_and_saveexec_b32 s11, s1
	s_cbranch_execz .LBB47_216
; %bb.207:
	s_and_not1_b32 vcc_lo, exec_lo, s3
	s_cbranch_vccnz .LBB47_209
; %bb.208:
	scratch_load_b32 v100, v7, off
	ds_load_b32 v101, v1
	s_wait_loadcnt_dscnt 0x0
	v_mul_f32_e32 v100, v100, v101
	s_cbranch_execz .LBB47_210
	s_branch .LBB47_211
.LBB47_209:
                                        ; implicit-def: $vgpr100
.LBB47_210:
	ds_load_b32 v100, v1
.LBB47_211:
	s_and_saveexec_b32 s12, s0
	s_cbranch_execz .LBB47_215
; %bb.212:
	v_subrev_nc_u32_e32 v101, 26, v0
	s_movk_i32 s0, 0x68
	s_movk_i32 s14, 0x128
	s_mov_b32 s13, 0
.LBB47_213:                             ; =>This Inner Loop Header: Depth=1
	scratch_load_b32 v102, off, s0
	v_dual_mov_b32 v103, s14 :: v_dual_add_nc_u32 v101, -1, v101
	s_add_co_i32 s14, s14, 4
	s_wait_xcnt 0x0
	s_add_co_i32 s0, s0, 4
	ds_load_b32 v103, v103
	v_cmp_eq_u32_e32 vcc_lo, 0, v101
	s_or_b32 s13, vcc_lo, s13
	s_wait_loadcnt_dscnt 0x0
	v_fmac_f32_e32 v100, v102, v103
	s_and_not1_b32 exec_lo, exec_lo, s13
	s_cbranch_execnz .LBB47_213
; %bb.214:
	s_or_b32 exec_lo, exec_lo, s13
.LBB47_215:
	s_delay_alu instid0(SALU_CYCLE_1)
	s_or_b32 exec_lo, exec_lo, s12
	v_mov_b32_e32 v101, 0
	ds_load_b32 v101, v101 offset:100
	s_wait_dscnt 0x0
	v_mul_f32_e32 v100, v100, v101
	scratch_store_b32 off, v100, off offset:100
.LBB47_216:
	;; [unrolled: 58-line block ×3, first 2 shown]
	s_wait_xcnt 0x0
	s_or_b32 exec_lo, exec_lo, s11
	scratch_load_b32 v100, off, off offset:92
	v_cmp_lt_u32_e64 s1, 23, v0
	s_wait_loadcnt 0x0
	ds_store_b32 v1, v100
	s_wait_storecnt_dscnt 0x0
	s_barrier_signal -1
	s_barrier_wait -1
	s_wait_xcnt 0x0
	s_and_saveexec_b32 s11, s1
	s_cbranch_execz .LBB47_236
; %bb.227:
	s_and_not1_b32 vcc_lo, exec_lo, s3
	s_cbranch_vccnz .LBB47_229
; %bb.228:
	scratch_load_b32 v100, v7, off
	ds_load_b32 v101, v1
	s_wait_loadcnt_dscnt 0x0
	v_mul_f32_e32 v100, v100, v101
	s_cbranch_execz .LBB47_230
	s_branch .LBB47_231
.LBB47_229:
                                        ; implicit-def: $vgpr100
.LBB47_230:
	ds_load_b32 v100, v1
.LBB47_231:
	s_and_saveexec_b32 s12, s0
	s_cbranch_execz .LBB47_235
; %bb.232:
	v_subrev_nc_u32_e32 v101, 24, v0
	s_movk_i32 s13, 0x120
	s_mov_b32 s0, 0
.LBB47_233:                             ; =>This Inner Loop Header: Depth=1
	scratch_load_b32 v102, off, s10
	v_dual_mov_b32 v103, s13 :: v_dual_add_nc_u32 v101, -1, v101
	s_add_co_i32 s13, s13, 4
	s_wait_xcnt 0x0
	s_add_co_i32 s10, s10, 4
	ds_load_b32 v103, v103
	v_cmp_eq_u32_e32 vcc_lo, 0, v101
	s_or_b32 s0, vcc_lo, s0
	s_wait_loadcnt_dscnt 0x0
	v_fmac_f32_e32 v100, v102, v103
	s_and_not1_b32 exec_lo, exec_lo, s0
	s_cbranch_execnz .LBB47_233
; %bb.234:
	s_or_b32 exec_lo, exec_lo, s0
.LBB47_235:
	s_delay_alu instid0(SALU_CYCLE_1)
	s_or_b32 exec_lo, exec_lo, s12
	v_mov_b32_e32 v101, 0
	ds_load_b32 v101, v101 offset:92
	s_wait_dscnt 0x0
	v_mul_f32_e32 v100, v100, v101
	scratch_store_b32 off, v100, off offset:92
.LBB47_236:
	s_wait_xcnt 0x0
	s_or_b32 exec_lo, exec_lo, s11
	scratch_load_b32 v100, off, off offset:88
	v_cmp_lt_u32_e64 s0, 22, v0
	s_wait_loadcnt 0x0
	ds_store_b32 v1, v100
	s_wait_storecnt_dscnt 0x0
	s_barrier_signal -1
	s_barrier_wait -1
	s_wait_xcnt 0x0
	s_and_saveexec_b32 s10, s0
	s_cbranch_execz .LBB47_246
; %bb.237:
	s_and_not1_b32 vcc_lo, exec_lo, s3
	s_cbranch_vccnz .LBB47_239
; %bb.238:
	scratch_load_b32 v100, v7, off
	ds_load_b32 v101, v1
	s_wait_loadcnt_dscnt 0x0
	v_mul_f32_e32 v100, v100, v101
	s_cbranch_execz .LBB47_240
	s_branch .LBB47_241
.LBB47_239:
                                        ; implicit-def: $vgpr100
.LBB47_240:
	ds_load_b32 v100, v1
.LBB47_241:
	s_and_saveexec_b32 s11, s1
	s_cbranch_execz .LBB47_245
; %bb.242:
	v_subrev_nc_u32_e32 v101, 23, v0
	s_movk_i32 s1, 0x5c
	s_movk_i32 s13, 0x11c
	s_mov_b32 s12, 0
.LBB47_243:                             ; =>This Inner Loop Header: Depth=1
	scratch_load_b32 v102, off, s1
	v_dual_mov_b32 v103, s13 :: v_dual_add_nc_u32 v101, -1, v101
	s_add_co_i32 s13, s13, 4
	s_wait_xcnt 0x0
	s_add_co_i32 s1, s1, 4
	ds_load_b32 v103, v103
	v_cmp_eq_u32_e32 vcc_lo, 0, v101
	s_or_b32 s12, vcc_lo, s12
	s_wait_loadcnt_dscnt 0x0
	v_fmac_f32_e32 v100, v102, v103
	s_and_not1_b32 exec_lo, exec_lo, s12
	s_cbranch_execnz .LBB47_243
; %bb.244:
	s_or_b32 exec_lo, exec_lo, s12
.LBB47_245:
	s_delay_alu instid0(SALU_CYCLE_1)
	s_or_b32 exec_lo, exec_lo, s11
	v_mov_b32_e32 v101, 0
	ds_load_b32 v101, v101 offset:88
	s_wait_dscnt 0x0
	v_mul_f32_e32 v100, v100, v101
	scratch_store_b32 off, v100, off offset:88
.LBB47_246:
	s_wait_xcnt 0x0
	s_or_b32 exec_lo, exec_lo, s10
	scratch_load_b32 v100, off, off offset:84
	v_cmp_lt_u32_e64 s1, 21, v0
	s_wait_loadcnt 0x0
	ds_store_b32 v1, v100
	s_wait_storecnt_dscnt 0x0
	s_barrier_signal -1
	s_barrier_wait -1
	s_wait_xcnt 0x0
	s_and_saveexec_b32 s10, s1
	s_cbranch_execz .LBB47_256
; %bb.247:
	s_and_not1_b32 vcc_lo, exec_lo, s3
	s_cbranch_vccnz .LBB47_249
; %bb.248:
	scratch_load_b32 v100, v7, off
	ds_load_b32 v101, v1
	s_wait_loadcnt_dscnt 0x0
	v_mul_f32_e32 v100, v100, v101
	s_cbranch_execz .LBB47_250
	s_branch .LBB47_251
.LBB47_249:
                                        ; implicit-def: $vgpr100
.LBB47_250:
	ds_load_b32 v100, v1
.LBB47_251:
	s_and_saveexec_b32 s11, s0
	s_cbranch_execz .LBB47_255
; %bb.252:
	v_subrev_nc_u32_e32 v101, 22, v0
	s_movk_i32 s0, 0x58
	s_movk_i32 s13, 0x118
	s_mov_b32 s12, 0
.LBB47_253:                             ; =>This Inner Loop Header: Depth=1
	scratch_load_b32 v102, off, s0
	v_dual_mov_b32 v103, s13 :: v_dual_add_nc_u32 v101, -1, v101
	s_add_co_i32 s13, s13, 4
	s_wait_xcnt 0x0
	s_add_co_i32 s0, s0, 4
	ds_load_b32 v103, v103
	v_cmp_eq_u32_e32 vcc_lo, 0, v101
	s_or_b32 s12, vcc_lo, s12
	s_wait_loadcnt_dscnt 0x0
	v_fmac_f32_e32 v100, v102, v103
	s_and_not1_b32 exec_lo, exec_lo, s12
	s_cbranch_execnz .LBB47_253
; %bb.254:
	s_or_b32 exec_lo, exec_lo, s12
.LBB47_255:
	s_delay_alu instid0(SALU_CYCLE_1)
	s_or_b32 exec_lo, exec_lo, s11
	v_mov_b32_e32 v101, 0
	ds_load_b32 v101, v101 offset:84
	s_wait_dscnt 0x0
	v_mul_f32_e32 v100, v100, v101
	scratch_store_b32 off, v100, off offset:84
.LBB47_256:
	;; [unrolled: 58-line block ×3, first 2 shown]
	s_wait_xcnt 0x0
	s_or_b32 exec_lo, exec_lo, s10
	scratch_load_b32 v100, off, off offset:76
	v_cmp_lt_u32_e64 s1, 19, v0
	s_wait_loadcnt 0x0
	ds_store_b32 v1, v100
	s_wait_storecnt_dscnt 0x0
	s_barrier_signal -1
	s_barrier_wait -1
	s_wait_xcnt 0x0
	s_and_saveexec_b32 s10, s1
	s_cbranch_execz .LBB47_276
; %bb.267:
	s_and_not1_b32 vcc_lo, exec_lo, s3
	s_cbranch_vccnz .LBB47_269
; %bb.268:
	scratch_load_b32 v100, v7, off
	ds_load_b32 v101, v1
	s_wait_loadcnt_dscnt 0x0
	v_mul_f32_e32 v100, v100, v101
	s_cbranch_execz .LBB47_270
	s_branch .LBB47_271
.LBB47_269:
                                        ; implicit-def: $vgpr100
.LBB47_270:
	ds_load_b32 v100, v1
.LBB47_271:
	s_and_saveexec_b32 s11, s0
	s_cbranch_execz .LBB47_275
; %bb.272:
	v_subrev_nc_u32_e32 v101, 20, v0
	s_movk_i32 s12, 0x110
	s_mov_b32 s0, 0
.LBB47_273:                             ; =>This Inner Loop Header: Depth=1
	scratch_load_b32 v102, off, s9
	v_dual_mov_b32 v103, s12 :: v_dual_add_nc_u32 v101, -1, v101
	s_add_co_i32 s12, s12, 4
	s_wait_xcnt 0x0
	s_add_co_i32 s9, s9, 4
	ds_load_b32 v103, v103
	v_cmp_eq_u32_e32 vcc_lo, 0, v101
	s_or_b32 s0, vcc_lo, s0
	s_wait_loadcnt_dscnt 0x0
	v_fmac_f32_e32 v100, v102, v103
	s_and_not1_b32 exec_lo, exec_lo, s0
	s_cbranch_execnz .LBB47_273
; %bb.274:
	s_or_b32 exec_lo, exec_lo, s0
.LBB47_275:
	s_delay_alu instid0(SALU_CYCLE_1)
	s_or_b32 exec_lo, exec_lo, s11
	v_mov_b32_e32 v101, 0
	ds_load_b32 v101, v101 offset:76
	s_wait_dscnt 0x0
	v_mul_f32_e32 v100, v100, v101
	scratch_store_b32 off, v100, off offset:76
.LBB47_276:
	s_wait_xcnt 0x0
	s_or_b32 exec_lo, exec_lo, s10
	scratch_load_b32 v100, off, off offset:72
	v_cmp_lt_u32_e64 s0, 18, v0
	s_wait_loadcnt 0x0
	ds_store_b32 v1, v100
	s_wait_storecnt_dscnt 0x0
	s_barrier_signal -1
	s_barrier_wait -1
	s_wait_xcnt 0x0
	s_and_saveexec_b32 s9, s0
	s_cbranch_execz .LBB47_286
; %bb.277:
	s_and_not1_b32 vcc_lo, exec_lo, s3
	s_cbranch_vccnz .LBB47_279
; %bb.278:
	scratch_load_b32 v100, v7, off
	ds_load_b32 v101, v1
	s_wait_loadcnt_dscnt 0x0
	v_mul_f32_e32 v100, v100, v101
	s_cbranch_execz .LBB47_280
	s_branch .LBB47_281
.LBB47_279:
                                        ; implicit-def: $vgpr100
.LBB47_280:
	ds_load_b32 v100, v1
.LBB47_281:
	s_and_saveexec_b32 s10, s1
	s_cbranch_execz .LBB47_285
; %bb.282:
	v_subrev_nc_u32_e32 v101, 19, v0
	s_movk_i32 s1, 0x4c
	s_movk_i32 s12, 0x10c
	s_mov_b32 s11, 0
.LBB47_283:                             ; =>This Inner Loop Header: Depth=1
	scratch_load_b32 v102, off, s1
	v_dual_mov_b32 v103, s12 :: v_dual_add_nc_u32 v101, -1, v101
	s_add_co_i32 s12, s12, 4
	s_wait_xcnt 0x0
	s_add_co_i32 s1, s1, 4
	ds_load_b32 v103, v103
	v_cmp_eq_u32_e32 vcc_lo, 0, v101
	s_or_b32 s11, vcc_lo, s11
	s_wait_loadcnt_dscnt 0x0
	v_fmac_f32_e32 v100, v102, v103
	s_and_not1_b32 exec_lo, exec_lo, s11
	s_cbranch_execnz .LBB47_283
; %bb.284:
	s_or_b32 exec_lo, exec_lo, s11
.LBB47_285:
	s_delay_alu instid0(SALU_CYCLE_1)
	s_or_b32 exec_lo, exec_lo, s10
	v_mov_b32_e32 v101, 0
	ds_load_b32 v101, v101 offset:72
	s_wait_dscnt 0x0
	v_mul_f32_e32 v100, v100, v101
	scratch_store_b32 off, v100, off offset:72
.LBB47_286:
	s_wait_xcnt 0x0
	s_or_b32 exec_lo, exec_lo, s9
	scratch_load_b32 v100, off, off offset:68
	v_cmp_lt_u32_e64 s1, 17, v0
	s_wait_loadcnt 0x0
	ds_store_b32 v1, v100
	s_wait_storecnt_dscnt 0x0
	s_barrier_signal -1
	s_barrier_wait -1
	s_wait_xcnt 0x0
	s_and_saveexec_b32 s9, s1
	s_cbranch_execz .LBB47_296
; %bb.287:
	s_and_not1_b32 vcc_lo, exec_lo, s3
	s_cbranch_vccnz .LBB47_289
; %bb.288:
	scratch_load_b32 v100, v7, off
	ds_load_b32 v101, v1
	s_wait_loadcnt_dscnt 0x0
	v_mul_f32_e32 v100, v100, v101
	s_cbranch_execz .LBB47_290
	s_branch .LBB47_291
.LBB47_289:
                                        ; implicit-def: $vgpr100
.LBB47_290:
	ds_load_b32 v100, v1
.LBB47_291:
	s_and_saveexec_b32 s10, s0
	s_cbranch_execz .LBB47_295
; %bb.292:
	v_subrev_nc_u32_e32 v101, 18, v0
	s_movk_i32 s0, 0x48
	s_movk_i32 s12, 0x108
	s_mov_b32 s11, 0
.LBB47_293:                             ; =>This Inner Loop Header: Depth=1
	scratch_load_b32 v102, off, s0
	v_dual_mov_b32 v103, s12 :: v_dual_add_nc_u32 v101, -1, v101
	s_add_co_i32 s12, s12, 4
	s_wait_xcnt 0x0
	s_add_co_i32 s0, s0, 4
	ds_load_b32 v103, v103
	v_cmp_eq_u32_e32 vcc_lo, 0, v101
	s_or_b32 s11, vcc_lo, s11
	s_wait_loadcnt_dscnt 0x0
	v_fmac_f32_e32 v100, v102, v103
	s_and_not1_b32 exec_lo, exec_lo, s11
	s_cbranch_execnz .LBB47_293
; %bb.294:
	s_or_b32 exec_lo, exec_lo, s11
.LBB47_295:
	s_delay_alu instid0(SALU_CYCLE_1)
	s_or_b32 exec_lo, exec_lo, s10
	v_mov_b32_e32 v101, 0
	ds_load_b32 v101, v101 offset:68
	s_wait_dscnt 0x0
	v_mul_f32_e32 v100, v100, v101
	scratch_store_b32 off, v100, off offset:68
.LBB47_296:
	;; [unrolled: 58-line block ×3, first 2 shown]
	s_wait_xcnt 0x0
	s_or_b32 exec_lo, exec_lo, s9
	scratch_load_b32 v100, off, off offset:60
	v_cmp_lt_u32_e64 s1, 15, v0
	s_wait_loadcnt 0x0
	ds_store_b32 v1, v100
	s_wait_storecnt_dscnt 0x0
	s_barrier_signal -1
	s_barrier_wait -1
	s_wait_xcnt 0x0
	s_and_saveexec_b32 s9, s1
	s_cbranch_execz .LBB47_316
; %bb.307:
	s_and_not1_b32 vcc_lo, exec_lo, s3
	s_cbranch_vccnz .LBB47_309
; %bb.308:
	scratch_load_b32 v100, v7, off
	ds_load_b32 v101, v1
	s_wait_loadcnt_dscnt 0x0
	v_mul_f32_e32 v100, v100, v101
	s_cbranch_execz .LBB47_310
	s_branch .LBB47_311
.LBB47_309:
                                        ; implicit-def: $vgpr100
.LBB47_310:
	ds_load_b32 v100, v1
.LBB47_311:
	s_and_saveexec_b32 s10, s0
	s_cbranch_execz .LBB47_315
; %bb.312:
	v_add_nc_u32_e32 v101, -16, v0
	s_movk_i32 s11, 0x100
	s_mov_b32 s0, 0
.LBB47_313:                             ; =>This Inner Loop Header: Depth=1
	scratch_load_b32 v102, off, s8
	v_dual_mov_b32 v103, s11 :: v_dual_add_nc_u32 v101, -1, v101
	s_add_co_i32 s11, s11, 4
	s_wait_xcnt 0x0
	s_add_co_i32 s8, s8, 4
	ds_load_b32 v103, v103
	v_cmp_eq_u32_e32 vcc_lo, 0, v101
	s_or_b32 s0, vcc_lo, s0
	s_wait_loadcnt_dscnt 0x0
	v_fmac_f32_e32 v100, v102, v103
	s_and_not1_b32 exec_lo, exec_lo, s0
	s_cbranch_execnz .LBB47_313
; %bb.314:
	s_or_b32 exec_lo, exec_lo, s0
.LBB47_315:
	s_delay_alu instid0(SALU_CYCLE_1)
	s_or_b32 exec_lo, exec_lo, s10
	v_mov_b32_e32 v101, 0
	ds_load_b32 v101, v101 offset:60
	s_wait_dscnt 0x0
	v_mul_f32_e32 v100, v100, v101
	scratch_store_b32 off, v100, off offset:60
.LBB47_316:
	s_wait_xcnt 0x0
	s_or_b32 exec_lo, exec_lo, s9
	scratch_load_b32 v100, off, off offset:56
	v_cmp_lt_u32_e64 s0, 14, v0
	s_wait_loadcnt 0x0
	ds_store_b32 v1, v100
	s_wait_storecnt_dscnt 0x0
	s_barrier_signal -1
	s_barrier_wait -1
	s_wait_xcnt 0x0
	s_and_saveexec_b32 s8, s0
	s_cbranch_execz .LBB47_326
; %bb.317:
	s_and_not1_b32 vcc_lo, exec_lo, s3
	s_cbranch_vccnz .LBB47_319
; %bb.318:
	scratch_load_b32 v100, v7, off
	ds_load_b32 v101, v1
	s_wait_loadcnt_dscnt 0x0
	v_mul_f32_e32 v100, v100, v101
	s_cbranch_execz .LBB47_320
	s_branch .LBB47_321
.LBB47_319:
                                        ; implicit-def: $vgpr100
.LBB47_320:
	ds_load_b32 v100, v1
.LBB47_321:
	s_and_saveexec_b32 s9, s1
	s_cbranch_execz .LBB47_325
; %bb.322:
	v_add_nc_u32_e32 v101, -15, v0
	s_mov_b32 s1, 60
	s_movk_i32 s11, 0xfc
	s_mov_b32 s10, 0
.LBB47_323:                             ; =>This Inner Loop Header: Depth=1
	scratch_load_b32 v102, off, s1
	v_dual_mov_b32 v103, s11 :: v_dual_add_nc_u32 v101, -1, v101
	s_add_co_i32 s11, s11, 4
	s_wait_xcnt 0x0
	s_add_co_i32 s1, s1, 4
	ds_load_b32 v103, v103
	v_cmp_eq_u32_e32 vcc_lo, 0, v101
	s_or_b32 s10, vcc_lo, s10
	s_wait_loadcnt_dscnt 0x0
	v_fmac_f32_e32 v100, v102, v103
	s_and_not1_b32 exec_lo, exec_lo, s10
	s_cbranch_execnz .LBB47_323
; %bb.324:
	s_or_b32 exec_lo, exec_lo, s10
.LBB47_325:
	s_delay_alu instid0(SALU_CYCLE_1)
	s_or_b32 exec_lo, exec_lo, s9
	v_mov_b32_e32 v101, 0
	ds_load_b32 v101, v101 offset:56
	s_wait_dscnt 0x0
	v_mul_f32_e32 v100, v100, v101
	scratch_store_b32 off, v100, off offset:56
.LBB47_326:
	s_wait_xcnt 0x0
	s_or_b32 exec_lo, exec_lo, s8
	scratch_load_b32 v100, off, off offset:52
	v_cmp_lt_u32_e64 s1, 13, v0
	s_wait_loadcnt 0x0
	ds_store_b32 v1, v100
	s_wait_storecnt_dscnt 0x0
	s_barrier_signal -1
	s_barrier_wait -1
	s_wait_xcnt 0x0
	s_and_saveexec_b32 s8, s1
	s_cbranch_execz .LBB47_336
; %bb.327:
	s_and_not1_b32 vcc_lo, exec_lo, s3
	s_cbranch_vccnz .LBB47_329
; %bb.328:
	scratch_load_b32 v100, v7, off
	ds_load_b32 v101, v1
	s_wait_loadcnt_dscnt 0x0
	v_mul_f32_e32 v100, v100, v101
	s_cbranch_execz .LBB47_330
	s_branch .LBB47_331
.LBB47_329:
                                        ; implicit-def: $vgpr100
.LBB47_330:
	ds_load_b32 v100, v1
.LBB47_331:
	s_and_saveexec_b32 s9, s0
	s_cbranch_execz .LBB47_335
; %bb.332:
	v_add_nc_u32_e32 v101, -14, v0
	s_mov_b32 s0, 56
	s_movk_i32 s11, 0xf8
	s_mov_b32 s10, 0
.LBB47_333:                             ; =>This Inner Loop Header: Depth=1
	scratch_load_b32 v102, off, s0
	v_dual_mov_b32 v103, s11 :: v_dual_add_nc_u32 v101, -1, v101
	s_add_co_i32 s11, s11, 4
	s_wait_xcnt 0x0
	s_add_co_i32 s0, s0, 4
	ds_load_b32 v103, v103
	v_cmp_eq_u32_e32 vcc_lo, 0, v101
	s_or_b32 s10, vcc_lo, s10
	s_wait_loadcnt_dscnt 0x0
	v_fmac_f32_e32 v100, v102, v103
	s_and_not1_b32 exec_lo, exec_lo, s10
	s_cbranch_execnz .LBB47_333
; %bb.334:
	s_or_b32 exec_lo, exec_lo, s10
.LBB47_335:
	s_delay_alu instid0(SALU_CYCLE_1)
	s_or_b32 exec_lo, exec_lo, s9
	v_mov_b32_e32 v101, 0
	ds_load_b32 v101, v101 offset:52
	s_wait_dscnt 0x0
	v_mul_f32_e32 v100, v100, v101
	scratch_store_b32 off, v100, off offset:52
.LBB47_336:
	;; [unrolled: 58-line block ×3, first 2 shown]
	s_wait_xcnt 0x0
	s_or_b32 exec_lo, exec_lo, s8
	scratch_load_b32 v100, off, off offset:44
	v_cmp_lt_u32_e64 s1, 11, v0
	s_wait_loadcnt 0x0
	ds_store_b32 v1, v100
	s_wait_storecnt_dscnt 0x0
	s_barrier_signal -1
	s_barrier_wait -1
	s_wait_xcnt 0x0
	s_and_saveexec_b32 s8, s1
	s_cbranch_execz .LBB47_356
; %bb.347:
	s_and_not1_b32 vcc_lo, exec_lo, s3
	s_cbranch_vccnz .LBB47_349
; %bb.348:
	scratch_load_b32 v100, v7, off
	ds_load_b32 v101, v1
	s_wait_loadcnt_dscnt 0x0
	v_mul_f32_e32 v100, v100, v101
	s_cbranch_execz .LBB47_350
	s_branch .LBB47_351
.LBB47_349:
                                        ; implicit-def: $vgpr100
.LBB47_350:
	ds_load_b32 v100, v1
.LBB47_351:
	s_and_saveexec_b32 s9, s0
	s_cbranch_execz .LBB47_355
; %bb.352:
	v_add_nc_u32_e32 v101, -12, v0
	s_movk_i32 s10, 0xf0
	s_mov_b32 s0, 0
.LBB47_353:                             ; =>This Inner Loop Header: Depth=1
	scratch_load_b32 v102, off, s5
	v_dual_mov_b32 v103, s10 :: v_dual_add_nc_u32 v101, -1, v101
	s_add_co_i32 s10, s10, 4
	s_wait_xcnt 0x0
	s_add_co_i32 s5, s5, 4
	ds_load_b32 v103, v103
	v_cmp_eq_u32_e32 vcc_lo, 0, v101
	s_or_b32 s0, vcc_lo, s0
	s_wait_loadcnt_dscnt 0x0
	v_fmac_f32_e32 v100, v102, v103
	s_and_not1_b32 exec_lo, exec_lo, s0
	s_cbranch_execnz .LBB47_353
; %bb.354:
	s_or_b32 exec_lo, exec_lo, s0
.LBB47_355:
	s_delay_alu instid0(SALU_CYCLE_1)
	s_or_b32 exec_lo, exec_lo, s9
	v_mov_b32_e32 v101, 0
	ds_load_b32 v101, v101 offset:44
	s_wait_dscnt 0x0
	v_mul_f32_e32 v100, v100, v101
	scratch_store_b32 off, v100, off offset:44
.LBB47_356:
	s_wait_xcnt 0x0
	s_or_b32 exec_lo, exec_lo, s8
	scratch_load_b32 v100, off, off offset:40
	v_cmp_lt_u32_e64 s0, 10, v0
	s_wait_loadcnt 0x0
	ds_store_b32 v1, v100
	s_wait_storecnt_dscnt 0x0
	s_barrier_signal -1
	s_barrier_wait -1
	s_wait_xcnt 0x0
	s_and_saveexec_b32 s5, s0
	s_cbranch_execz .LBB47_366
; %bb.357:
	s_and_not1_b32 vcc_lo, exec_lo, s3
	s_cbranch_vccnz .LBB47_359
; %bb.358:
	scratch_load_b32 v100, v7, off
	ds_load_b32 v101, v1
	s_wait_loadcnt_dscnt 0x0
	v_mul_f32_e32 v100, v100, v101
	s_cbranch_execz .LBB47_360
	s_branch .LBB47_361
.LBB47_359:
                                        ; implicit-def: $vgpr100
.LBB47_360:
	ds_load_b32 v100, v1
.LBB47_361:
	s_and_saveexec_b32 s8, s1
	s_cbranch_execz .LBB47_365
; %bb.362:
	v_add_nc_u32_e32 v101, -11, v0
	s_mov_b32 s1, 44
	s_movk_i32 s10, 0xec
	s_mov_b32 s9, 0
.LBB47_363:                             ; =>This Inner Loop Header: Depth=1
	scratch_load_b32 v102, off, s1
	v_dual_mov_b32 v103, s10 :: v_dual_add_nc_u32 v101, -1, v101
	s_add_co_i32 s10, s10, 4
	s_wait_xcnt 0x0
	s_add_co_i32 s1, s1, 4
	ds_load_b32 v103, v103
	v_cmp_eq_u32_e32 vcc_lo, 0, v101
	s_or_b32 s9, vcc_lo, s9
	s_wait_loadcnt_dscnt 0x0
	v_fmac_f32_e32 v100, v102, v103
	s_and_not1_b32 exec_lo, exec_lo, s9
	s_cbranch_execnz .LBB47_363
; %bb.364:
	s_or_b32 exec_lo, exec_lo, s9
.LBB47_365:
	s_delay_alu instid0(SALU_CYCLE_1)
	s_or_b32 exec_lo, exec_lo, s8
	v_mov_b32_e32 v101, 0
	ds_load_b32 v101, v101 offset:40
	s_wait_dscnt 0x0
	v_mul_f32_e32 v100, v100, v101
	scratch_store_b32 off, v100, off offset:40
.LBB47_366:
	s_wait_xcnt 0x0
	s_or_b32 exec_lo, exec_lo, s5
	scratch_load_b32 v100, off, off offset:36
	v_cmp_lt_u32_e64 s1, 9, v0
	s_wait_loadcnt 0x0
	ds_store_b32 v1, v100
	s_wait_storecnt_dscnt 0x0
	s_barrier_signal -1
	s_barrier_wait -1
	s_wait_xcnt 0x0
	s_and_saveexec_b32 s5, s1
	s_cbranch_execz .LBB47_376
; %bb.367:
	s_and_not1_b32 vcc_lo, exec_lo, s3
	s_cbranch_vccnz .LBB47_369
; %bb.368:
	scratch_load_b32 v100, v7, off
	ds_load_b32 v101, v1
	s_wait_loadcnt_dscnt 0x0
	v_mul_f32_e32 v100, v100, v101
	s_cbranch_execz .LBB47_370
	s_branch .LBB47_371
.LBB47_369:
                                        ; implicit-def: $vgpr100
.LBB47_370:
	ds_load_b32 v100, v1
.LBB47_371:
	s_and_saveexec_b32 s8, s0
	s_cbranch_execz .LBB47_375
; %bb.372:
	v_add_nc_u32_e32 v101, -10, v0
	s_mov_b32 s0, 40
	s_movk_i32 s10, 0xe8
	s_mov_b32 s9, 0
.LBB47_373:                             ; =>This Inner Loop Header: Depth=1
	scratch_load_b32 v102, off, s0
	v_dual_mov_b32 v103, s10 :: v_dual_add_nc_u32 v101, -1, v101
	s_add_co_i32 s10, s10, 4
	s_wait_xcnt 0x0
	s_add_co_i32 s0, s0, 4
	ds_load_b32 v103, v103
	v_cmp_eq_u32_e32 vcc_lo, 0, v101
	s_or_b32 s9, vcc_lo, s9
	s_wait_loadcnt_dscnt 0x0
	v_fmac_f32_e32 v100, v102, v103
	s_and_not1_b32 exec_lo, exec_lo, s9
	s_cbranch_execnz .LBB47_373
; %bb.374:
	s_or_b32 exec_lo, exec_lo, s9
.LBB47_375:
	s_delay_alu instid0(SALU_CYCLE_1)
	s_or_b32 exec_lo, exec_lo, s8
	v_mov_b32_e32 v101, 0
	ds_load_b32 v101, v101 offset:36
	s_wait_dscnt 0x0
	v_mul_f32_e32 v100, v100, v101
	scratch_store_b32 off, v100, off offset:36
.LBB47_376:
	;; [unrolled: 58-line block ×3, first 2 shown]
	s_wait_xcnt 0x0
	s_or_b32 exec_lo, exec_lo, s5
	scratch_load_b32 v100, off, off offset:28
	v_cmp_lt_u32_e64 s1, 7, v0
	s_wait_loadcnt 0x0
	ds_store_b32 v1, v100
	s_wait_storecnt_dscnt 0x0
	s_barrier_signal -1
	s_barrier_wait -1
	s_wait_xcnt 0x0
	s_and_saveexec_b32 s5, s1
	s_cbranch_execz .LBB47_396
; %bb.387:
	s_and_not1_b32 vcc_lo, exec_lo, s3
	s_cbranch_vccnz .LBB47_389
; %bb.388:
	scratch_load_b32 v100, v7, off
	ds_load_b32 v101, v1
	s_wait_loadcnt_dscnt 0x0
	v_mul_f32_e32 v100, v100, v101
	s_cbranch_execz .LBB47_390
	s_branch .LBB47_391
.LBB47_389:
                                        ; implicit-def: $vgpr100
.LBB47_390:
	ds_load_b32 v100, v1
.LBB47_391:
	s_and_saveexec_b32 s8, s0
	s_cbranch_execz .LBB47_395
; %bb.392:
	v_add_nc_u32_e32 v101, -8, v0
	s_movk_i32 s9, 0xe0
	s_mov_b32 s0, 0
.LBB47_393:                             ; =>This Inner Loop Header: Depth=1
	scratch_load_b32 v102, off, s2
	v_dual_mov_b32 v103, s9 :: v_dual_add_nc_u32 v101, -1, v101
	s_add_co_i32 s9, s9, 4
	s_wait_xcnt 0x0
	s_add_co_i32 s2, s2, 4
	ds_load_b32 v103, v103
	v_cmp_eq_u32_e32 vcc_lo, 0, v101
	s_or_b32 s0, vcc_lo, s0
	s_wait_loadcnt_dscnt 0x0
	v_fmac_f32_e32 v100, v102, v103
	s_and_not1_b32 exec_lo, exec_lo, s0
	s_cbranch_execnz .LBB47_393
; %bb.394:
	s_or_b32 exec_lo, exec_lo, s0
.LBB47_395:
	s_delay_alu instid0(SALU_CYCLE_1)
	s_or_b32 exec_lo, exec_lo, s8
	v_mov_b32_e32 v101, 0
	ds_load_b32 v101, v101 offset:28
	s_wait_dscnt 0x0
	v_mul_f32_e32 v100, v100, v101
	scratch_store_b32 off, v100, off offset:28
.LBB47_396:
	s_wait_xcnt 0x0
	s_or_b32 exec_lo, exec_lo, s5
	scratch_load_b32 v100, off, off offset:24
	v_cmp_lt_u32_e64 s0, 6, v0
	s_wait_loadcnt 0x0
	ds_store_b32 v1, v100
	s_wait_storecnt_dscnt 0x0
	s_barrier_signal -1
	s_barrier_wait -1
	s_wait_xcnt 0x0
	s_and_saveexec_b32 s2, s0
	s_cbranch_execz .LBB47_406
; %bb.397:
	s_and_not1_b32 vcc_lo, exec_lo, s3
	s_cbranch_vccnz .LBB47_399
; %bb.398:
	scratch_load_b32 v100, v7, off
	ds_load_b32 v101, v1
	s_wait_loadcnt_dscnt 0x0
	v_mul_f32_e32 v100, v100, v101
	s_cbranch_execz .LBB47_400
	s_branch .LBB47_401
.LBB47_399:
                                        ; implicit-def: $vgpr100
.LBB47_400:
	ds_load_b32 v100, v1
.LBB47_401:
	s_and_saveexec_b32 s5, s1
	s_cbranch_execz .LBB47_405
; %bb.402:
	v_add_nc_u32_e32 v101, -7, v0
	s_mov_b32 s1, 28
	s_movk_i32 s9, 0xdc
	s_mov_b32 s8, 0
.LBB47_403:                             ; =>This Inner Loop Header: Depth=1
	scratch_load_b32 v102, off, s1
	v_dual_mov_b32 v103, s9 :: v_dual_add_nc_u32 v101, -1, v101
	s_add_co_i32 s9, s9, 4
	s_wait_xcnt 0x0
	s_add_co_i32 s1, s1, 4
	ds_load_b32 v103, v103
	v_cmp_eq_u32_e32 vcc_lo, 0, v101
	s_or_b32 s8, vcc_lo, s8
	s_wait_loadcnt_dscnt 0x0
	v_fmac_f32_e32 v100, v102, v103
	s_and_not1_b32 exec_lo, exec_lo, s8
	s_cbranch_execnz .LBB47_403
; %bb.404:
	s_or_b32 exec_lo, exec_lo, s8
.LBB47_405:
	s_delay_alu instid0(SALU_CYCLE_1)
	s_or_b32 exec_lo, exec_lo, s5
	v_mov_b32_e32 v101, 0
	ds_load_b32 v101, v101 offset:24
	s_wait_dscnt 0x0
	v_mul_f32_e32 v100, v100, v101
	scratch_store_b32 off, v100, off offset:24
.LBB47_406:
	s_wait_xcnt 0x0
	s_or_b32 exec_lo, exec_lo, s2
	scratch_load_b32 v100, off, off offset:20
	v_cmp_lt_u32_e64 s1, 5, v0
	s_wait_loadcnt 0x0
	ds_store_b32 v1, v100
	s_wait_storecnt_dscnt 0x0
	s_barrier_signal -1
	s_barrier_wait -1
	s_wait_xcnt 0x0
	s_and_saveexec_b32 s2, s1
	s_cbranch_execz .LBB47_416
; %bb.407:
	s_and_not1_b32 vcc_lo, exec_lo, s3
	s_cbranch_vccnz .LBB47_409
; %bb.408:
	scratch_load_b32 v100, v7, off
	ds_load_b32 v101, v1
	s_wait_loadcnt_dscnt 0x0
	v_mul_f32_e32 v100, v100, v101
	s_cbranch_execz .LBB47_410
	s_branch .LBB47_411
.LBB47_409:
                                        ; implicit-def: $vgpr100
.LBB47_410:
	ds_load_b32 v100, v1
.LBB47_411:
	s_and_saveexec_b32 s5, s0
	s_cbranch_execz .LBB47_415
; %bb.412:
	v_add_nc_u32_e32 v101, -6, v0
	s_mov_b32 s0, 24
	s_movk_i32 s9, 0xd8
	s_mov_b32 s8, 0
.LBB47_413:                             ; =>This Inner Loop Header: Depth=1
	scratch_load_b32 v102, off, s0
	v_dual_mov_b32 v103, s9 :: v_dual_add_nc_u32 v101, -1, v101
	s_add_co_i32 s9, s9, 4
	s_wait_xcnt 0x0
	s_add_co_i32 s0, s0, 4
	ds_load_b32 v103, v103
	v_cmp_eq_u32_e32 vcc_lo, 0, v101
	s_or_b32 s8, vcc_lo, s8
	s_wait_loadcnt_dscnt 0x0
	v_fmac_f32_e32 v100, v102, v103
	s_and_not1_b32 exec_lo, exec_lo, s8
	s_cbranch_execnz .LBB47_413
; %bb.414:
	s_or_b32 exec_lo, exec_lo, s8
.LBB47_415:
	s_delay_alu instid0(SALU_CYCLE_1)
	s_or_b32 exec_lo, exec_lo, s5
	v_mov_b32_e32 v101, 0
	ds_load_b32 v101, v101 offset:20
	s_wait_dscnt 0x0
	v_mul_f32_e32 v100, v100, v101
	scratch_store_b32 off, v100, off offset:20
.LBB47_416:
	;; [unrolled: 58-line block ×3, first 2 shown]
	s_wait_xcnt 0x0
	s_or_b32 exec_lo, exec_lo, s2
	scratch_load_b32 v100, off, off offset:12
	v_cmp_lt_u32_e64 s2, 3, v0
	s_wait_loadcnt 0x0
	ds_store_b32 v1, v100
	s_wait_storecnt_dscnt 0x0
	s_barrier_signal -1
	s_barrier_wait -1
	s_wait_xcnt 0x0
	s_and_saveexec_b32 s1, s2
	s_cbranch_execz .LBB47_436
; %bb.427:
	s_and_not1_b32 vcc_lo, exec_lo, s3
	s_cbranch_vccnz .LBB47_429
; %bb.428:
	scratch_load_b32 v100, v7, off
	ds_load_b32 v101, v1
	s_wait_loadcnt_dscnt 0x0
	v_mul_f32_e32 v100, v100, v101
	s_cbranch_execz .LBB47_430
	s_branch .LBB47_431
.LBB47_429:
                                        ; implicit-def: $vgpr100
.LBB47_430:
	ds_load_b32 v100, v1
.LBB47_431:
	s_and_saveexec_b32 s5, s0
	s_cbranch_execz .LBB47_435
; %bb.432:
	v_add_nc_u32_e32 v101, -4, v0
	s_movk_i32 s8, 0xd0
	s_mov_b32 s0, 0
.LBB47_433:                             ; =>This Inner Loop Header: Depth=1
	scratch_load_b32 v102, off, s4
	v_dual_mov_b32 v103, s8 :: v_dual_add_nc_u32 v101, -1, v101
	s_add_co_i32 s8, s8, 4
	s_wait_xcnt 0x0
	s_add_co_i32 s4, s4, 4
	ds_load_b32 v103, v103
	v_cmp_eq_u32_e32 vcc_lo, 0, v101
	s_or_b32 s0, vcc_lo, s0
	s_wait_loadcnt_dscnt 0x0
	v_fmac_f32_e32 v100, v102, v103
	s_and_not1_b32 exec_lo, exec_lo, s0
	s_cbranch_execnz .LBB47_433
; %bb.434:
	s_or_b32 exec_lo, exec_lo, s0
.LBB47_435:
	s_delay_alu instid0(SALU_CYCLE_1)
	s_or_b32 exec_lo, exec_lo, s5
	v_mov_b32_e32 v101, 0
	ds_load_b32 v101, v101 offset:12
	s_wait_dscnt 0x0
	v_mul_f32_e32 v100, v100, v101
	scratch_store_b32 off, v100, off offset:12
.LBB47_436:
	s_wait_xcnt 0x0
	s_or_b32 exec_lo, exec_lo, s1
	scratch_load_b32 v100, off, off offset:8
	v_cmp_lt_u32_e64 s1, 2, v0
	s_wait_loadcnt 0x0
	ds_store_b32 v1, v100
	s_wait_storecnt_dscnt 0x0
	s_barrier_signal -1
	s_barrier_wait -1
	s_wait_xcnt 0x0
	s_and_saveexec_b32 s0, s1
	s_cbranch_execz .LBB47_446
; %bb.437:
	s_and_not1_b32 vcc_lo, exec_lo, s3
	s_cbranch_vccnz .LBB47_439
; %bb.438:
	scratch_load_b32 v100, v7, off
	ds_load_b32 v101, v1
	s_wait_loadcnt_dscnt 0x0
	v_mul_f32_e32 v100, v100, v101
	s_cbranch_execz .LBB47_440
	s_branch .LBB47_441
.LBB47_439:
                                        ; implicit-def: $vgpr100
.LBB47_440:
	ds_load_b32 v100, v1
.LBB47_441:
	s_and_saveexec_b32 s4, s2
	s_cbranch_execz .LBB47_445
; %bb.442:
	v_add_nc_u32_e32 v101, -3, v0
	s_or_b32 s2, 0, 12
	s_movk_i32 s8, 0xcc
	s_mov_b32 s5, 0
.LBB47_443:                             ; =>This Inner Loop Header: Depth=1
	scratch_load_b32 v102, off, s2
	v_dual_mov_b32 v103, s8 :: v_dual_add_nc_u32 v101, -1, v101
	s_add_co_i32 s8, s8, 4
	s_wait_xcnt 0x0
	s_add_co_i32 s2, s2, 4
	ds_load_b32 v103, v103
	v_cmp_eq_u32_e32 vcc_lo, 0, v101
	s_or_b32 s5, vcc_lo, s5
	s_wait_loadcnt_dscnt 0x0
	v_fmac_f32_e32 v100, v102, v103
	s_and_not1_b32 exec_lo, exec_lo, s5
	s_cbranch_execnz .LBB47_443
; %bb.444:
	s_or_b32 exec_lo, exec_lo, s5
.LBB47_445:
	s_delay_alu instid0(SALU_CYCLE_1)
	s_or_b32 exec_lo, exec_lo, s4
	v_mov_b32_e32 v101, 0
	ds_load_b32 v101, v101 offset:8
	s_wait_dscnt 0x0
	v_mul_f32_e32 v100, v100, v101
	scratch_store_b32 off, v100, off offset:8
.LBB47_446:
	s_wait_xcnt 0x0
	s_or_b32 exec_lo, exec_lo, s0
	scratch_load_b32 v100, off, off offset:4
	v_cmp_lt_u32_e64 s0, 1, v0
	s_wait_loadcnt 0x0
	ds_store_b32 v1, v100
	s_wait_storecnt_dscnt 0x0
	s_barrier_signal -1
	s_barrier_wait -1
	s_wait_xcnt 0x0
	s_and_saveexec_b32 s2, s0
	s_cbranch_execz .LBB47_456
; %bb.447:
	s_and_not1_b32 vcc_lo, exec_lo, s3
	s_cbranch_vccnz .LBB47_449
; %bb.448:
	scratch_load_b32 v100, v7, off
	ds_load_b32 v101, v1
	s_wait_loadcnt_dscnt 0x0
	v_mul_f32_e32 v100, v100, v101
	s_cbranch_execz .LBB47_450
	s_branch .LBB47_451
.LBB47_449:
                                        ; implicit-def: $vgpr100
.LBB47_450:
	ds_load_b32 v100, v1
.LBB47_451:
	s_and_saveexec_b32 s4, s1
	s_cbranch_execz .LBB47_455
; %bb.452:
	v_add_nc_u32_e32 v101, -2, v0
	s_or_b32 s1, 0, 8
	s_movk_i32 s8, 0xc8
	s_mov_b32 s5, 0
.LBB47_453:                             ; =>This Inner Loop Header: Depth=1
	scratch_load_b32 v102, off, s1
	v_dual_mov_b32 v103, s8 :: v_dual_add_nc_u32 v101, -1, v101
	s_add_co_i32 s8, s8, 4
	s_wait_xcnt 0x0
	s_add_co_i32 s1, s1, 4
	ds_load_b32 v103, v103
	v_cmp_eq_u32_e32 vcc_lo, 0, v101
	s_or_b32 s5, vcc_lo, s5
	s_wait_loadcnt_dscnt 0x0
	v_fmac_f32_e32 v100, v102, v103
	s_and_not1_b32 exec_lo, exec_lo, s5
	s_cbranch_execnz .LBB47_453
; %bb.454:
	s_or_b32 exec_lo, exec_lo, s5
.LBB47_455:
	s_delay_alu instid0(SALU_CYCLE_1)
	s_or_b32 exec_lo, exec_lo, s4
	v_mov_b32_e32 v101, 0
	ds_load_b32 v101, v101 offset:4
	s_wait_dscnt 0x0
	v_mul_f32_e32 v100, v100, v101
	scratch_store_b32 off, v100, off offset:4
.LBB47_456:
	s_wait_xcnt 0x0
	s_or_b32 exec_lo, exec_lo, s2
	scratch_load_b32 v100, off, off
	s_mov_b32 s1, 0
	s_mov_b32 s2, exec_lo
	s_wait_loadcnt 0x0
	ds_store_b32 v1, v100
	s_wait_storecnt_dscnt 0x0
	s_barrier_signal -1
	s_barrier_wait -1
	s_wait_xcnt 0x0
	v_cmpx_ne_u32_e32 0, v0
	s_cbranch_execz .LBB47_466
; %bb.457:
	s_and_not1_b32 vcc_lo, exec_lo, s3
	s_cbranch_vccnz .LBB47_459
; %bb.458:
	scratch_load_b32 v100, v7, off
	ds_load_b32 v101, v1
	s_wait_loadcnt_dscnt 0x0
	v_mul_f32_e32 v100, v100, v101
	s_cbranch_execz .LBB47_460
	s_branch .LBB47_461
.LBB47_459:
                                        ; implicit-def: $vgpr100
.LBB47_460:
	ds_load_b32 v100, v1
.LBB47_461:
	s_and_saveexec_b32 s4, s0
	s_cbranch_execz .LBB47_465
; %bb.462:
	v_add_nc_u32_e32 v101, -1, v0
	s_or_b32 s0, 0, 4
	s_movk_i32 s8, 0xc4
	s_mov_b32 s5, 0
.LBB47_463:                             ; =>This Inner Loop Header: Depth=1
	scratch_load_b32 v102, off, s0
	v_dual_mov_b32 v103, s8 :: v_dual_add_nc_u32 v101, -1, v101
	s_add_co_i32 s8, s8, 4
	s_wait_xcnt 0x0
	s_add_co_i32 s0, s0, 4
	ds_load_b32 v103, v103
	v_cmp_eq_u32_e32 vcc_lo, 0, v101
	s_or_b32 s5, vcc_lo, s5
	s_wait_loadcnt_dscnt 0x0
	v_fmac_f32_e32 v100, v102, v103
	s_and_not1_b32 exec_lo, exec_lo, s5
	s_cbranch_execnz .LBB47_463
; %bb.464:
	s_or_b32 exec_lo, exec_lo, s5
.LBB47_465:
	s_delay_alu instid0(SALU_CYCLE_1)
	s_or_b32 exec_lo, exec_lo, s4
	v_mov_b32_e32 v101, 0
	ds_load_b32 v101, v101
	s_wait_dscnt 0x0
	v_mul_f32_e32 v100, v100, v101
	scratch_store_b32 off, v100, off
.LBB47_466:
	s_wait_xcnt 0x0
	s_or_b32 exec_lo, exec_lo, s2
.LBB47_467:
	v_lshl_add_u64 v[116:117], v[8:9], 2, s[6:7]
	v_lshl_add_u64 v[118:119], v[10:11], 2, s[6:7]
	;; [unrolled: 1-line block ×46, first 2 shown]
	s_and_b32 vcc_lo, exec_lo, s1
	s_cbranch_vccz .LBB47_929
; %bb.468:
	scratch_load_b32 v80, off, off offset:4
	v_cmp_eq_u32_e64 s0, 0, v0
	s_wait_loadcnt 0x0
	ds_store_b32 v1, v80
	s_wait_storecnt_dscnt 0x0
	s_barrier_signal -1
	s_barrier_wait -1
	s_wait_xcnt 0x0
	s_and_saveexec_b32 s1, s0
	s_cbranch_execz .LBB47_474
; %bb.469:
	s_and_b32 vcc_lo, exec_lo, s3
	s_cbranch_vccz .LBB47_471
; %bb.470:
	scratch_load_b32 v80, v7, off
	ds_load_b32 v81, v1
	s_wait_loadcnt_dscnt 0x0
	v_mul_f32_e32 v80, v80, v81
	s_cbranch_execz .LBB47_472
	s_branch .LBB47_473
.LBB47_471:
                                        ; implicit-def: $vgpr80
.LBB47_472:
	ds_load_b32 v80, v1
.LBB47_473:
	v_mov_b32_e32 v81, 0
	ds_load_b32 v81, v81 offset:4
	s_wait_dscnt 0x0
	v_mul_f32_e32 v80, v80, v81
	scratch_store_b32 off, v80, off offset:4
.LBB47_474:
	s_wait_xcnt 0x0
	s_or_b32 exec_lo, exec_lo, s1
	scratch_load_b32 v81, off, off offset:8
	v_cndmask_b32_e64 v80, 0, 1, s3
	s_mov_b32 s1, exec_lo
	s_wait_loadcnt 0x0
	ds_store_b32 v1, v81
	s_wait_storecnt_dscnt 0x0
	s_barrier_signal -1
	s_barrier_wait -1
	s_wait_xcnt 0x0
	v_cmpx_gt_u32_e32 2, v0
	s_cbranch_execz .LBB47_480
; %bb.475:
	s_and_not1_b32 vcc_lo, exec_lo, s3
	s_cbranch_vccnz .LBB47_477
; %bb.476:
	scratch_load_b32 v81, v7, off
	ds_load_b32 v82, v1
	s_wait_loadcnt_dscnt 0x0
	v_mul_f32_e32 v81, v81, v82
	s_cbranch_execz .LBB47_478
	s_branch .LBB47_479
.LBB47_477:
                                        ; implicit-def: $vgpr81
.LBB47_478:
	ds_load_b32 v81, v1
.LBB47_479:
	scratch_load_b32 v84, off, off offset:4
	v_mov_b32_e32 v82, 0
	ds_load_2addr_b32 v[82:83], v82 offset0:2 offset1:49
	s_wait_loadcnt_dscnt 0x0
	v_fma_f32 v83, v84, v83, v81
	s_delay_alu instid0(VALU_DEP_1) | instskip(NEXT) | instid1(VALU_DEP_1)
	v_cndmask_b32_e64 v81, v81, v83, s0
	v_mul_f32_e32 v81, v81, v82
	scratch_store_b32 off, v81, off offset:8
.LBB47_480:
	s_wait_xcnt 0x0
	s_or_b32 exec_lo, exec_lo, s1
	scratch_load_b32 v81, off, off offset:12
	s_mov_b32 s1, exec_lo
	s_wait_loadcnt 0x0
	ds_store_b32 v1, v81
	s_wait_storecnt_dscnt 0x0
	s_barrier_signal -1
	s_barrier_wait -1
	s_wait_xcnt 0x0
	v_cmpx_gt_u32_e32 3, v0
	s_cbranch_execz .LBB47_488
; %bb.481:
	v_cmp_ne_u32_e32 vcc_lo, 1, v80
	s_cbranch_vccnz .LBB47_483
; %bb.482:
	scratch_load_b32 v81, v7, off
	ds_load_b32 v82, v1
	s_wait_loadcnt_dscnt 0x0
	v_mul_f32_e32 v81, v81, v82
	s_cbranch_execz .LBB47_484
	s_branch .LBB47_485
.LBB47_483:
                                        ; implicit-def: $vgpr81
.LBB47_484:
	ds_load_b32 v81, v1
.LBB47_485:
	s_mov_b32 s2, exec_lo
	v_cmpx_ne_u32_e32 2, v0
	s_cbranch_execz .LBB47_487
; %bb.486:
	scratch_load_b32 v82, v7, off offset:4
	scratch_load_b32 v83, off, off offset:8
	ds_load_b32 v84, v1 offset:4
	v_mov_b32_e32 v85, 0
	ds_load_b32 v85, v85 offset:200
	s_wait_loadcnt_dscnt 0x101
	v_fmac_f32_e32 v81, v82, v84
	s_wait_loadcnt_dscnt 0x0
	s_delay_alu instid0(VALU_DEP_1) | instskip(NEXT) | instid1(VALU_DEP_1)
	v_fma_f32 v82, v83, v85, v81
	v_cndmask_b32_e64 v81, v81, v82, s0
.LBB47_487:
	s_or_b32 exec_lo, exec_lo, s2
	v_mov_b32_e32 v82, 0
	ds_load_b32 v82, v82 offset:12
	s_wait_dscnt 0x0
	v_mul_f32_e32 v81, v81, v82
	scratch_store_b32 off, v81, off offset:12
.LBB47_488:
	s_wait_xcnt 0x0
	s_or_b32 exec_lo, exec_lo, s1
	scratch_load_b32 v81, off, off offset:16
	s_mov_b32 s0, exec_lo
	s_wait_loadcnt 0x0
	ds_store_b32 v1, v81
	s_wait_storecnt_dscnt 0x0
	s_barrier_signal -1
	s_barrier_wait -1
	s_wait_xcnt 0x0
	v_cmpx_gt_u32_e32 4, v0
	s_cbranch_execz .LBB47_498
; %bb.489:
	v_cmp_ne_u32_e32 vcc_lo, 1, v80
	s_cbranch_vccnz .LBB47_491
; %bb.490:
	scratch_load_b32 v81, v7, off
	ds_load_b32 v82, v1
	s_wait_loadcnt_dscnt 0x0
	v_mul_f32_e32 v81, v81, v82
	s_cbranch_execz .LBB47_492
	s_branch .LBB47_493
.LBB47_491:
                                        ; implicit-def: $vgpr81
.LBB47_492:
	ds_load_b32 v81, v1
.LBB47_493:
	s_mov_b32 s1, exec_lo
	v_cmpx_ne_u32_e32 3, v0
	s_cbranch_execz .LBB47_497
; %bb.494:
	v_add_nc_u32_e32 v82, 0xc4, v6
	v_add3_u32 v83, 0, v6, 4
	v_mov_b32_e32 v84, v0
	s_mov_b32 s2, 0
.LBB47_495:                             ; =>This Inner Loop Header: Depth=1
	scratch_load_b32 v85, v83, off
	ds_load_b32 v86, v82
	v_dual_add_nc_u32 v84, 1, v84 :: v_dual_add_nc_u32 v82, 4, v82
	s_wait_xcnt 0x0
	v_add_nc_u32_e32 v83, 4, v83
	s_delay_alu instid0(VALU_DEP_2)
	v_cmp_lt_u32_e32 vcc_lo, 2, v84
	s_or_b32 s2, vcc_lo, s2
	s_wait_loadcnt_dscnt 0x0
	v_fmac_f32_e32 v81, v85, v86
	s_and_not1_b32 exec_lo, exec_lo, s2
	s_cbranch_execnz .LBB47_495
; %bb.496:
	s_or_b32 exec_lo, exec_lo, s2
.LBB47_497:
	s_delay_alu instid0(SALU_CYCLE_1)
	s_or_b32 exec_lo, exec_lo, s1
	v_mov_b32_e32 v82, 0
	ds_load_b32 v82, v82 offset:16
	s_wait_dscnt 0x0
	v_mul_f32_e32 v81, v81, v82
	scratch_store_b32 off, v81, off offset:16
.LBB47_498:
	s_wait_xcnt 0x0
	s_or_b32 exec_lo, exec_lo, s0
	scratch_load_b32 v81, off, off offset:20
	s_mov_b32 s0, exec_lo
	s_wait_loadcnt 0x0
	ds_store_b32 v1, v81
	s_wait_storecnt_dscnt 0x0
	s_barrier_signal -1
	s_barrier_wait -1
	s_wait_xcnt 0x0
	v_cmpx_gt_u32_e32 5, v0
	s_cbranch_execz .LBB47_508
; %bb.499:
	v_cmp_ne_u32_e32 vcc_lo, 1, v80
	s_cbranch_vccnz .LBB47_501
; %bb.500:
	scratch_load_b32 v81, v7, off
	ds_load_b32 v82, v1
	s_wait_loadcnt_dscnt 0x0
	v_mul_f32_e32 v81, v81, v82
	s_cbranch_execz .LBB47_502
	s_branch .LBB47_503
.LBB47_501:
                                        ; implicit-def: $vgpr81
.LBB47_502:
	ds_load_b32 v81, v1
.LBB47_503:
	s_mov_b32 s1, exec_lo
	v_cmpx_ne_u32_e32 4, v0
	s_cbranch_execz .LBB47_507
; %bb.504:
	v_add_nc_u32_e32 v82, 0xc4, v6
	v_add3_u32 v83, 0, v6, 4
	v_mov_b32_e32 v84, v0
	s_mov_b32 s2, 0
.LBB47_505:                             ; =>This Inner Loop Header: Depth=1
	scratch_load_b32 v85, v83, off
	ds_load_b32 v86, v82
	v_dual_add_nc_u32 v84, 1, v84 :: v_dual_add_nc_u32 v82, 4, v82
	s_wait_xcnt 0x0
	v_add_nc_u32_e32 v83, 4, v83
	s_delay_alu instid0(VALU_DEP_2)
	v_cmp_lt_u32_e32 vcc_lo, 3, v84
	s_or_b32 s2, vcc_lo, s2
	s_wait_loadcnt_dscnt 0x0
	v_fmac_f32_e32 v81, v85, v86
	s_and_not1_b32 exec_lo, exec_lo, s2
	s_cbranch_execnz .LBB47_505
; %bb.506:
	s_or_b32 exec_lo, exec_lo, s2
.LBB47_507:
	s_delay_alu instid0(SALU_CYCLE_1)
	s_or_b32 exec_lo, exec_lo, s1
	v_mov_b32_e32 v82, 0
	ds_load_b32 v82, v82 offset:20
	s_wait_dscnt 0x0
	v_mul_f32_e32 v81, v81, v82
	scratch_store_b32 off, v81, off offset:20
.LBB47_508:
	;; [unrolled: 59-line block ×42, first 2 shown]
	s_wait_xcnt 0x0
	s_or_b32 exec_lo, exec_lo, s0
	scratch_load_b32 v81, off, off offset:184
	v_cmp_gt_u32_e64 s0, 46, v0
	s_wait_loadcnt 0x0
	ds_store_b32 v1, v81
	s_wait_storecnt_dscnt 0x0
	s_barrier_signal -1
	s_barrier_wait -1
	s_wait_xcnt 0x0
	s_and_saveexec_b32 s1, s0
	s_cbranch_execz .LBB47_918
; %bb.909:
	v_cmp_ne_u32_e32 vcc_lo, 1, v80
	s_cbranch_vccnz .LBB47_911
; %bb.910:
	scratch_load_b32 v81, v7, off
	ds_load_b32 v82, v1
	s_wait_loadcnt_dscnt 0x0
	v_mul_f32_e32 v81, v81, v82
	s_cbranch_execz .LBB47_912
	s_branch .LBB47_913
.LBB47_911:
                                        ; implicit-def: $vgpr81
.LBB47_912:
	ds_load_b32 v81, v1
.LBB47_913:
	s_mov_b32 s2, exec_lo
	v_cmpx_ne_u32_e32 45, v0
	s_cbranch_execz .LBB47_917
; %bb.914:
	v_add_nc_u32_e32 v82, 0xc4, v6
	v_add3_u32 v83, 0, v6, 4
	v_mov_b32_e32 v84, v0
	s_mov_b32 s3, 0
.LBB47_915:                             ; =>This Inner Loop Header: Depth=1
	scratch_load_b32 v85, v83, off
	ds_load_b32 v86, v82
	v_dual_add_nc_u32 v84, 1, v84 :: v_dual_add_nc_u32 v82, 4, v82
	s_wait_xcnt 0x0
	v_add_nc_u32_e32 v83, 4, v83
	s_delay_alu instid0(VALU_DEP_2)
	v_cmp_lt_u32_e32 vcc_lo, 44, v84
	s_or_b32 s3, vcc_lo, s3
	s_wait_loadcnt_dscnt 0x0
	v_fmac_f32_e32 v81, v85, v86
	s_and_not1_b32 exec_lo, exec_lo, s3
	s_cbranch_execnz .LBB47_915
; %bb.916:
	s_or_b32 exec_lo, exec_lo, s3
.LBB47_917:
	s_delay_alu instid0(SALU_CYCLE_1)
	s_or_b32 exec_lo, exec_lo, s2
	v_mov_b32_e32 v82, 0
	ds_load_b32 v82, v82 offset:184
	s_wait_dscnt 0x0
	v_mul_f32_e32 v81, v81, v82
	scratch_store_b32 off, v81, off offset:184
.LBB47_918:
	s_wait_xcnt 0x0
	s_or_b32 exec_lo, exec_lo, s1
	scratch_load_b32 v81, off, off offset:188
	s_mov_b32 s1, exec_lo
	s_wait_loadcnt 0x0
	ds_store_b32 v1, v81
	s_wait_storecnt_dscnt 0x0
	s_barrier_signal -1
	s_barrier_wait -1
	s_wait_xcnt 0x0
	v_cmpx_ne_u32_e32 47, v0
	s_cbranch_execz .LBB47_928
; %bb.919:
	v_cmp_ne_u32_e32 vcc_lo, 1, v80
	s_cbranch_vccnz .LBB47_921
; %bb.920:
	scratch_load_b32 v7, v7, off
	ds_load_b32 v80, v1
	s_wait_loadcnt_dscnt 0x0
	v_mul_f32_e32 v7, v7, v80
	s_cbranch_execz .LBB47_922
	s_branch .LBB47_923
.LBB47_921:
                                        ; implicit-def: $vgpr7
.LBB47_922:
	ds_load_b32 v7, v1
.LBB47_923:
	s_and_saveexec_b32 s2, s0
	s_cbranch_execz .LBB47_927
; %bb.924:
	v_add_nc_u32_e32 v1, 0xc4, v6
	v_add3_u32 v6, 0, v6, 4
	s_mov_b32 s0, 0
.LBB47_925:                             ; =>This Inner Loop Header: Depth=1
	scratch_load_b32 v80, v6, off
	ds_load_b32 v81, v1
	v_dual_add_nc_u32 v0, 1, v0 :: v_dual_add_nc_u32 v1, 4, v1
	s_wait_xcnt 0x0
	v_add_nc_u32_e32 v6, 4, v6
	s_delay_alu instid0(VALU_DEP_2)
	v_cmp_lt_u32_e32 vcc_lo, 45, v0
	s_or_b32 s0, vcc_lo, s0
	s_wait_loadcnt_dscnt 0x0
	v_fmac_f32_e32 v7, v80, v81
	s_and_not1_b32 exec_lo, exec_lo, s0
	s_cbranch_execnz .LBB47_925
; %bb.926:
	s_or_b32 exec_lo, exec_lo, s0
.LBB47_927:
	s_delay_alu instid0(SALU_CYCLE_1)
	s_or_b32 exec_lo, exec_lo, s2
	v_mov_b32_e32 v0, 0
	ds_load_b32 v0, v0 offset:188
	s_wait_dscnt 0x0
	v_mul_f32_e32 v0, v7, v0
	scratch_store_b32 off, v0, off offset:188
.LBB47_928:
	s_wait_xcnt 0x0
	s_or_b32 exec_lo, exec_lo, s1
.LBB47_929:
	s_clause 0x2
	scratch_load_b128 v[80:83], off, off
	scratch_load_b128 v[84:87], off, off offset:16
	scratch_load_b128 v[88:91], off, off offset:32
	s_wait_loadcnt 0x2
	s_clause 0x1
	global_store_b32 v[2:3], v80, off
	global_store_b32 v[4:5], v81, off
	scratch_load_b128 v[0:3], off, off offset:48
	s_clause 0x1
	global_store_b32 v[116:117], v82, off
	global_store_b32 v[118:119], v83, off
	s_clause 0x1
	scratch_load_b128 v[4:7], off, off offset:64
	scratch_load_b128 v[80:83], off, off offset:80
	s_wait_loadcnt 0x4
	s_clause 0x1
	global_store_b32 v[112:113], v84, off
	global_store_b32 v[114:115], v85, off
	scratch_load_b128 v[92:95], off, off offset:96
	s_clause 0x1
	global_store_b32 v[108:109], v86, off
	global_store_b32 v[110:111], v87, off
	s_clause 0x1
	;; [unrolled: 11-line block ×3, first 2 shown]
	scratch_load_b128 v[88:91], off, off offset:160
	scratch_load_b128 v[100:103], off, off offset:176
	s_wait_loadcnt 0x8
	s_clause 0x3
	global_store_b32 v[8:9], v0, off
	global_store_b32 v[10:11], v1, off
	global_store_b32 v[12:13], v2, off
	global_store_b32 v[14:15], v3, off
	s_wait_loadcnt 0x7
	s_clause 0x3
	global_store_b32 v[16:17], v4, off
	global_store_b32 v[18:19], v5, off
	global_store_b32 v[20:21], v6, off
	global_store_b32 v[22:23], v7, off
	;; [unrolled: 6-line block ×9, first 2 shown]
.LBB47_930:
	s_sendmsg sendmsg(MSG_DEALLOC_VGPRS)
	s_endpgm
	.section	.rodata,"a",@progbits
	.p2align	6, 0x0
	.amdhsa_kernel _ZN9rocsolver6v33100L18trti2_kernel_smallILi48EfPfEEv13rocblas_fill_17rocblas_diagonal_T1_iil
		.amdhsa_group_segment_fixed_size 384
		.amdhsa_private_segment_fixed_size 208
		.amdhsa_kernarg_size 32
		.amdhsa_user_sgpr_count 2
		.amdhsa_user_sgpr_dispatch_ptr 0
		.amdhsa_user_sgpr_queue_ptr 0
		.amdhsa_user_sgpr_kernarg_segment_ptr 1
		.amdhsa_user_sgpr_dispatch_id 0
		.amdhsa_user_sgpr_kernarg_preload_length 0
		.amdhsa_user_sgpr_kernarg_preload_offset 0
		.amdhsa_user_sgpr_private_segment_size 0
		.amdhsa_wavefront_size32 1
		.amdhsa_uses_dynamic_stack 0
		.amdhsa_enable_private_segment 1
		.amdhsa_system_sgpr_workgroup_id_x 1
		.amdhsa_system_sgpr_workgroup_id_y 0
		.amdhsa_system_sgpr_workgroup_id_z 0
		.amdhsa_system_sgpr_workgroup_info 0
		.amdhsa_system_vgpr_workitem_id 0
		.amdhsa_next_free_vgpr 120
		.amdhsa_next_free_sgpr 20
		.amdhsa_named_barrier_count 0
		.amdhsa_reserve_vcc 1
		.amdhsa_float_round_mode_32 0
		.amdhsa_float_round_mode_16_64 0
		.amdhsa_float_denorm_mode_32 3
		.amdhsa_float_denorm_mode_16_64 3
		.amdhsa_fp16_overflow 0
		.amdhsa_memory_ordered 1
		.amdhsa_forward_progress 1
		.amdhsa_inst_pref_size 209
		.amdhsa_round_robin_scheduling 0
		.amdhsa_exception_fp_ieee_invalid_op 0
		.amdhsa_exception_fp_denorm_src 0
		.amdhsa_exception_fp_ieee_div_zero 0
		.amdhsa_exception_fp_ieee_overflow 0
		.amdhsa_exception_fp_ieee_underflow 0
		.amdhsa_exception_fp_ieee_inexact 0
		.amdhsa_exception_int_div_zero 0
	.end_amdhsa_kernel
	.section	.text._ZN9rocsolver6v33100L18trti2_kernel_smallILi48EfPfEEv13rocblas_fill_17rocblas_diagonal_T1_iil,"axG",@progbits,_ZN9rocsolver6v33100L18trti2_kernel_smallILi48EfPfEEv13rocblas_fill_17rocblas_diagonal_T1_iil,comdat
.Lfunc_end47:
	.size	_ZN9rocsolver6v33100L18trti2_kernel_smallILi48EfPfEEv13rocblas_fill_17rocblas_diagonal_T1_iil, .Lfunc_end47-_ZN9rocsolver6v33100L18trti2_kernel_smallILi48EfPfEEv13rocblas_fill_17rocblas_diagonal_T1_iil
                                        ; -- End function
	.set _ZN9rocsolver6v33100L18trti2_kernel_smallILi48EfPfEEv13rocblas_fill_17rocblas_diagonal_T1_iil.num_vgpr, 120
	.set _ZN9rocsolver6v33100L18trti2_kernel_smallILi48EfPfEEv13rocblas_fill_17rocblas_diagonal_T1_iil.num_agpr, 0
	.set _ZN9rocsolver6v33100L18trti2_kernel_smallILi48EfPfEEv13rocblas_fill_17rocblas_diagonal_T1_iil.numbered_sgpr, 20
	.set _ZN9rocsolver6v33100L18trti2_kernel_smallILi48EfPfEEv13rocblas_fill_17rocblas_diagonal_T1_iil.num_named_barrier, 0
	.set _ZN9rocsolver6v33100L18trti2_kernel_smallILi48EfPfEEv13rocblas_fill_17rocblas_diagonal_T1_iil.private_seg_size, 208
	.set _ZN9rocsolver6v33100L18trti2_kernel_smallILi48EfPfEEv13rocblas_fill_17rocblas_diagonal_T1_iil.uses_vcc, 1
	.set _ZN9rocsolver6v33100L18trti2_kernel_smallILi48EfPfEEv13rocblas_fill_17rocblas_diagonal_T1_iil.uses_flat_scratch, 1
	.set _ZN9rocsolver6v33100L18trti2_kernel_smallILi48EfPfEEv13rocblas_fill_17rocblas_diagonal_T1_iil.has_dyn_sized_stack, 0
	.set _ZN9rocsolver6v33100L18trti2_kernel_smallILi48EfPfEEv13rocblas_fill_17rocblas_diagonal_T1_iil.has_recursion, 0
	.set _ZN9rocsolver6v33100L18trti2_kernel_smallILi48EfPfEEv13rocblas_fill_17rocblas_diagonal_T1_iil.has_indirect_call, 0
	.section	.AMDGPU.csdata,"",@progbits
; Kernel info:
; codeLenInByte = 26628
; TotalNumSgprs: 22
; NumVgprs: 120
; ScratchSize: 208
; MemoryBound: 0
; FloatMode: 240
; IeeeMode: 1
; LDSByteSize: 384 bytes/workgroup (compile time only)
; SGPRBlocks: 0
; VGPRBlocks: 7
; NumSGPRsForWavesPerEU: 22
; NumVGPRsForWavesPerEU: 120
; NamedBarCnt: 0
; Occupancy: 8
; WaveLimiterHint : 0
; COMPUTE_PGM_RSRC2:SCRATCH_EN: 1
; COMPUTE_PGM_RSRC2:USER_SGPR: 2
; COMPUTE_PGM_RSRC2:TRAP_HANDLER: 0
; COMPUTE_PGM_RSRC2:TGID_X_EN: 1
; COMPUTE_PGM_RSRC2:TGID_Y_EN: 0
; COMPUTE_PGM_RSRC2:TGID_Z_EN: 0
; COMPUTE_PGM_RSRC2:TIDIG_COMP_CNT: 0
	.section	.text._ZN9rocsolver6v33100L18trti2_kernel_smallILi49EfPfEEv13rocblas_fill_17rocblas_diagonal_T1_iil,"axG",@progbits,_ZN9rocsolver6v33100L18trti2_kernel_smallILi49EfPfEEv13rocblas_fill_17rocblas_diagonal_T1_iil,comdat
	.globl	_ZN9rocsolver6v33100L18trti2_kernel_smallILi49EfPfEEv13rocblas_fill_17rocblas_diagonal_T1_iil ; -- Begin function _ZN9rocsolver6v33100L18trti2_kernel_smallILi49EfPfEEv13rocblas_fill_17rocblas_diagonal_T1_iil
	.p2align	8
	.type	_ZN9rocsolver6v33100L18trti2_kernel_smallILi49EfPfEEv13rocblas_fill_17rocblas_diagonal_T1_iil,@function
_ZN9rocsolver6v33100L18trti2_kernel_smallILi49EfPfEEv13rocblas_fill_17rocblas_diagonal_T1_iil: ; @_ZN9rocsolver6v33100L18trti2_kernel_smallILi49EfPfEEv13rocblas_fill_17rocblas_diagonal_T1_iil
; %bb.0:
	s_mov_b32 s2, exec_lo
	v_cmpx_gt_u32_e32 49, v0
	s_cbranch_execz .LBB48_950
; %bb.1:
	s_load_b256 s[4:11], s[0:1], 0x0
	s_wait_xcnt 0x0
	s_bfe_u32 s0, ttmp6, 0x4000c
	s_and_b32 s1, ttmp6, 15
	s_add_co_i32 s0, s0, 1
	s_getreg_b32 s2, hwreg(HW_REG_IB_STS2, 6, 4)
	s_mul_i32 s0, ttmp9, s0
	v_lshlrev_b32_e32 v6, 2, v0
	s_add_co_i32 s0, s1, s0
	v_mov_b32_e32 v7, 0
	s_wait_kmcnt 0x0
	v_add3_u32 v8, s9, s9, v0
	s_ashr_i32 s1, s8, 31
	s_cmp_eq_u32 s2, 0
	s_cselect_b32 s2, ttmp9, s0
	s_delay_alu instid0(VALU_DEP_1)
	v_add_nc_u32_e32 v10, s9, v8
	s_ashr_i32 s3, s2, 31
	s_mov_b32 s0, s8
	s_mul_u64 s[2:3], s[10:11], s[2:3]
	s_lshl_b64 s[0:1], s[0:1], 2
	v_add_nc_u32_e32 v12, s9, v10
	s_lshl_b64 s[2:3], s[2:3], 2
	s_delay_alu instid0(SALU_CYCLE_1) | instskip(NEXT) | instid1(VALU_DEP_1)
	s_add_nc_u64 s[2:3], s[6:7], s[2:3]
	v_add_nc_u32_e32 v14, s9, v12
	s_add_nc_u64 s[6:7], s[2:3], s[0:1]
	s_mov_b32 s0, s9
	s_ashr_i32 s1, s9, 31
	s_cmp_lg_u32 s5, 0x84
	v_dual_add_nc_u32 v16, s9, v14 :: v_dual_ashrrev_i32 v9, 31, v8
	v_ashrrev_i32_e32 v11, 31, v10
	s_cselect_b32 s3, -1, 0
	s_cmp_eq_u32 s5, 0x84
	s_delay_alu instid0(VALU_DEP_2) | instskip(SKIP_1) | instid1(VALU_DEP_2)
	v_dual_add_nc_u32 v18, s9, v16 :: v_dual_ashrrev_i32 v17, 31, v16
	v_add_nc_u64_e32 v[2:3], s[6:7], v[6:7]
	v_dual_add_nc_u32 v20, s9, v18 :: v_dual_ashrrev_i32 v13, 31, v12
	v_ashrrev_i32_e32 v15, 31, v14
	v_ashrrev_i32_e32 v19, 31, v18
	s_delay_alu instid0(VALU_DEP_4) | instskip(NEXT) | instid1(VALU_DEP_4)
	v_lshl_add_u64 v[4:5], s[0:1], 2, v[2:3]
	v_add_nc_u32_e32 v22, s9, v20
	s_clause 0x7
	global_load_b32 v80, v0, s[6:7] scale_offset
	global_load_b32 v82, v8, s[6:7] scale_offset
	;; [unrolled: 1-line block ×7, first 2 shown]
	global_load_b32 v81, v[4:5], off
	v_add_nc_u32_e32 v24, s9, v22
	s_delay_alu instid0(VALU_DEP_1) | instskip(NEXT) | instid1(VALU_DEP_1)
	v_add_nc_u32_e32 v26, s9, v24
	v_dual_add_nc_u32 v28, s9, v26 :: v_dual_ashrrev_i32 v21, 31, v20
	s_delay_alu instid0(VALU_DEP_1) | instskip(NEXT) | instid1(VALU_DEP_1)
	v_dual_ashrrev_i32 v23, 31, v22 :: v_dual_add_nc_u32 v30, s9, v28
	v_dual_ashrrev_i32 v29, 31, v28 :: v_dual_ashrrev_i32 v31, 31, v30
	v_add_nc_u32_e32 v32, s9, v30
	s_clause 0x3
	global_load_b32 v88, v20, s[6:7] scale_offset
	global_load_b32 v89, v22, s[6:7] scale_offset
	;; [unrolled: 1-line block ×4, first 2 shown]
	v_dual_ashrrev_i32 v25, 31, v24 :: v_dual_ashrrev_i32 v27, 31, v26
	v_add_nc_u32_e32 v34, s9, v32
	s_delay_alu instid0(VALU_DEP_1) | instskip(NEXT) | instid1(VALU_DEP_1)
	v_add_nc_u32_e32 v36, s9, v34
	v_dual_add_nc_u32 v38, s9, v36 :: v_dual_ashrrev_i32 v37, 31, v36
	s_delay_alu instid0(VALU_DEP_1)
	v_dual_ashrrev_i32 v39, 31, v38 :: v_dual_add_nc_u32 v40, s9, v38
	s_clause 0x3
	global_load_b32 v92, v28, s[6:7] scale_offset
	global_load_b32 v93, v30, s[6:7] scale_offset
	;; [unrolled: 1-line block ×4, first 2 shown]
	v_dual_ashrrev_i32 v33, 31, v32 :: v_dual_ashrrev_i32 v35, 31, v34
	v_add_nc_u32_e32 v42, s9, v40
	s_delay_alu instid0(VALU_DEP_1) | instskip(NEXT) | instid1(VALU_DEP_1)
	v_add_nc_u32_e32 v44, s9, v42
	v_add_nc_u32_e32 v46, s9, v44
	s_delay_alu instid0(VALU_DEP_1) | instskip(NEXT) | instid1(VALU_DEP_1)
	v_dual_add_nc_u32 v48, s9, v46 :: v_dual_ashrrev_i32 v41, 31, v40
	v_dual_ashrrev_i32 v43, 31, v42 :: v_dual_add_nc_u32 v50, s9, v48
	s_delay_alu instid0(VALU_DEP_1)
	v_dual_ashrrev_i32 v49, 31, v48 :: v_dual_ashrrev_i32 v51, 31, v50
	v_add_nc_u32_e32 v52, s9, v50
	s_clause 0x7
	global_load_b32 v96, v36, s[6:7] scale_offset
	global_load_b32 v97, v38, s[6:7] scale_offset
	;; [unrolled: 1-line block ×8, first 2 shown]
	v_dual_ashrrev_i32 v45, 31, v44 :: v_dual_ashrrev_i32 v47, 31, v46
	v_add_nc_u32_e32 v54, s9, v52
	s_delay_alu instid0(VALU_DEP_1) | instskip(NEXT) | instid1(VALU_DEP_1)
	v_add_nc_u32_e32 v56, s9, v54
	v_add_nc_u32_e32 v58, s9, v56
	s_delay_alu instid0(VALU_DEP_1) | instskip(NEXT) | instid1(VALU_DEP_1)
	v_dual_add_nc_u32 v60, s9, v58 :: v_dual_ashrrev_i32 v53, 31, v52
	v_dual_ashrrev_i32 v55, 31, v54 :: v_dual_add_nc_u32 v62, s9, v60
	s_delay_alu instid0(VALU_DEP_1)
	v_dual_ashrrev_i32 v61, 31, v60 :: v_dual_ashrrev_i32 v63, 31, v62
	v_add_nc_u32_e32 v64, s9, v62
	s_clause 0x3
	global_load_b32 v104, v52, s[6:7] scale_offset
	global_load_b32 v105, v54, s[6:7] scale_offset
	;; [unrolled: 1-line block ×4, first 2 shown]
	v_dual_ashrrev_i32 v57, 31, v56 :: v_dual_ashrrev_i32 v59, 31, v58
	v_add_nc_u32_e32 v66, s9, v64
	s_delay_alu instid0(VALU_DEP_1) | instskip(NEXT) | instid1(VALU_DEP_1)
	v_add_nc_u32_e32 v68, s9, v66
	v_add_nc_u32_e32 v70, s9, v68
	s_delay_alu instid0(VALU_DEP_1) | instskip(NEXT) | instid1(VALU_DEP_1)
	v_dual_add_nc_u32 v72, s9, v70 :: v_dual_ashrrev_i32 v65, 31, v64
	v_dual_ashrrev_i32 v67, 31, v66 :: v_dual_add_nc_u32 v74, s9, v72
	s_delay_alu instid0(VALU_DEP_1) | instskip(SKIP_1) | instid1(VALU_DEP_1)
	v_dual_ashrrev_i32 v73, 31, v72 :: v_dual_ashrrev_i32 v75, 31, v74
	v_dual_add_nc_u32 v76, s9, v74 :: v_dual_ashrrev_i32 v69, 31, v68
	v_dual_ashrrev_i32 v71, 31, v70 :: v_dual_add_nc_u32 v78, s9, v76
	s_wait_loadcnt 0x15
	scratch_store_b128 off, v[84:87], off offset:16
	s_wait_loadcnt 0x14
	scratch_store_b128 off, v[80:83], off
	s_wait_xcnt 0x0
	v_add_nc_u32_e32 v80, s9, v78
	s_delay_alu instid0(VALU_DEP_1) | instskip(NEXT) | instid1(VALU_DEP_1)
	v_add_nc_u32_e32 v82, s9, v80
	v_dual_add_nc_u32 v84, s9, v82 :: v_dual_ashrrev_i32 v77, 31, v76
	s_delay_alu instid0(VALU_DEP_1) | instskip(NEXT) | instid1(VALU_DEP_1)
	v_dual_ashrrev_i32 v79, 31, v78 :: v_dual_add_nc_u32 v86, s9, v84
	v_dual_ashrrev_i32 v85, 31, v84 :: v_dual_ashrrev_i32 v87, 31, v86
	s_wait_loadcnt 0x10
	scratch_store_b128 off, v[88:91], off offset:32
	s_clause 0x3
	global_load_b32 v108, v60, s[6:7] scale_offset
	global_load_b32 v109, v62, s[6:7] scale_offset
	global_load_b32 v110, v64, s[6:7] scale_offset
	global_load_b32 v111, v66, s[6:7] scale_offset
	s_wait_xcnt 0x4
	v_dual_add_nc_u32 v88, s9, v86 :: v_dual_ashrrev_i32 v81, 31, v80
	s_delay_alu instid0(VALU_DEP_1)
	v_dual_ashrrev_i32 v83, 31, v82 :: v_dual_add_nc_u32 v90, s9, v88
	s_wait_loadcnt 0x10
	scratch_store_b128 off, v[92:95], off offset:48
	s_clause 0x3
	global_load_b32 v112, v68, s[6:7] scale_offset
	global_load_b32 v113, v70, s[6:7] scale_offset
	;; [unrolled: 1-line block ×4, first 2 shown]
	s_wait_xcnt 0x4
	v_add_nc_u32_e32 v92, s9, v90
	s_delay_alu instid0(VALU_DEP_1)
	v_add_nc_u32_e32 v94, s9, v92
	s_wait_loadcnt 0x10
	scratch_store_b128 off, v[96:99], off offset:64
	s_wait_xcnt 0x0
	v_dual_add_nc_u32 v96, s9, v94 :: v_dual_ashrrev_i32 v89, 31, v88
	v_ashrrev_i32_e32 v91, 31, v90
	s_wait_loadcnt 0xc
	scratch_store_b128 off, v[100:103], off offset:80
	s_clause 0x3
	global_load_b32 v100, v76, s[6:7] scale_offset
	global_load_b32 v101, v78, s[6:7] scale_offset
	;; [unrolled: 1-line block ×4, first 2 shown]
	v_dual_add_nc_u32 v98, s9, v96 :: v_dual_ashrrev_i32 v97, 31, v96
	s_delay_alu instid0(VALU_DEP_1)
	v_ashrrev_i32_e32 v99, 31, v98
	s_wait_loadcnt 0xc
	scratch_store_b128 off, v[104:107], off offset:96
	s_clause 0x3
	global_load_b32 v104, v84, s[6:7] scale_offset
	global_load_b32 v105, v86, s[6:7] scale_offset
	;; [unrolled: 1-line block ×4, first 2 shown]
	s_wait_loadcnt 0xc
	scratch_store_b128 off, v[108:111], off offset:112
	s_wait_loadcnt 0x8
	scratch_store_b128 off, v[112:115], off offset:128
	;; [unrolled: 2-line block ×3, first 2 shown]
	s_wait_xcnt 0x0
	v_add_nc_u32_e32 v100, s9, v98
	s_clause 0x3
	global_load_b32 v108, v92, s[6:7] scale_offset
	global_load_b32 v109, v94, s[6:7] scale_offset
	;; [unrolled: 1-line block ×4, first 2 shown]
	v_dual_ashrrev_i32 v93, 31, v92 :: v_dual_ashrrev_i32 v95, 31, v94
	v_dual_mov_b32 v102, -1.0 :: v_dual_ashrrev_i32 v101, 31, v100
	global_load_b32 v1, v100, s[6:7] scale_offset
	s_wait_loadcnt 0x5
	scratch_store_b128 off, v[104:107], off offset:160
	s_wait_loadcnt 0x1
	scratch_store_b128 off, v[108:111], off offset:176
	s_wait_loadcnt 0x0
	scratch_store_b32 off, v1, off offset:192
	s_cbranch_scc1 .LBB48_3
; %bb.2:
	scratch_load_b32 v1, v0, off scale_offset
	s_wait_loadcnt 0x0
	v_div_scale_f32 v7, null, v1, v1, 1.0
	s_delay_alu instid0(VALU_DEP_1) | instskip(SKIP_1) | instid1(TRANS32_DEP_1)
	v_rcp_f32_e32 v102, v7
	v_nop
	v_fma_f32 v103, -v7, v102, 1.0
	s_delay_alu instid0(VALU_DEP_1) | instskip(SKIP_1) | instid1(VALU_DEP_1)
	v_fmac_f32_e32 v102, v103, v102
	v_div_scale_f32 v103, vcc_lo, 1.0, v1, 1.0
	v_mul_f32_e32 v104, v103, v102
	s_delay_alu instid0(VALU_DEP_1) | instskip(NEXT) | instid1(VALU_DEP_1)
	v_fma_f32 v105, -v7, v104, v103
	v_fmac_f32_e32 v104, v105, v102
	s_delay_alu instid0(VALU_DEP_1) | instskip(NEXT) | instid1(VALU_DEP_1)
	v_fma_f32 v7, -v7, v104, v103
	v_div_fmas_f32 v7, v7, v102, v104
	s_delay_alu instid0(VALU_DEP_1) | instskip(NEXT) | instid1(VALU_DEP_1)
	v_div_fixup_f32 v1, v7, v1, 1.0
	v_xor_b32_e32 v102, 0x80000000, v1
	scratch_store_b32 v0, v1, off scale_offset
.LBB48_3:
	s_wait_xcnt 0x0
	v_add_nc_u32_e32 v1, 0xd0, v6
	v_mov_b32_e32 v7, v6
	s_cmp_eq_u32 s4, 0x79
	s_mov_b32 s1, -1
	ds_store_b32 v6, v102
	s_cbranch_scc1 .LBB48_477
; %bb.4:
	scratch_load_b32 v102, off, off offset:188
	v_cmp_eq_u32_e64 s0, 48, v0
	s_movk_i32 s1, 0x50
	s_movk_i32 s2, 0x60
	;; [unrolled: 1-line block ×7, first 2 shown]
	s_wait_loadcnt 0x0
	ds_store_b32 v1, v102
	s_wait_storecnt_dscnt 0x0
	s_barrier_signal -1
	s_barrier_wait -1
	s_wait_xcnt 0x0
	s_and_saveexec_b32 s4, s0
	s_cbranch_execz .LBB48_10
; %bb.5:
	s_and_b32 vcc_lo, exec_lo, s3
	s_cbranch_vccz .LBB48_7
; %bb.6:
	scratch_load_b32 v102, v7, off
	ds_load_b32 v103, v1
	s_wait_loadcnt_dscnt 0x0
	v_mul_f32_e32 v102, v102, v103
	s_cbranch_execz .LBB48_8
	s_branch .LBB48_9
.LBB48_7:
                                        ; implicit-def: $vgpr102
.LBB48_8:
	ds_load_b32 v102, v1
.LBB48_9:
	v_mov_b32_e32 v103, 0
	ds_load_b32 v103, v103 offset:188
	s_wait_dscnt 0x0
	v_mul_f32_e32 v102, v102, v103
	scratch_store_b32 off, v102, off offset:188
.LBB48_10:
	s_wait_xcnt 0x0
	s_or_b32 exec_lo, exec_lo, s4
	scratch_load_b32 v102, off, off offset:184
	s_mov_b32 s10, s1
	v_cmp_lt_u32_e64 s1, 46, v0
	s_mov_b32 s4, 16
	s_mov_b32 s5, 32
	;; [unrolled: 1-line block ×5, first 2 shown]
	s_wait_loadcnt 0x0
	ds_store_b32 v1, v102
	s_wait_storecnt_dscnt 0x0
	s_barrier_signal -1
	s_barrier_wait -1
	s_wait_xcnt 0x0
	s_and_saveexec_b32 s2, s1
	s_cbranch_execz .LBB48_16
; %bb.11:
	s_and_not1_b32 vcc_lo, exec_lo, s3
	s_cbranch_vccnz .LBB48_13
; %bb.12:
	scratch_load_b32 v102, v7, off
	ds_load_b32 v103, v1
	s_wait_loadcnt_dscnt 0x0
	v_mul_f32_e32 v102, v102, v103
	s_cbranch_execz .LBB48_14
	s_branch .LBB48_15
.LBB48_13:
                                        ; implicit-def: $vgpr102
.LBB48_14:
	ds_load_b32 v102, v1
.LBB48_15:
	scratch_load_b32 v103, off, off offset:188
	v_mov_b32_e32 v104, 0
	ds_load_2addr_b32 v[104:105], v104 offset0:46 offset1:99
	s_wait_loadcnt_dscnt 0x0
	v_fma_f32 v103, v103, v105, v102
	s_delay_alu instid0(VALU_DEP_1) | instskip(NEXT) | instid1(VALU_DEP_1)
	v_cndmask_b32_e64 v102, v102, v103, s0
	v_mul_f32_e32 v102, v102, v104
	scratch_store_b32 off, v102, off offset:184
.LBB48_16:
	s_wait_xcnt 0x0
	s_or_b32 exec_lo, exec_lo, s2
	scratch_load_b32 v102, off, off offset:180
	v_cmp_lt_u32_e64 s0, 45, v0
	s_wait_loadcnt 0x0
	ds_store_b32 v1, v102
	s_wait_storecnt_dscnt 0x0
	s_barrier_signal -1
	s_barrier_wait -1
	s_wait_xcnt 0x0
	s_and_saveexec_b32 s2, s0
	s_cbranch_execz .LBB48_26
; %bb.17:
	s_and_not1_b32 vcc_lo, exec_lo, s3
	s_cbranch_vccnz .LBB48_19
; %bb.18:
	scratch_load_b32 v102, v7, off
	ds_load_b32 v103, v1
	s_wait_loadcnt_dscnt 0x0
	v_mul_f32_e32 v102, v102, v103
	s_cbranch_execz .LBB48_20
	s_branch .LBB48_21
.LBB48_19:
                                        ; implicit-def: $vgpr102
.LBB48_20:
	ds_load_b32 v102, v1
.LBB48_21:
	s_and_saveexec_b32 s17, s1
	s_cbranch_execz .LBB48_25
; %bb.22:
	v_subrev_nc_u32_e32 v103, 46, v0
	s_movk_i32 s1, 0xb8
	s_movk_i32 s19, 0x188
	s_mov_b32 s18, 0
.LBB48_23:                              ; =>This Inner Loop Header: Depth=1
	scratch_load_b32 v104, off, s1
	v_dual_mov_b32 v105, s19 :: v_dual_add_nc_u32 v103, -1, v103
	s_add_co_i32 s19, s19, 4
	s_wait_xcnt 0x0
	s_add_co_i32 s1, s1, 4
	ds_load_b32 v105, v105
	v_cmp_eq_u32_e32 vcc_lo, 0, v103
	s_or_b32 s18, vcc_lo, s18
	s_wait_loadcnt_dscnt 0x0
	v_fmac_f32_e32 v102, v104, v105
	s_and_not1_b32 exec_lo, exec_lo, s18
	s_cbranch_execnz .LBB48_23
; %bb.24:
	s_or_b32 exec_lo, exec_lo, s18
.LBB48_25:
	s_delay_alu instid0(SALU_CYCLE_1)
	s_or_b32 exec_lo, exec_lo, s17
	v_mov_b32_e32 v103, 0
	ds_load_b32 v103, v103 offset:180
	s_wait_dscnt 0x0
	v_mul_f32_e32 v102, v102, v103
	scratch_store_b32 off, v102, off offset:180
.LBB48_26:
	s_wait_xcnt 0x0
	s_or_b32 exec_lo, exec_lo, s2
	scratch_load_b32 v102, off, off offset:176
	v_cmp_lt_u32_e64 s1, 44, v0
	s_wait_loadcnt 0x0
	ds_store_b32 v1, v102
	s_wait_storecnt_dscnt 0x0
	s_barrier_signal -1
	s_barrier_wait -1
	s_wait_xcnt 0x0
	s_and_saveexec_b32 s2, s1
	s_cbranch_execz .LBB48_36
; %bb.27:
	s_and_not1_b32 vcc_lo, exec_lo, s3
	s_cbranch_vccnz .LBB48_29
; %bb.28:
	scratch_load_b32 v102, v7, off
	ds_load_b32 v103, v1
	s_wait_loadcnt_dscnt 0x0
	v_mul_f32_e32 v102, v102, v103
	s_cbranch_execz .LBB48_30
	s_branch .LBB48_31
.LBB48_29:
                                        ; implicit-def: $vgpr102
.LBB48_30:
	ds_load_b32 v102, v1
.LBB48_31:
	s_and_saveexec_b32 s17, s0
	s_cbranch_execz .LBB48_35
; %bb.32:
	v_subrev_nc_u32_e32 v103, 45, v0
	s_movk_i32 s0, 0xb4
	s_movk_i32 s19, 0x184
	s_mov_b32 s18, 0
.LBB48_33:                              ; =>This Inner Loop Header: Depth=1
	scratch_load_b32 v104, off, s0
	v_dual_mov_b32 v105, s19 :: v_dual_add_nc_u32 v103, -1, v103
	s_add_co_i32 s19, s19, 4
	s_wait_xcnt 0x0
	s_add_co_i32 s0, s0, 4
	ds_load_b32 v105, v105
	v_cmp_eq_u32_e32 vcc_lo, 0, v103
	s_or_b32 s18, vcc_lo, s18
	s_wait_loadcnt_dscnt 0x0
	v_fmac_f32_e32 v102, v104, v105
	s_and_not1_b32 exec_lo, exec_lo, s18
	s_cbranch_execnz .LBB48_33
; %bb.34:
	s_or_b32 exec_lo, exec_lo, s18
.LBB48_35:
	s_delay_alu instid0(SALU_CYCLE_1)
	s_or_b32 exec_lo, exec_lo, s17
	v_mov_b32_e32 v103, 0
	ds_load_b32 v103, v103 offset:176
	s_wait_dscnt 0x0
	v_mul_f32_e32 v102, v102, v103
	scratch_store_b32 off, v102, off offset:176
.LBB48_36:
	s_wait_xcnt 0x0
	s_or_b32 exec_lo, exec_lo, s2
	scratch_load_b32 v102, off, off offset:172
	v_cmp_lt_u32_e64 s2, 43, v0
	s_wait_loadcnt 0x0
	ds_store_b32 v1, v102
	s_wait_storecnt_dscnt 0x0
	s_barrier_signal -1
	s_barrier_wait -1
	s_wait_xcnt 0x0
	s_and_saveexec_b32 s0, s2
	s_cbranch_execz .LBB48_46
; %bb.37:
	s_and_not1_b32 vcc_lo, exec_lo, s3
	s_cbranch_vccnz .LBB48_39
; %bb.38:
	scratch_load_b32 v102, v7, off
	ds_load_b32 v103, v1
	s_wait_loadcnt_dscnt 0x0
	v_mul_f32_e32 v102, v102, v103
	s_cbranch_execz .LBB48_40
	s_branch .LBB48_41
.LBB48_39:
                                        ; implicit-def: $vgpr102
.LBB48_40:
	ds_load_b32 v102, v1
.LBB48_41:
	s_and_saveexec_b32 s17, s1
	s_cbranch_execz .LBB48_45
; %bb.42:
	v_subrev_nc_u32_e32 v103, 44, v0
	s_movk_i32 s18, 0x180
	s_mov_b32 s1, 0
.LBB48_43:                              ; =>This Inner Loop Header: Depth=1
	scratch_load_b32 v104, off, s16
	v_dual_mov_b32 v105, s18 :: v_dual_add_nc_u32 v103, -1, v103
	s_add_co_i32 s18, s18, 4
	s_wait_xcnt 0x0
	s_add_co_i32 s16, s16, 4
	ds_load_b32 v105, v105
	v_cmp_eq_u32_e32 vcc_lo, 0, v103
	s_or_b32 s1, vcc_lo, s1
	s_wait_loadcnt_dscnt 0x0
	v_fmac_f32_e32 v102, v104, v105
	s_and_not1_b32 exec_lo, exec_lo, s1
	s_cbranch_execnz .LBB48_43
; %bb.44:
	s_or_b32 exec_lo, exec_lo, s1
.LBB48_45:
	s_delay_alu instid0(SALU_CYCLE_1)
	s_or_b32 exec_lo, exec_lo, s17
	v_mov_b32_e32 v103, 0
	ds_load_b32 v103, v103 offset:172
	s_wait_dscnt 0x0
	v_mul_f32_e32 v102, v102, v103
	scratch_store_b32 off, v102, off offset:172
.LBB48_46:
	s_wait_xcnt 0x0
	s_or_b32 exec_lo, exec_lo, s0
	scratch_load_b32 v102, off, off offset:168
	v_cmp_lt_u32_e64 s0, 42, v0
	s_wait_loadcnt 0x0
	ds_store_b32 v1, v102
	s_wait_storecnt_dscnt 0x0
	s_barrier_signal -1
	s_barrier_wait -1
	s_wait_xcnt 0x0
	s_and_saveexec_b32 s1, s0
	s_cbranch_execz .LBB48_56
; %bb.47:
	s_and_not1_b32 vcc_lo, exec_lo, s3
	s_cbranch_vccnz .LBB48_49
; %bb.48:
	scratch_load_b32 v102, v7, off
	ds_load_b32 v103, v1
	s_wait_loadcnt_dscnt 0x0
	v_mul_f32_e32 v102, v102, v103
	s_cbranch_execz .LBB48_50
	s_branch .LBB48_51
.LBB48_49:
                                        ; implicit-def: $vgpr102
.LBB48_50:
	ds_load_b32 v102, v1
.LBB48_51:
	s_and_saveexec_b32 s16, s2
	s_cbranch_execz .LBB48_55
; %bb.52:
	v_subrev_nc_u32_e32 v103, 43, v0
	s_movk_i32 s2, 0xac
	s_movk_i32 s18, 0x17c
	s_mov_b32 s17, 0
.LBB48_53:                              ; =>This Inner Loop Header: Depth=1
	scratch_load_b32 v104, off, s2
	v_dual_mov_b32 v105, s18 :: v_dual_add_nc_u32 v103, -1, v103
	s_add_co_i32 s18, s18, 4
	s_wait_xcnt 0x0
	s_add_co_i32 s2, s2, 4
	ds_load_b32 v105, v105
	v_cmp_eq_u32_e32 vcc_lo, 0, v103
	s_or_b32 s17, vcc_lo, s17
	s_wait_loadcnt_dscnt 0x0
	v_fmac_f32_e32 v102, v104, v105
	s_and_not1_b32 exec_lo, exec_lo, s17
	s_cbranch_execnz .LBB48_53
; %bb.54:
	s_or_b32 exec_lo, exec_lo, s17
.LBB48_55:
	s_delay_alu instid0(SALU_CYCLE_1)
	s_or_b32 exec_lo, exec_lo, s16
	v_mov_b32_e32 v103, 0
	ds_load_b32 v103, v103 offset:168
	s_wait_dscnt 0x0
	v_mul_f32_e32 v102, v102, v103
	scratch_store_b32 off, v102, off offset:168
.LBB48_56:
	s_wait_xcnt 0x0
	s_or_b32 exec_lo, exec_lo, s1
	scratch_load_b32 v102, off, off offset:164
	v_cmp_lt_u32_e64 s1, 41, v0
	s_wait_loadcnt 0x0
	ds_store_b32 v1, v102
	s_wait_storecnt_dscnt 0x0
	s_barrier_signal -1
	s_barrier_wait -1
	s_wait_xcnt 0x0
	s_and_saveexec_b32 s2, s1
	s_cbranch_execz .LBB48_66
; %bb.57:
	s_and_not1_b32 vcc_lo, exec_lo, s3
	s_cbranch_vccnz .LBB48_59
; %bb.58:
	scratch_load_b32 v102, v7, off
	ds_load_b32 v103, v1
	s_wait_loadcnt_dscnt 0x0
	v_mul_f32_e32 v102, v102, v103
	s_cbranch_execz .LBB48_60
	s_branch .LBB48_61
.LBB48_59:
                                        ; implicit-def: $vgpr102
.LBB48_60:
	ds_load_b32 v102, v1
.LBB48_61:
	s_and_saveexec_b32 s16, s0
	s_cbranch_execz .LBB48_65
; %bb.62:
	v_subrev_nc_u32_e32 v103, 42, v0
	s_movk_i32 s0, 0xa8
	s_movk_i32 s18, 0x178
	s_mov_b32 s17, 0
.LBB48_63:                              ; =>This Inner Loop Header: Depth=1
	scratch_load_b32 v104, off, s0
	v_dual_mov_b32 v105, s18 :: v_dual_add_nc_u32 v103, -1, v103
	s_add_co_i32 s18, s18, 4
	s_wait_xcnt 0x0
	s_add_co_i32 s0, s0, 4
	ds_load_b32 v105, v105
	v_cmp_eq_u32_e32 vcc_lo, 0, v103
	s_or_b32 s17, vcc_lo, s17
	s_wait_loadcnt_dscnt 0x0
	v_fmac_f32_e32 v102, v104, v105
	s_and_not1_b32 exec_lo, exec_lo, s17
	s_cbranch_execnz .LBB48_63
; %bb.64:
	s_or_b32 exec_lo, exec_lo, s17
.LBB48_65:
	s_delay_alu instid0(SALU_CYCLE_1)
	s_or_b32 exec_lo, exec_lo, s16
	v_mov_b32_e32 v103, 0
	ds_load_b32 v103, v103 offset:164
	s_wait_dscnt 0x0
	v_mul_f32_e32 v102, v102, v103
	scratch_store_b32 off, v102, off offset:164
.LBB48_66:
	;; [unrolled: 58-line block ×3, first 2 shown]
	s_wait_xcnt 0x0
	s_or_b32 exec_lo, exec_lo, s2
	scratch_load_b32 v102, off, off offset:156
	v_cmp_lt_u32_e64 s1, 39, v0
	s_wait_loadcnt 0x0
	ds_store_b32 v1, v102
	s_wait_storecnt_dscnt 0x0
	s_barrier_signal -1
	s_barrier_wait -1
	s_wait_xcnt 0x0
	s_and_saveexec_b32 s2, s1
	s_cbranch_execz .LBB48_86
; %bb.77:
	s_and_not1_b32 vcc_lo, exec_lo, s3
	s_cbranch_vccnz .LBB48_79
; %bb.78:
	scratch_load_b32 v102, v7, off
	ds_load_b32 v103, v1
	s_wait_loadcnt_dscnt 0x0
	v_mul_f32_e32 v102, v102, v103
	s_cbranch_execz .LBB48_80
	s_branch .LBB48_81
.LBB48_79:
                                        ; implicit-def: $vgpr102
.LBB48_80:
	ds_load_b32 v102, v1
.LBB48_81:
	s_and_saveexec_b32 s16, s0
	s_cbranch_execz .LBB48_85
; %bb.82:
	v_subrev_nc_u32_e32 v103, 40, v0
	s_movk_i32 s17, 0x170
	s_mov_b32 s0, 0
.LBB48_83:                              ; =>This Inner Loop Header: Depth=1
	scratch_load_b32 v104, off, s15
	v_dual_mov_b32 v105, s17 :: v_dual_add_nc_u32 v103, -1, v103
	s_add_co_i32 s17, s17, 4
	s_wait_xcnt 0x0
	s_add_co_i32 s15, s15, 4
	ds_load_b32 v105, v105
	v_cmp_eq_u32_e32 vcc_lo, 0, v103
	s_or_b32 s0, vcc_lo, s0
	s_wait_loadcnt_dscnt 0x0
	v_fmac_f32_e32 v102, v104, v105
	s_and_not1_b32 exec_lo, exec_lo, s0
	s_cbranch_execnz .LBB48_83
; %bb.84:
	s_or_b32 exec_lo, exec_lo, s0
.LBB48_85:
	s_delay_alu instid0(SALU_CYCLE_1)
	s_or_b32 exec_lo, exec_lo, s16
	v_mov_b32_e32 v103, 0
	ds_load_b32 v103, v103 offset:156
	s_wait_dscnt 0x0
	v_mul_f32_e32 v102, v102, v103
	scratch_store_b32 off, v102, off offset:156
.LBB48_86:
	s_wait_xcnt 0x0
	s_or_b32 exec_lo, exec_lo, s2
	scratch_load_b32 v102, off, off offset:152
	v_cmp_lt_u32_e64 s0, 38, v0
	s_wait_loadcnt 0x0
	ds_store_b32 v1, v102
	s_wait_storecnt_dscnt 0x0
	s_barrier_signal -1
	s_barrier_wait -1
	s_wait_xcnt 0x0
	s_and_saveexec_b32 s2, s0
	s_cbranch_execz .LBB48_96
; %bb.87:
	s_and_not1_b32 vcc_lo, exec_lo, s3
	s_cbranch_vccnz .LBB48_89
; %bb.88:
	scratch_load_b32 v102, v7, off
	ds_load_b32 v103, v1
	s_wait_loadcnt_dscnt 0x0
	v_mul_f32_e32 v102, v102, v103
	s_cbranch_execz .LBB48_90
	s_branch .LBB48_91
.LBB48_89:
                                        ; implicit-def: $vgpr102
.LBB48_90:
	ds_load_b32 v102, v1
.LBB48_91:
	s_and_saveexec_b32 s15, s1
	s_cbranch_execz .LBB48_95
; %bb.92:
	v_subrev_nc_u32_e32 v103, 39, v0
	s_movk_i32 s1, 0x9c
	s_movk_i32 s17, 0x16c
	s_mov_b32 s16, 0
.LBB48_93:                              ; =>This Inner Loop Header: Depth=1
	scratch_load_b32 v104, off, s1
	v_dual_mov_b32 v105, s17 :: v_dual_add_nc_u32 v103, -1, v103
	s_add_co_i32 s17, s17, 4
	s_wait_xcnt 0x0
	s_add_co_i32 s1, s1, 4
	ds_load_b32 v105, v105
	v_cmp_eq_u32_e32 vcc_lo, 0, v103
	s_or_b32 s16, vcc_lo, s16
	s_wait_loadcnt_dscnt 0x0
	v_fmac_f32_e32 v102, v104, v105
	s_and_not1_b32 exec_lo, exec_lo, s16
	s_cbranch_execnz .LBB48_93
; %bb.94:
	s_or_b32 exec_lo, exec_lo, s16
.LBB48_95:
	s_delay_alu instid0(SALU_CYCLE_1)
	s_or_b32 exec_lo, exec_lo, s15
	v_mov_b32_e32 v103, 0
	ds_load_b32 v103, v103 offset:152
	s_wait_dscnt 0x0
	v_mul_f32_e32 v102, v102, v103
	scratch_store_b32 off, v102, off offset:152
.LBB48_96:
	s_wait_xcnt 0x0
	s_or_b32 exec_lo, exec_lo, s2
	scratch_load_b32 v102, off, off offset:148
	v_cmp_lt_u32_e64 s1, 37, v0
	s_wait_loadcnt 0x0
	ds_store_b32 v1, v102
	s_wait_storecnt_dscnt 0x0
	s_barrier_signal -1
	s_barrier_wait -1
	s_wait_xcnt 0x0
	s_and_saveexec_b32 s2, s1
	s_cbranch_execz .LBB48_106
; %bb.97:
	s_and_not1_b32 vcc_lo, exec_lo, s3
	s_cbranch_vccnz .LBB48_99
; %bb.98:
	scratch_load_b32 v102, v7, off
	ds_load_b32 v103, v1
	s_wait_loadcnt_dscnt 0x0
	v_mul_f32_e32 v102, v102, v103
	s_cbranch_execz .LBB48_100
	s_branch .LBB48_101
.LBB48_99:
                                        ; implicit-def: $vgpr102
.LBB48_100:
	ds_load_b32 v102, v1
.LBB48_101:
	s_and_saveexec_b32 s15, s0
	s_cbranch_execz .LBB48_105
; %bb.102:
	v_subrev_nc_u32_e32 v103, 38, v0
	s_movk_i32 s0, 0x98
	s_movk_i32 s17, 0x168
	s_mov_b32 s16, 0
.LBB48_103:                             ; =>This Inner Loop Header: Depth=1
	scratch_load_b32 v104, off, s0
	v_dual_mov_b32 v105, s17 :: v_dual_add_nc_u32 v103, -1, v103
	s_add_co_i32 s17, s17, 4
	s_wait_xcnt 0x0
	s_add_co_i32 s0, s0, 4
	ds_load_b32 v105, v105
	v_cmp_eq_u32_e32 vcc_lo, 0, v103
	s_or_b32 s16, vcc_lo, s16
	s_wait_loadcnt_dscnt 0x0
	v_fmac_f32_e32 v102, v104, v105
	s_and_not1_b32 exec_lo, exec_lo, s16
	s_cbranch_execnz .LBB48_103
; %bb.104:
	s_or_b32 exec_lo, exec_lo, s16
.LBB48_105:
	s_delay_alu instid0(SALU_CYCLE_1)
	s_or_b32 exec_lo, exec_lo, s15
	v_mov_b32_e32 v103, 0
	ds_load_b32 v103, v103 offset:148
	s_wait_dscnt 0x0
	v_mul_f32_e32 v102, v102, v103
	scratch_store_b32 off, v102, off offset:148
.LBB48_106:
	s_wait_xcnt 0x0
	s_or_b32 exec_lo, exec_lo, s2
	scratch_load_b32 v102, off, off offset:144
	v_cmp_lt_u32_e64 s0, 36, v0
	s_wait_loadcnt 0x0
	ds_store_b32 v1, v102
	s_wait_storecnt_dscnt 0x0
	s_barrier_signal -1
	s_barrier_wait -1
	s_wait_xcnt 0x0
	s_and_saveexec_b32 s2, s0
	s_cbranch_execz .LBB48_116
; %bb.107:
	s_and_not1_b32 vcc_lo, exec_lo, s3
	s_cbranch_vccnz .LBB48_109
; %bb.108:
	scratch_load_b32 v102, v7, off
	ds_load_b32 v103, v1
	s_wait_loadcnt_dscnt 0x0
	v_mul_f32_e32 v102, v102, v103
	s_cbranch_execz .LBB48_110
	s_branch .LBB48_111
.LBB48_109:
                                        ; implicit-def: $vgpr102
.LBB48_110:
	ds_load_b32 v102, v1
.LBB48_111:
	s_and_saveexec_b32 s15, s1
	s_cbranch_execz .LBB48_115
; %bb.112:
	v_subrev_nc_u32_e32 v103, 37, v0
	s_movk_i32 s1, 0x94
	s_movk_i32 s17, 0x164
	s_mov_b32 s16, 0
.LBB48_113:                             ; =>This Inner Loop Header: Depth=1
	scratch_load_b32 v104, off, s1
	v_dual_mov_b32 v105, s17 :: v_dual_add_nc_u32 v103, -1, v103
	s_add_co_i32 s17, s17, 4
	s_wait_xcnt 0x0
	s_add_co_i32 s1, s1, 4
	ds_load_b32 v105, v105
	v_cmp_eq_u32_e32 vcc_lo, 0, v103
	s_or_b32 s16, vcc_lo, s16
	s_wait_loadcnt_dscnt 0x0
	v_fmac_f32_e32 v102, v104, v105
	s_and_not1_b32 exec_lo, exec_lo, s16
	s_cbranch_execnz .LBB48_113
; %bb.114:
	s_or_b32 exec_lo, exec_lo, s16
.LBB48_115:
	s_delay_alu instid0(SALU_CYCLE_1)
	s_or_b32 exec_lo, exec_lo, s15
	v_mov_b32_e32 v103, 0
	ds_load_b32 v103, v103 offset:144
	s_wait_dscnt 0x0
	v_mul_f32_e32 v102, v102, v103
	scratch_store_b32 off, v102, off offset:144
.LBB48_116:
	s_wait_xcnt 0x0
	s_or_b32 exec_lo, exec_lo, s2
	scratch_load_b32 v102, off, off offset:140
	v_cmp_lt_u32_e64 s1, 35, v0
	s_wait_loadcnt 0x0
	ds_store_b32 v1, v102
	s_wait_storecnt_dscnt 0x0
	s_barrier_signal -1
	s_barrier_wait -1
	s_wait_xcnt 0x0
	s_and_saveexec_b32 s2, s1
	s_cbranch_execz .LBB48_126
; %bb.117:
	s_and_not1_b32 vcc_lo, exec_lo, s3
	s_cbranch_vccnz .LBB48_119
; %bb.118:
	scratch_load_b32 v102, v7, off
	ds_load_b32 v103, v1
	s_wait_loadcnt_dscnt 0x0
	v_mul_f32_e32 v102, v102, v103
	s_cbranch_execz .LBB48_120
	s_branch .LBB48_121
.LBB48_119:
                                        ; implicit-def: $vgpr102
.LBB48_120:
	ds_load_b32 v102, v1
.LBB48_121:
	s_and_saveexec_b32 s15, s0
	s_cbranch_execz .LBB48_125
; %bb.122:
	v_subrev_nc_u32_e32 v103, 36, v0
	s_movk_i32 s16, 0x160
	s_mov_b32 s0, 0
.LBB48_123:                             ; =>This Inner Loop Header: Depth=1
	scratch_load_b32 v104, off, s14
	v_dual_mov_b32 v105, s16 :: v_dual_add_nc_u32 v103, -1, v103
	s_add_co_i32 s16, s16, 4
	s_wait_xcnt 0x0
	s_add_co_i32 s14, s14, 4
	ds_load_b32 v105, v105
	v_cmp_eq_u32_e32 vcc_lo, 0, v103
	s_or_b32 s0, vcc_lo, s0
	s_wait_loadcnt_dscnt 0x0
	v_fmac_f32_e32 v102, v104, v105
	s_and_not1_b32 exec_lo, exec_lo, s0
	s_cbranch_execnz .LBB48_123
; %bb.124:
	s_or_b32 exec_lo, exec_lo, s0
.LBB48_125:
	s_delay_alu instid0(SALU_CYCLE_1)
	s_or_b32 exec_lo, exec_lo, s15
	v_mov_b32_e32 v103, 0
	ds_load_b32 v103, v103 offset:140
	s_wait_dscnt 0x0
	v_mul_f32_e32 v102, v102, v103
	scratch_store_b32 off, v102, off offset:140
.LBB48_126:
	s_wait_xcnt 0x0
	s_or_b32 exec_lo, exec_lo, s2
	scratch_load_b32 v102, off, off offset:136
	v_cmp_lt_u32_e64 s0, 34, v0
	s_wait_loadcnt 0x0
	ds_store_b32 v1, v102
	s_wait_storecnt_dscnt 0x0
	s_barrier_signal -1
	s_barrier_wait -1
	s_wait_xcnt 0x0
	s_and_saveexec_b32 s2, s0
	s_cbranch_execz .LBB48_136
; %bb.127:
	s_and_not1_b32 vcc_lo, exec_lo, s3
	s_cbranch_vccnz .LBB48_129
; %bb.128:
	scratch_load_b32 v102, v7, off
	ds_load_b32 v103, v1
	s_wait_loadcnt_dscnt 0x0
	v_mul_f32_e32 v102, v102, v103
	s_cbranch_execz .LBB48_130
	s_branch .LBB48_131
.LBB48_129:
                                        ; implicit-def: $vgpr102
.LBB48_130:
	ds_load_b32 v102, v1
.LBB48_131:
	s_and_saveexec_b32 s14, s1
	s_cbranch_execz .LBB48_135
; %bb.132:
	v_subrev_nc_u32_e32 v103, 35, v0
	s_movk_i32 s1, 0x8c
	s_movk_i32 s16, 0x15c
	s_mov_b32 s15, 0
.LBB48_133:                             ; =>This Inner Loop Header: Depth=1
	scratch_load_b32 v104, off, s1
	v_dual_mov_b32 v105, s16 :: v_dual_add_nc_u32 v103, -1, v103
	s_add_co_i32 s16, s16, 4
	s_wait_xcnt 0x0
	s_add_co_i32 s1, s1, 4
	ds_load_b32 v105, v105
	v_cmp_eq_u32_e32 vcc_lo, 0, v103
	s_or_b32 s15, vcc_lo, s15
	s_wait_loadcnt_dscnt 0x0
	v_fmac_f32_e32 v102, v104, v105
	s_and_not1_b32 exec_lo, exec_lo, s15
	s_cbranch_execnz .LBB48_133
; %bb.134:
	s_or_b32 exec_lo, exec_lo, s15
.LBB48_135:
	s_delay_alu instid0(SALU_CYCLE_1)
	s_or_b32 exec_lo, exec_lo, s14
	v_mov_b32_e32 v103, 0
	ds_load_b32 v103, v103 offset:136
	s_wait_dscnt 0x0
	v_mul_f32_e32 v102, v102, v103
	scratch_store_b32 off, v102, off offset:136
.LBB48_136:
	s_wait_xcnt 0x0
	s_or_b32 exec_lo, exec_lo, s2
	scratch_load_b32 v102, off, off offset:132
	v_cmp_lt_u32_e64 s1, 33, v0
	s_wait_loadcnt 0x0
	ds_store_b32 v1, v102
	s_wait_storecnt_dscnt 0x0
	s_barrier_signal -1
	s_barrier_wait -1
	s_wait_xcnt 0x0
	s_and_saveexec_b32 s2, s1
	s_cbranch_execz .LBB48_146
; %bb.137:
	s_and_not1_b32 vcc_lo, exec_lo, s3
	s_cbranch_vccnz .LBB48_139
; %bb.138:
	scratch_load_b32 v102, v7, off
	ds_load_b32 v103, v1
	s_wait_loadcnt_dscnt 0x0
	v_mul_f32_e32 v102, v102, v103
	s_cbranch_execz .LBB48_140
	s_branch .LBB48_141
.LBB48_139:
                                        ; implicit-def: $vgpr102
.LBB48_140:
	ds_load_b32 v102, v1
.LBB48_141:
	s_and_saveexec_b32 s14, s0
	s_cbranch_execz .LBB48_145
; %bb.142:
	v_subrev_nc_u32_e32 v103, 34, v0
	s_movk_i32 s0, 0x88
	s_movk_i32 s16, 0x158
	s_mov_b32 s15, 0
.LBB48_143:                             ; =>This Inner Loop Header: Depth=1
	scratch_load_b32 v104, off, s0
	v_dual_mov_b32 v105, s16 :: v_dual_add_nc_u32 v103, -1, v103
	s_add_co_i32 s16, s16, 4
	s_wait_xcnt 0x0
	s_add_co_i32 s0, s0, 4
	ds_load_b32 v105, v105
	v_cmp_eq_u32_e32 vcc_lo, 0, v103
	s_or_b32 s15, vcc_lo, s15
	s_wait_loadcnt_dscnt 0x0
	v_fmac_f32_e32 v102, v104, v105
	s_and_not1_b32 exec_lo, exec_lo, s15
	s_cbranch_execnz .LBB48_143
; %bb.144:
	s_or_b32 exec_lo, exec_lo, s15
.LBB48_145:
	s_delay_alu instid0(SALU_CYCLE_1)
	s_or_b32 exec_lo, exec_lo, s14
	v_mov_b32_e32 v103, 0
	ds_load_b32 v103, v103 offset:132
	s_wait_dscnt 0x0
	v_mul_f32_e32 v102, v102, v103
	scratch_store_b32 off, v102, off offset:132
.LBB48_146:
	;; [unrolled: 58-line block ×3, first 2 shown]
	s_wait_xcnt 0x0
	s_or_b32 exec_lo, exec_lo, s2
	scratch_load_b32 v102, off, off offset:124
	v_cmp_lt_u32_e64 s1, 31, v0
	s_wait_loadcnt 0x0
	ds_store_b32 v1, v102
	s_wait_storecnt_dscnt 0x0
	s_barrier_signal -1
	s_barrier_wait -1
	s_wait_xcnt 0x0
	s_and_saveexec_b32 s2, s1
	s_cbranch_execz .LBB48_166
; %bb.157:
	s_and_not1_b32 vcc_lo, exec_lo, s3
	s_cbranch_vccnz .LBB48_159
; %bb.158:
	scratch_load_b32 v102, v7, off
	ds_load_b32 v103, v1
	s_wait_loadcnt_dscnt 0x0
	v_mul_f32_e32 v102, v102, v103
	s_cbranch_execz .LBB48_160
	s_branch .LBB48_161
.LBB48_159:
                                        ; implicit-def: $vgpr102
.LBB48_160:
	ds_load_b32 v102, v1
.LBB48_161:
	s_and_saveexec_b32 s14, s0
	s_cbranch_execz .LBB48_165
; %bb.162:
	v_subrev_nc_u32_e32 v103, 32, v0
	s_movk_i32 s15, 0x150
	s_mov_b32 s0, 0
.LBB48_163:                             ; =>This Inner Loop Header: Depth=1
	scratch_load_b32 v104, off, s13
	v_dual_mov_b32 v105, s15 :: v_dual_add_nc_u32 v103, -1, v103
	s_add_co_i32 s15, s15, 4
	s_wait_xcnt 0x0
	s_add_co_i32 s13, s13, 4
	ds_load_b32 v105, v105
	v_cmp_eq_u32_e32 vcc_lo, 0, v103
	s_or_b32 s0, vcc_lo, s0
	s_wait_loadcnt_dscnt 0x0
	v_fmac_f32_e32 v102, v104, v105
	s_and_not1_b32 exec_lo, exec_lo, s0
	s_cbranch_execnz .LBB48_163
; %bb.164:
	s_or_b32 exec_lo, exec_lo, s0
.LBB48_165:
	s_delay_alu instid0(SALU_CYCLE_1)
	s_or_b32 exec_lo, exec_lo, s14
	v_mov_b32_e32 v103, 0
	ds_load_b32 v103, v103 offset:124
	s_wait_dscnt 0x0
	v_mul_f32_e32 v102, v102, v103
	scratch_store_b32 off, v102, off offset:124
.LBB48_166:
	s_wait_xcnt 0x0
	s_or_b32 exec_lo, exec_lo, s2
	scratch_load_b32 v102, off, off offset:120
	v_cmp_lt_u32_e64 s0, 30, v0
	s_wait_loadcnt 0x0
	ds_store_b32 v1, v102
	s_wait_storecnt_dscnt 0x0
	s_barrier_signal -1
	s_barrier_wait -1
	s_wait_xcnt 0x0
	s_and_saveexec_b32 s2, s0
	s_cbranch_execz .LBB48_176
; %bb.167:
	s_and_not1_b32 vcc_lo, exec_lo, s3
	s_cbranch_vccnz .LBB48_169
; %bb.168:
	scratch_load_b32 v102, v7, off
	ds_load_b32 v103, v1
	s_wait_loadcnt_dscnt 0x0
	v_mul_f32_e32 v102, v102, v103
	s_cbranch_execz .LBB48_170
	s_branch .LBB48_171
.LBB48_169:
                                        ; implicit-def: $vgpr102
.LBB48_170:
	ds_load_b32 v102, v1
.LBB48_171:
	s_and_saveexec_b32 s13, s1
	s_cbranch_execz .LBB48_175
; %bb.172:
	v_subrev_nc_u32_e32 v103, 31, v0
	s_movk_i32 s1, 0x7c
	s_movk_i32 s15, 0x14c
	s_mov_b32 s14, 0
.LBB48_173:                             ; =>This Inner Loop Header: Depth=1
	scratch_load_b32 v104, off, s1
	v_dual_mov_b32 v105, s15 :: v_dual_add_nc_u32 v103, -1, v103
	s_add_co_i32 s15, s15, 4
	s_wait_xcnt 0x0
	s_add_co_i32 s1, s1, 4
	ds_load_b32 v105, v105
	v_cmp_eq_u32_e32 vcc_lo, 0, v103
	s_or_b32 s14, vcc_lo, s14
	s_wait_loadcnt_dscnt 0x0
	v_fmac_f32_e32 v102, v104, v105
	s_and_not1_b32 exec_lo, exec_lo, s14
	s_cbranch_execnz .LBB48_173
; %bb.174:
	s_or_b32 exec_lo, exec_lo, s14
.LBB48_175:
	s_delay_alu instid0(SALU_CYCLE_1)
	s_or_b32 exec_lo, exec_lo, s13
	v_mov_b32_e32 v103, 0
	ds_load_b32 v103, v103 offset:120
	s_wait_dscnt 0x0
	v_mul_f32_e32 v102, v102, v103
	scratch_store_b32 off, v102, off offset:120
.LBB48_176:
	s_wait_xcnt 0x0
	s_or_b32 exec_lo, exec_lo, s2
	scratch_load_b32 v102, off, off offset:116
	v_cmp_lt_u32_e64 s1, 29, v0
	s_wait_loadcnt 0x0
	ds_store_b32 v1, v102
	s_wait_storecnt_dscnt 0x0
	s_barrier_signal -1
	s_barrier_wait -1
	s_wait_xcnt 0x0
	s_and_saveexec_b32 s2, s1
	s_cbranch_execz .LBB48_186
; %bb.177:
	s_and_not1_b32 vcc_lo, exec_lo, s3
	s_cbranch_vccnz .LBB48_179
; %bb.178:
	scratch_load_b32 v102, v7, off
	ds_load_b32 v103, v1
	s_wait_loadcnt_dscnt 0x0
	v_mul_f32_e32 v102, v102, v103
	s_cbranch_execz .LBB48_180
	s_branch .LBB48_181
.LBB48_179:
                                        ; implicit-def: $vgpr102
.LBB48_180:
	ds_load_b32 v102, v1
.LBB48_181:
	s_and_saveexec_b32 s13, s0
	s_cbranch_execz .LBB48_185
; %bb.182:
	v_subrev_nc_u32_e32 v103, 30, v0
	s_movk_i32 s0, 0x78
	s_movk_i32 s15, 0x148
	s_mov_b32 s14, 0
.LBB48_183:                             ; =>This Inner Loop Header: Depth=1
	scratch_load_b32 v104, off, s0
	v_dual_mov_b32 v105, s15 :: v_dual_add_nc_u32 v103, -1, v103
	s_add_co_i32 s15, s15, 4
	s_wait_xcnt 0x0
	s_add_co_i32 s0, s0, 4
	ds_load_b32 v105, v105
	v_cmp_eq_u32_e32 vcc_lo, 0, v103
	s_or_b32 s14, vcc_lo, s14
	s_wait_loadcnt_dscnt 0x0
	v_fmac_f32_e32 v102, v104, v105
	s_and_not1_b32 exec_lo, exec_lo, s14
	s_cbranch_execnz .LBB48_183
; %bb.184:
	s_or_b32 exec_lo, exec_lo, s14
.LBB48_185:
	s_delay_alu instid0(SALU_CYCLE_1)
	s_or_b32 exec_lo, exec_lo, s13
	v_mov_b32_e32 v103, 0
	ds_load_b32 v103, v103 offset:116
	s_wait_dscnt 0x0
	v_mul_f32_e32 v102, v102, v103
	scratch_store_b32 off, v102, off offset:116
.LBB48_186:
	;; [unrolled: 58-line block ×3, first 2 shown]
	s_wait_xcnt 0x0
	s_or_b32 exec_lo, exec_lo, s2
	scratch_load_b32 v102, off, off offset:108
	v_cmp_lt_u32_e64 s1, 27, v0
	s_wait_loadcnt 0x0
	ds_store_b32 v1, v102
	s_wait_storecnt_dscnt 0x0
	s_barrier_signal -1
	s_barrier_wait -1
	s_wait_xcnt 0x0
	s_and_saveexec_b32 s2, s1
	s_cbranch_execz .LBB48_206
; %bb.197:
	s_and_not1_b32 vcc_lo, exec_lo, s3
	s_cbranch_vccnz .LBB48_199
; %bb.198:
	scratch_load_b32 v102, v7, off
	ds_load_b32 v103, v1
	s_wait_loadcnt_dscnt 0x0
	v_mul_f32_e32 v102, v102, v103
	s_cbranch_execz .LBB48_200
	s_branch .LBB48_201
.LBB48_199:
                                        ; implicit-def: $vgpr102
.LBB48_200:
	ds_load_b32 v102, v1
.LBB48_201:
	s_and_saveexec_b32 s13, s0
	s_cbranch_execz .LBB48_205
; %bb.202:
	v_subrev_nc_u32_e32 v103, 28, v0
	s_movk_i32 s14, 0x140
	s_mov_b32 s0, 0
.LBB48_203:                             ; =>This Inner Loop Header: Depth=1
	scratch_load_b32 v104, off, s12
	v_dual_mov_b32 v105, s14 :: v_dual_add_nc_u32 v103, -1, v103
	s_add_co_i32 s14, s14, 4
	s_wait_xcnt 0x0
	s_add_co_i32 s12, s12, 4
	ds_load_b32 v105, v105
	v_cmp_eq_u32_e32 vcc_lo, 0, v103
	s_or_b32 s0, vcc_lo, s0
	s_wait_loadcnt_dscnt 0x0
	v_fmac_f32_e32 v102, v104, v105
	s_and_not1_b32 exec_lo, exec_lo, s0
	s_cbranch_execnz .LBB48_203
; %bb.204:
	s_or_b32 exec_lo, exec_lo, s0
.LBB48_205:
	s_delay_alu instid0(SALU_CYCLE_1)
	s_or_b32 exec_lo, exec_lo, s13
	v_mov_b32_e32 v103, 0
	ds_load_b32 v103, v103 offset:108
	s_wait_dscnt 0x0
	v_mul_f32_e32 v102, v102, v103
	scratch_store_b32 off, v102, off offset:108
.LBB48_206:
	s_wait_xcnt 0x0
	s_or_b32 exec_lo, exec_lo, s2
	scratch_load_b32 v102, off, off offset:104
	v_cmp_lt_u32_e64 s0, 26, v0
	s_wait_loadcnt 0x0
	ds_store_b32 v1, v102
	s_wait_storecnt_dscnt 0x0
	s_barrier_signal -1
	s_barrier_wait -1
	s_wait_xcnt 0x0
	s_and_saveexec_b32 s2, s0
	s_cbranch_execz .LBB48_216
; %bb.207:
	s_and_not1_b32 vcc_lo, exec_lo, s3
	s_cbranch_vccnz .LBB48_209
; %bb.208:
	scratch_load_b32 v102, v7, off
	ds_load_b32 v103, v1
	s_wait_loadcnt_dscnt 0x0
	v_mul_f32_e32 v102, v102, v103
	s_cbranch_execz .LBB48_210
	s_branch .LBB48_211
.LBB48_209:
                                        ; implicit-def: $vgpr102
.LBB48_210:
	ds_load_b32 v102, v1
.LBB48_211:
	s_and_saveexec_b32 s12, s1
	s_cbranch_execz .LBB48_215
; %bb.212:
	v_subrev_nc_u32_e32 v103, 27, v0
	s_movk_i32 s1, 0x6c
	s_movk_i32 s14, 0x13c
	s_mov_b32 s13, 0
.LBB48_213:                             ; =>This Inner Loop Header: Depth=1
	scratch_load_b32 v104, off, s1
	v_dual_mov_b32 v105, s14 :: v_dual_add_nc_u32 v103, -1, v103
	s_add_co_i32 s14, s14, 4
	s_wait_xcnt 0x0
	s_add_co_i32 s1, s1, 4
	ds_load_b32 v105, v105
	v_cmp_eq_u32_e32 vcc_lo, 0, v103
	s_or_b32 s13, vcc_lo, s13
	s_wait_loadcnt_dscnt 0x0
	v_fmac_f32_e32 v102, v104, v105
	s_and_not1_b32 exec_lo, exec_lo, s13
	s_cbranch_execnz .LBB48_213
; %bb.214:
	s_or_b32 exec_lo, exec_lo, s13
.LBB48_215:
	s_delay_alu instid0(SALU_CYCLE_1)
	s_or_b32 exec_lo, exec_lo, s12
	v_mov_b32_e32 v103, 0
	ds_load_b32 v103, v103 offset:104
	s_wait_dscnt 0x0
	v_mul_f32_e32 v102, v102, v103
	scratch_store_b32 off, v102, off offset:104
.LBB48_216:
	s_wait_xcnt 0x0
	s_or_b32 exec_lo, exec_lo, s2
	scratch_load_b32 v102, off, off offset:100
	v_cmp_lt_u32_e64 s1, 25, v0
	s_wait_loadcnt 0x0
	ds_store_b32 v1, v102
	s_wait_storecnt_dscnt 0x0
	s_barrier_signal -1
	s_barrier_wait -1
	s_wait_xcnt 0x0
	s_and_saveexec_b32 s2, s1
	s_cbranch_execz .LBB48_226
; %bb.217:
	s_and_not1_b32 vcc_lo, exec_lo, s3
	s_cbranch_vccnz .LBB48_219
; %bb.218:
	scratch_load_b32 v102, v7, off
	ds_load_b32 v103, v1
	s_wait_loadcnt_dscnt 0x0
	v_mul_f32_e32 v102, v102, v103
	s_cbranch_execz .LBB48_220
	s_branch .LBB48_221
.LBB48_219:
                                        ; implicit-def: $vgpr102
.LBB48_220:
	ds_load_b32 v102, v1
.LBB48_221:
	s_and_saveexec_b32 s12, s0
	s_cbranch_execz .LBB48_225
; %bb.222:
	v_subrev_nc_u32_e32 v103, 26, v0
	s_movk_i32 s0, 0x68
	s_movk_i32 s14, 0x138
	s_mov_b32 s13, 0
.LBB48_223:                             ; =>This Inner Loop Header: Depth=1
	scratch_load_b32 v104, off, s0
	v_dual_mov_b32 v105, s14 :: v_dual_add_nc_u32 v103, -1, v103
	s_add_co_i32 s14, s14, 4
	s_wait_xcnt 0x0
	s_add_co_i32 s0, s0, 4
	ds_load_b32 v105, v105
	v_cmp_eq_u32_e32 vcc_lo, 0, v103
	s_or_b32 s13, vcc_lo, s13
	s_wait_loadcnt_dscnt 0x0
	v_fmac_f32_e32 v102, v104, v105
	s_and_not1_b32 exec_lo, exec_lo, s13
	s_cbranch_execnz .LBB48_223
; %bb.224:
	s_or_b32 exec_lo, exec_lo, s13
.LBB48_225:
	s_delay_alu instid0(SALU_CYCLE_1)
	s_or_b32 exec_lo, exec_lo, s12
	v_mov_b32_e32 v103, 0
	ds_load_b32 v103, v103 offset:100
	s_wait_dscnt 0x0
	v_mul_f32_e32 v102, v102, v103
	scratch_store_b32 off, v102, off offset:100
.LBB48_226:
	;; [unrolled: 58-line block ×3, first 2 shown]
	s_wait_xcnt 0x0
	s_or_b32 exec_lo, exec_lo, s2
	scratch_load_b32 v102, off, off offset:92
	v_cmp_lt_u32_e64 s1, 23, v0
	s_wait_loadcnt 0x0
	ds_store_b32 v1, v102
	s_wait_storecnt_dscnt 0x0
	s_barrier_signal -1
	s_barrier_wait -1
	s_wait_xcnt 0x0
	s_and_saveexec_b32 s2, s1
	s_cbranch_execz .LBB48_246
; %bb.237:
	s_and_not1_b32 vcc_lo, exec_lo, s3
	s_cbranch_vccnz .LBB48_239
; %bb.238:
	scratch_load_b32 v102, v7, off
	ds_load_b32 v103, v1
	s_wait_loadcnt_dscnt 0x0
	v_mul_f32_e32 v102, v102, v103
	s_cbranch_execz .LBB48_240
	s_branch .LBB48_241
.LBB48_239:
                                        ; implicit-def: $vgpr102
.LBB48_240:
	ds_load_b32 v102, v1
.LBB48_241:
	s_and_saveexec_b32 s12, s0
	s_cbranch_execz .LBB48_245
; %bb.242:
	v_subrev_nc_u32_e32 v103, 24, v0
	s_movk_i32 s13, 0x130
	s_mov_b32 s0, 0
.LBB48_243:                             ; =>This Inner Loop Header: Depth=1
	scratch_load_b32 v104, off, s11
	v_dual_mov_b32 v105, s13 :: v_dual_add_nc_u32 v103, -1, v103
	s_add_co_i32 s13, s13, 4
	s_wait_xcnt 0x0
	s_add_co_i32 s11, s11, 4
	ds_load_b32 v105, v105
	v_cmp_eq_u32_e32 vcc_lo, 0, v103
	s_or_b32 s0, vcc_lo, s0
	s_wait_loadcnt_dscnt 0x0
	v_fmac_f32_e32 v102, v104, v105
	s_and_not1_b32 exec_lo, exec_lo, s0
	s_cbranch_execnz .LBB48_243
; %bb.244:
	s_or_b32 exec_lo, exec_lo, s0
.LBB48_245:
	s_delay_alu instid0(SALU_CYCLE_1)
	s_or_b32 exec_lo, exec_lo, s12
	v_mov_b32_e32 v103, 0
	ds_load_b32 v103, v103 offset:92
	s_wait_dscnt 0x0
	v_mul_f32_e32 v102, v102, v103
	scratch_store_b32 off, v102, off offset:92
.LBB48_246:
	s_wait_xcnt 0x0
	s_or_b32 exec_lo, exec_lo, s2
	scratch_load_b32 v102, off, off offset:88
	v_cmp_lt_u32_e64 s0, 22, v0
	s_wait_loadcnt 0x0
	ds_store_b32 v1, v102
	s_wait_storecnt_dscnt 0x0
	s_barrier_signal -1
	s_barrier_wait -1
	s_wait_xcnt 0x0
	s_and_saveexec_b32 s2, s0
	s_cbranch_execz .LBB48_256
; %bb.247:
	s_and_not1_b32 vcc_lo, exec_lo, s3
	s_cbranch_vccnz .LBB48_249
; %bb.248:
	scratch_load_b32 v102, v7, off
	ds_load_b32 v103, v1
	s_wait_loadcnt_dscnt 0x0
	v_mul_f32_e32 v102, v102, v103
	s_cbranch_execz .LBB48_250
	s_branch .LBB48_251
.LBB48_249:
                                        ; implicit-def: $vgpr102
.LBB48_250:
	ds_load_b32 v102, v1
.LBB48_251:
	s_and_saveexec_b32 s11, s1
	s_cbranch_execz .LBB48_255
; %bb.252:
	v_subrev_nc_u32_e32 v103, 23, v0
	s_movk_i32 s1, 0x5c
	s_movk_i32 s13, 0x12c
	s_mov_b32 s12, 0
.LBB48_253:                             ; =>This Inner Loop Header: Depth=1
	scratch_load_b32 v104, off, s1
	v_dual_mov_b32 v105, s13 :: v_dual_add_nc_u32 v103, -1, v103
	s_add_co_i32 s13, s13, 4
	s_wait_xcnt 0x0
	s_add_co_i32 s1, s1, 4
	ds_load_b32 v105, v105
	v_cmp_eq_u32_e32 vcc_lo, 0, v103
	s_or_b32 s12, vcc_lo, s12
	s_wait_loadcnt_dscnt 0x0
	v_fmac_f32_e32 v102, v104, v105
	s_and_not1_b32 exec_lo, exec_lo, s12
	s_cbranch_execnz .LBB48_253
; %bb.254:
	s_or_b32 exec_lo, exec_lo, s12
.LBB48_255:
	s_delay_alu instid0(SALU_CYCLE_1)
	s_or_b32 exec_lo, exec_lo, s11
	v_mov_b32_e32 v103, 0
	ds_load_b32 v103, v103 offset:88
	s_wait_dscnt 0x0
	v_mul_f32_e32 v102, v102, v103
	scratch_store_b32 off, v102, off offset:88
.LBB48_256:
	s_wait_xcnt 0x0
	s_or_b32 exec_lo, exec_lo, s2
	scratch_load_b32 v102, off, off offset:84
	v_cmp_lt_u32_e64 s1, 21, v0
	s_wait_loadcnt 0x0
	ds_store_b32 v1, v102
	s_wait_storecnt_dscnt 0x0
	s_barrier_signal -1
	s_barrier_wait -1
	s_wait_xcnt 0x0
	s_and_saveexec_b32 s2, s1
	s_cbranch_execz .LBB48_266
; %bb.257:
	s_and_not1_b32 vcc_lo, exec_lo, s3
	s_cbranch_vccnz .LBB48_259
; %bb.258:
	scratch_load_b32 v102, v7, off
	ds_load_b32 v103, v1
	s_wait_loadcnt_dscnt 0x0
	v_mul_f32_e32 v102, v102, v103
	s_cbranch_execz .LBB48_260
	s_branch .LBB48_261
.LBB48_259:
                                        ; implicit-def: $vgpr102
.LBB48_260:
	ds_load_b32 v102, v1
.LBB48_261:
	s_and_saveexec_b32 s11, s0
	s_cbranch_execz .LBB48_265
; %bb.262:
	v_subrev_nc_u32_e32 v103, 22, v0
	s_movk_i32 s0, 0x58
	s_movk_i32 s13, 0x128
	s_mov_b32 s12, 0
.LBB48_263:                             ; =>This Inner Loop Header: Depth=1
	scratch_load_b32 v104, off, s0
	v_dual_mov_b32 v105, s13 :: v_dual_add_nc_u32 v103, -1, v103
	s_add_co_i32 s13, s13, 4
	s_wait_xcnt 0x0
	s_add_co_i32 s0, s0, 4
	ds_load_b32 v105, v105
	v_cmp_eq_u32_e32 vcc_lo, 0, v103
	s_or_b32 s12, vcc_lo, s12
	s_wait_loadcnt_dscnt 0x0
	v_fmac_f32_e32 v102, v104, v105
	s_and_not1_b32 exec_lo, exec_lo, s12
	s_cbranch_execnz .LBB48_263
; %bb.264:
	s_or_b32 exec_lo, exec_lo, s12
.LBB48_265:
	s_delay_alu instid0(SALU_CYCLE_1)
	s_or_b32 exec_lo, exec_lo, s11
	v_mov_b32_e32 v103, 0
	ds_load_b32 v103, v103 offset:84
	s_wait_dscnt 0x0
	v_mul_f32_e32 v102, v102, v103
	scratch_store_b32 off, v102, off offset:84
.LBB48_266:
	;; [unrolled: 58-line block ×3, first 2 shown]
	s_wait_xcnt 0x0
	s_or_b32 exec_lo, exec_lo, s2
	scratch_load_b32 v102, off, off offset:76
	v_cmp_lt_u32_e64 s1, 19, v0
	s_wait_loadcnt 0x0
	ds_store_b32 v1, v102
	s_wait_storecnt_dscnt 0x0
	s_barrier_signal -1
	s_barrier_wait -1
	s_wait_xcnt 0x0
	s_and_saveexec_b32 s2, s1
	s_cbranch_execz .LBB48_286
; %bb.277:
	s_and_not1_b32 vcc_lo, exec_lo, s3
	s_cbranch_vccnz .LBB48_279
; %bb.278:
	scratch_load_b32 v102, v7, off
	ds_load_b32 v103, v1
	s_wait_loadcnt_dscnt 0x0
	v_mul_f32_e32 v102, v102, v103
	s_cbranch_execz .LBB48_280
	s_branch .LBB48_281
.LBB48_279:
                                        ; implicit-def: $vgpr102
.LBB48_280:
	ds_load_b32 v102, v1
.LBB48_281:
	s_and_saveexec_b32 s11, s0
	s_cbranch_execz .LBB48_285
; %bb.282:
	v_subrev_nc_u32_e32 v103, 20, v0
	s_movk_i32 s12, 0x120
	s_mov_b32 s0, 0
.LBB48_283:                             ; =>This Inner Loop Header: Depth=1
	scratch_load_b32 v104, off, s10
	v_dual_mov_b32 v105, s12 :: v_dual_add_nc_u32 v103, -1, v103
	s_add_co_i32 s12, s12, 4
	s_wait_xcnt 0x0
	s_add_co_i32 s10, s10, 4
	ds_load_b32 v105, v105
	v_cmp_eq_u32_e32 vcc_lo, 0, v103
	s_or_b32 s0, vcc_lo, s0
	s_wait_loadcnt_dscnt 0x0
	v_fmac_f32_e32 v102, v104, v105
	s_and_not1_b32 exec_lo, exec_lo, s0
	s_cbranch_execnz .LBB48_283
; %bb.284:
	s_or_b32 exec_lo, exec_lo, s0
.LBB48_285:
	s_delay_alu instid0(SALU_CYCLE_1)
	s_or_b32 exec_lo, exec_lo, s11
	v_mov_b32_e32 v103, 0
	ds_load_b32 v103, v103 offset:76
	s_wait_dscnt 0x0
	v_mul_f32_e32 v102, v102, v103
	scratch_store_b32 off, v102, off offset:76
.LBB48_286:
	s_wait_xcnt 0x0
	s_or_b32 exec_lo, exec_lo, s2
	scratch_load_b32 v102, off, off offset:72
	v_cmp_lt_u32_e64 s0, 18, v0
	s_wait_loadcnt 0x0
	ds_store_b32 v1, v102
	s_wait_storecnt_dscnt 0x0
	s_barrier_signal -1
	s_barrier_wait -1
	s_wait_xcnt 0x0
	s_and_saveexec_b32 s2, s0
	s_cbranch_execz .LBB48_296
; %bb.287:
	s_and_not1_b32 vcc_lo, exec_lo, s3
	s_cbranch_vccnz .LBB48_289
; %bb.288:
	scratch_load_b32 v102, v7, off
	ds_load_b32 v103, v1
	s_wait_loadcnt_dscnt 0x0
	v_mul_f32_e32 v102, v102, v103
	s_cbranch_execz .LBB48_290
	s_branch .LBB48_291
.LBB48_289:
                                        ; implicit-def: $vgpr102
.LBB48_290:
	ds_load_b32 v102, v1
.LBB48_291:
	s_and_saveexec_b32 s10, s1
	s_cbranch_execz .LBB48_295
; %bb.292:
	v_subrev_nc_u32_e32 v103, 19, v0
	s_movk_i32 s1, 0x4c
	s_movk_i32 s12, 0x11c
	s_mov_b32 s11, 0
.LBB48_293:                             ; =>This Inner Loop Header: Depth=1
	scratch_load_b32 v104, off, s1
	v_dual_mov_b32 v105, s12 :: v_dual_add_nc_u32 v103, -1, v103
	s_add_co_i32 s12, s12, 4
	s_wait_xcnt 0x0
	s_add_co_i32 s1, s1, 4
	ds_load_b32 v105, v105
	v_cmp_eq_u32_e32 vcc_lo, 0, v103
	s_or_b32 s11, vcc_lo, s11
	s_wait_loadcnt_dscnt 0x0
	v_fmac_f32_e32 v102, v104, v105
	s_and_not1_b32 exec_lo, exec_lo, s11
	s_cbranch_execnz .LBB48_293
; %bb.294:
	s_or_b32 exec_lo, exec_lo, s11
.LBB48_295:
	s_delay_alu instid0(SALU_CYCLE_1)
	s_or_b32 exec_lo, exec_lo, s10
	v_mov_b32_e32 v103, 0
	ds_load_b32 v103, v103 offset:72
	s_wait_dscnt 0x0
	v_mul_f32_e32 v102, v102, v103
	scratch_store_b32 off, v102, off offset:72
.LBB48_296:
	s_wait_xcnt 0x0
	s_or_b32 exec_lo, exec_lo, s2
	scratch_load_b32 v102, off, off offset:68
	v_cmp_lt_u32_e64 s1, 17, v0
	s_wait_loadcnt 0x0
	ds_store_b32 v1, v102
	s_wait_storecnt_dscnt 0x0
	s_barrier_signal -1
	s_barrier_wait -1
	s_wait_xcnt 0x0
	s_and_saveexec_b32 s2, s1
	s_cbranch_execz .LBB48_306
; %bb.297:
	s_and_not1_b32 vcc_lo, exec_lo, s3
	s_cbranch_vccnz .LBB48_299
; %bb.298:
	scratch_load_b32 v102, v7, off
	ds_load_b32 v103, v1
	s_wait_loadcnt_dscnt 0x0
	v_mul_f32_e32 v102, v102, v103
	s_cbranch_execz .LBB48_300
	s_branch .LBB48_301
.LBB48_299:
                                        ; implicit-def: $vgpr102
.LBB48_300:
	ds_load_b32 v102, v1
.LBB48_301:
	s_and_saveexec_b32 s10, s0
	s_cbranch_execz .LBB48_305
; %bb.302:
	v_subrev_nc_u32_e32 v103, 18, v0
	s_movk_i32 s0, 0x48
	s_movk_i32 s12, 0x118
	s_mov_b32 s11, 0
.LBB48_303:                             ; =>This Inner Loop Header: Depth=1
	scratch_load_b32 v104, off, s0
	v_dual_mov_b32 v105, s12 :: v_dual_add_nc_u32 v103, -1, v103
	s_add_co_i32 s12, s12, 4
	s_wait_xcnt 0x0
	s_add_co_i32 s0, s0, 4
	ds_load_b32 v105, v105
	v_cmp_eq_u32_e32 vcc_lo, 0, v103
	s_or_b32 s11, vcc_lo, s11
	s_wait_loadcnt_dscnt 0x0
	v_fmac_f32_e32 v102, v104, v105
	s_and_not1_b32 exec_lo, exec_lo, s11
	s_cbranch_execnz .LBB48_303
; %bb.304:
	s_or_b32 exec_lo, exec_lo, s11
.LBB48_305:
	s_delay_alu instid0(SALU_CYCLE_1)
	s_or_b32 exec_lo, exec_lo, s10
	v_mov_b32_e32 v103, 0
	ds_load_b32 v103, v103 offset:68
	s_wait_dscnt 0x0
	v_mul_f32_e32 v102, v102, v103
	scratch_store_b32 off, v102, off offset:68
.LBB48_306:
	;; [unrolled: 58-line block ×3, first 2 shown]
	s_wait_xcnt 0x0
	s_or_b32 exec_lo, exec_lo, s2
	scratch_load_b32 v102, off, off offset:60
	v_cmp_lt_u32_e64 s1, 15, v0
	s_wait_loadcnt 0x0
	ds_store_b32 v1, v102
	s_wait_storecnt_dscnt 0x0
	s_barrier_signal -1
	s_barrier_wait -1
	s_wait_xcnt 0x0
	s_and_saveexec_b32 s2, s1
	s_cbranch_execz .LBB48_326
; %bb.317:
	s_and_not1_b32 vcc_lo, exec_lo, s3
	s_cbranch_vccnz .LBB48_319
; %bb.318:
	scratch_load_b32 v102, v7, off
	ds_load_b32 v103, v1
	s_wait_loadcnt_dscnt 0x0
	v_mul_f32_e32 v102, v102, v103
	s_cbranch_execz .LBB48_320
	s_branch .LBB48_321
.LBB48_319:
                                        ; implicit-def: $vgpr102
.LBB48_320:
	ds_load_b32 v102, v1
.LBB48_321:
	s_and_saveexec_b32 s10, s0
	s_cbranch_execz .LBB48_325
; %bb.322:
	v_add_nc_u32_e32 v103, -16, v0
	s_movk_i32 s11, 0x110
	s_mov_b32 s0, 0
.LBB48_323:                             ; =>This Inner Loop Header: Depth=1
	scratch_load_b32 v104, off, s9
	v_dual_mov_b32 v105, s11 :: v_dual_add_nc_u32 v103, -1, v103
	s_add_co_i32 s11, s11, 4
	s_wait_xcnt 0x0
	s_add_co_i32 s9, s9, 4
	ds_load_b32 v105, v105
	v_cmp_eq_u32_e32 vcc_lo, 0, v103
	s_or_b32 s0, vcc_lo, s0
	s_wait_loadcnt_dscnt 0x0
	v_fmac_f32_e32 v102, v104, v105
	s_and_not1_b32 exec_lo, exec_lo, s0
	s_cbranch_execnz .LBB48_323
; %bb.324:
	s_or_b32 exec_lo, exec_lo, s0
.LBB48_325:
	s_delay_alu instid0(SALU_CYCLE_1)
	s_or_b32 exec_lo, exec_lo, s10
	v_mov_b32_e32 v103, 0
	ds_load_b32 v103, v103 offset:60
	s_wait_dscnt 0x0
	v_mul_f32_e32 v102, v102, v103
	scratch_store_b32 off, v102, off offset:60
.LBB48_326:
	s_wait_xcnt 0x0
	s_or_b32 exec_lo, exec_lo, s2
	scratch_load_b32 v102, off, off offset:56
	v_cmp_lt_u32_e64 s0, 14, v0
	s_wait_loadcnt 0x0
	ds_store_b32 v1, v102
	s_wait_storecnt_dscnt 0x0
	s_barrier_signal -1
	s_barrier_wait -1
	s_wait_xcnt 0x0
	s_and_saveexec_b32 s2, s0
	s_cbranch_execz .LBB48_336
; %bb.327:
	s_and_not1_b32 vcc_lo, exec_lo, s3
	s_cbranch_vccnz .LBB48_329
; %bb.328:
	scratch_load_b32 v102, v7, off
	ds_load_b32 v103, v1
	s_wait_loadcnt_dscnt 0x0
	v_mul_f32_e32 v102, v102, v103
	s_cbranch_execz .LBB48_330
	s_branch .LBB48_331
.LBB48_329:
                                        ; implicit-def: $vgpr102
.LBB48_330:
	ds_load_b32 v102, v1
.LBB48_331:
	s_and_saveexec_b32 s9, s1
	s_cbranch_execz .LBB48_335
; %bb.332:
	v_add_nc_u32_e32 v103, -15, v0
	s_mov_b32 s1, 60
	s_movk_i32 s11, 0x10c
	s_mov_b32 s10, 0
.LBB48_333:                             ; =>This Inner Loop Header: Depth=1
	scratch_load_b32 v104, off, s1
	v_dual_mov_b32 v105, s11 :: v_dual_add_nc_u32 v103, -1, v103
	s_add_co_i32 s11, s11, 4
	s_wait_xcnt 0x0
	s_add_co_i32 s1, s1, 4
	ds_load_b32 v105, v105
	v_cmp_eq_u32_e32 vcc_lo, 0, v103
	s_or_b32 s10, vcc_lo, s10
	s_wait_loadcnt_dscnt 0x0
	v_fmac_f32_e32 v102, v104, v105
	s_and_not1_b32 exec_lo, exec_lo, s10
	s_cbranch_execnz .LBB48_333
; %bb.334:
	s_or_b32 exec_lo, exec_lo, s10
.LBB48_335:
	s_delay_alu instid0(SALU_CYCLE_1)
	s_or_b32 exec_lo, exec_lo, s9
	v_mov_b32_e32 v103, 0
	ds_load_b32 v103, v103 offset:56
	s_wait_dscnt 0x0
	v_mul_f32_e32 v102, v102, v103
	scratch_store_b32 off, v102, off offset:56
.LBB48_336:
	s_wait_xcnt 0x0
	s_or_b32 exec_lo, exec_lo, s2
	scratch_load_b32 v102, off, off offset:52
	v_cmp_lt_u32_e64 s1, 13, v0
	s_wait_loadcnt 0x0
	ds_store_b32 v1, v102
	s_wait_storecnt_dscnt 0x0
	s_barrier_signal -1
	s_barrier_wait -1
	s_wait_xcnt 0x0
	s_and_saveexec_b32 s2, s1
	s_cbranch_execz .LBB48_346
; %bb.337:
	s_and_not1_b32 vcc_lo, exec_lo, s3
	s_cbranch_vccnz .LBB48_339
; %bb.338:
	scratch_load_b32 v102, v7, off
	ds_load_b32 v103, v1
	s_wait_loadcnt_dscnt 0x0
	v_mul_f32_e32 v102, v102, v103
	s_cbranch_execz .LBB48_340
	s_branch .LBB48_341
.LBB48_339:
                                        ; implicit-def: $vgpr102
.LBB48_340:
	ds_load_b32 v102, v1
.LBB48_341:
	s_and_saveexec_b32 s9, s0
	s_cbranch_execz .LBB48_345
; %bb.342:
	v_add_nc_u32_e32 v103, -14, v0
	s_mov_b32 s0, 56
	s_movk_i32 s11, 0x108
	s_mov_b32 s10, 0
.LBB48_343:                             ; =>This Inner Loop Header: Depth=1
	scratch_load_b32 v104, off, s0
	v_dual_mov_b32 v105, s11 :: v_dual_add_nc_u32 v103, -1, v103
	s_add_co_i32 s11, s11, 4
	s_wait_xcnt 0x0
	s_add_co_i32 s0, s0, 4
	ds_load_b32 v105, v105
	v_cmp_eq_u32_e32 vcc_lo, 0, v103
	s_or_b32 s10, vcc_lo, s10
	s_wait_loadcnt_dscnt 0x0
	v_fmac_f32_e32 v102, v104, v105
	s_and_not1_b32 exec_lo, exec_lo, s10
	s_cbranch_execnz .LBB48_343
; %bb.344:
	s_or_b32 exec_lo, exec_lo, s10
.LBB48_345:
	s_delay_alu instid0(SALU_CYCLE_1)
	s_or_b32 exec_lo, exec_lo, s9
	v_mov_b32_e32 v103, 0
	ds_load_b32 v103, v103 offset:52
	s_wait_dscnt 0x0
	v_mul_f32_e32 v102, v102, v103
	scratch_store_b32 off, v102, off offset:52
.LBB48_346:
	;; [unrolled: 58-line block ×3, first 2 shown]
	s_wait_xcnt 0x0
	s_or_b32 exec_lo, exec_lo, s2
	scratch_load_b32 v102, off, off offset:44
	v_cmp_lt_u32_e64 s1, 11, v0
	s_wait_loadcnt 0x0
	ds_store_b32 v1, v102
	s_wait_storecnt_dscnt 0x0
	s_barrier_signal -1
	s_barrier_wait -1
	s_wait_xcnt 0x0
	s_and_saveexec_b32 s2, s1
	s_cbranch_execz .LBB48_366
; %bb.357:
	s_and_not1_b32 vcc_lo, exec_lo, s3
	s_cbranch_vccnz .LBB48_359
; %bb.358:
	scratch_load_b32 v102, v7, off
	ds_load_b32 v103, v1
	s_wait_loadcnt_dscnt 0x0
	v_mul_f32_e32 v102, v102, v103
	s_cbranch_execz .LBB48_360
	s_branch .LBB48_361
.LBB48_359:
                                        ; implicit-def: $vgpr102
.LBB48_360:
	ds_load_b32 v102, v1
.LBB48_361:
	s_and_saveexec_b32 s9, s0
	s_cbranch_execz .LBB48_365
; %bb.362:
	v_add_nc_u32_e32 v103, -12, v0
	s_movk_i32 s10, 0x100
	s_mov_b32 s0, 0
.LBB48_363:                             ; =>This Inner Loop Header: Depth=1
	scratch_load_b32 v104, off, s8
	v_dual_mov_b32 v105, s10 :: v_dual_add_nc_u32 v103, -1, v103
	s_add_co_i32 s10, s10, 4
	s_wait_xcnt 0x0
	s_add_co_i32 s8, s8, 4
	ds_load_b32 v105, v105
	v_cmp_eq_u32_e32 vcc_lo, 0, v103
	s_or_b32 s0, vcc_lo, s0
	s_wait_loadcnt_dscnt 0x0
	v_fmac_f32_e32 v102, v104, v105
	s_and_not1_b32 exec_lo, exec_lo, s0
	s_cbranch_execnz .LBB48_363
; %bb.364:
	s_or_b32 exec_lo, exec_lo, s0
.LBB48_365:
	s_delay_alu instid0(SALU_CYCLE_1)
	s_or_b32 exec_lo, exec_lo, s9
	v_mov_b32_e32 v103, 0
	ds_load_b32 v103, v103 offset:44
	s_wait_dscnt 0x0
	v_mul_f32_e32 v102, v102, v103
	scratch_store_b32 off, v102, off offset:44
.LBB48_366:
	s_wait_xcnt 0x0
	s_or_b32 exec_lo, exec_lo, s2
	scratch_load_b32 v102, off, off offset:40
	v_cmp_lt_u32_e64 s0, 10, v0
	s_wait_loadcnt 0x0
	ds_store_b32 v1, v102
	s_wait_storecnt_dscnt 0x0
	s_barrier_signal -1
	s_barrier_wait -1
	s_wait_xcnt 0x0
	s_and_saveexec_b32 s2, s0
	s_cbranch_execz .LBB48_376
; %bb.367:
	s_and_not1_b32 vcc_lo, exec_lo, s3
	s_cbranch_vccnz .LBB48_369
; %bb.368:
	scratch_load_b32 v102, v7, off
	ds_load_b32 v103, v1
	s_wait_loadcnt_dscnt 0x0
	v_mul_f32_e32 v102, v102, v103
	s_cbranch_execz .LBB48_370
	s_branch .LBB48_371
.LBB48_369:
                                        ; implicit-def: $vgpr102
.LBB48_370:
	ds_load_b32 v102, v1
.LBB48_371:
	s_and_saveexec_b32 s8, s1
	s_cbranch_execz .LBB48_375
; %bb.372:
	v_add_nc_u32_e32 v103, -11, v0
	s_mov_b32 s1, 44
	s_movk_i32 s10, 0xfc
	s_mov_b32 s9, 0
.LBB48_373:                             ; =>This Inner Loop Header: Depth=1
	scratch_load_b32 v104, off, s1
	v_dual_mov_b32 v105, s10 :: v_dual_add_nc_u32 v103, -1, v103
	s_add_co_i32 s10, s10, 4
	s_wait_xcnt 0x0
	s_add_co_i32 s1, s1, 4
	ds_load_b32 v105, v105
	v_cmp_eq_u32_e32 vcc_lo, 0, v103
	s_or_b32 s9, vcc_lo, s9
	s_wait_loadcnt_dscnt 0x0
	v_fmac_f32_e32 v102, v104, v105
	s_and_not1_b32 exec_lo, exec_lo, s9
	s_cbranch_execnz .LBB48_373
; %bb.374:
	s_or_b32 exec_lo, exec_lo, s9
.LBB48_375:
	s_delay_alu instid0(SALU_CYCLE_1)
	s_or_b32 exec_lo, exec_lo, s8
	v_mov_b32_e32 v103, 0
	ds_load_b32 v103, v103 offset:40
	s_wait_dscnt 0x0
	v_mul_f32_e32 v102, v102, v103
	scratch_store_b32 off, v102, off offset:40
.LBB48_376:
	s_wait_xcnt 0x0
	s_or_b32 exec_lo, exec_lo, s2
	scratch_load_b32 v102, off, off offset:36
	v_cmp_lt_u32_e64 s1, 9, v0
	s_wait_loadcnt 0x0
	ds_store_b32 v1, v102
	s_wait_storecnt_dscnt 0x0
	s_barrier_signal -1
	s_barrier_wait -1
	s_wait_xcnt 0x0
	s_and_saveexec_b32 s2, s1
	s_cbranch_execz .LBB48_386
; %bb.377:
	s_and_not1_b32 vcc_lo, exec_lo, s3
	s_cbranch_vccnz .LBB48_379
; %bb.378:
	scratch_load_b32 v102, v7, off
	ds_load_b32 v103, v1
	s_wait_loadcnt_dscnt 0x0
	v_mul_f32_e32 v102, v102, v103
	s_cbranch_execz .LBB48_380
	s_branch .LBB48_381
.LBB48_379:
                                        ; implicit-def: $vgpr102
.LBB48_380:
	ds_load_b32 v102, v1
.LBB48_381:
	s_and_saveexec_b32 s8, s0
	s_cbranch_execz .LBB48_385
; %bb.382:
	v_add_nc_u32_e32 v103, -10, v0
	s_mov_b32 s0, 40
	s_movk_i32 s10, 0xf8
	s_mov_b32 s9, 0
.LBB48_383:                             ; =>This Inner Loop Header: Depth=1
	scratch_load_b32 v104, off, s0
	v_dual_mov_b32 v105, s10 :: v_dual_add_nc_u32 v103, -1, v103
	s_add_co_i32 s10, s10, 4
	s_wait_xcnt 0x0
	s_add_co_i32 s0, s0, 4
	ds_load_b32 v105, v105
	v_cmp_eq_u32_e32 vcc_lo, 0, v103
	s_or_b32 s9, vcc_lo, s9
	s_wait_loadcnt_dscnt 0x0
	v_fmac_f32_e32 v102, v104, v105
	s_and_not1_b32 exec_lo, exec_lo, s9
	s_cbranch_execnz .LBB48_383
; %bb.384:
	s_or_b32 exec_lo, exec_lo, s9
.LBB48_385:
	s_delay_alu instid0(SALU_CYCLE_1)
	s_or_b32 exec_lo, exec_lo, s8
	v_mov_b32_e32 v103, 0
	ds_load_b32 v103, v103 offset:36
	s_wait_dscnt 0x0
	v_mul_f32_e32 v102, v102, v103
	scratch_store_b32 off, v102, off offset:36
.LBB48_386:
	;; [unrolled: 58-line block ×3, first 2 shown]
	s_wait_xcnt 0x0
	s_or_b32 exec_lo, exec_lo, s2
	scratch_load_b32 v102, off, off offset:28
	v_cmp_lt_u32_e64 s1, 7, v0
	s_wait_loadcnt 0x0
	ds_store_b32 v1, v102
	s_wait_storecnt_dscnt 0x0
	s_barrier_signal -1
	s_barrier_wait -1
	s_wait_xcnt 0x0
	s_and_saveexec_b32 s2, s1
	s_cbranch_execz .LBB48_406
; %bb.397:
	s_and_not1_b32 vcc_lo, exec_lo, s3
	s_cbranch_vccnz .LBB48_399
; %bb.398:
	scratch_load_b32 v102, v7, off
	ds_load_b32 v103, v1
	s_wait_loadcnt_dscnt 0x0
	v_mul_f32_e32 v102, v102, v103
	s_cbranch_execz .LBB48_400
	s_branch .LBB48_401
.LBB48_399:
                                        ; implicit-def: $vgpr102
.LBB48_400:
	ds_load_b32 v102, v1
.LBB48_401:
	s_and_saveexec_b32 s8, s0
	s_cbranch_execz .LBB48_405
; %bb.402:
	v_add_nc_u32_e32 v103, -8, v0
	s_movk_i32 s9, 0xf0
	s_mov_b32 s0, 0
.LBB48_403:                             ; =>This Inner Loop Header: Depth=1
	scratch_load_b32 v104, off, s5
	v_dual_mov_b32 v105, s9 :: v_dual_add_nc_u32 v103, -1, v103
	s_add_co_i32 s9, s9, 4
	s_wait_xcnt 0x0
	s_add_co_i32 s5, s5, 4
	ds_load_b32 v105, v105
	v_cmp_eq_u32_e32 vcc_lo, 0, v103
	s_or_b32 s0, vcc_lo, s0
	s_wait_loadcnt_dscnt 0x0
	v_fmac_f32_e32 v102, v104, v105
	s_and_not1_b32 exec_lo, exec_lo, s0
	s_cbranch_execnz .LBB48_403
; %bb.404:
	s_or_b32 exec_lo, exec_lo, s0
.LBB48_405:
	s_delay_alu instid0(SALU_CYCLE_1)
	s_or_b32 exec_lo, exec_lo, s8
	v_mov_b32_e32 v103, 0
	ds_load_b32 v103, v103 offset:28
	s_wait_dscnt 0x0
	v_mul_f32_e32 v102, v102, v103
	scratch_store_b32 off, v102, off offset:28
.LBB48_406:
	s_wait_xcnt 0x0
	s_or_b32 exec_lo, exec_lo, s2
	scratch_load_b32 v102, off, off offset:24
	v_cmp_lt_u32_e64 s0, 6, v0
	s_wait_loadcnt 0x0
	ds_store_b32 v1, v102
	s_wait_storecnt_dscnt 0x0
	s_barrier_signal -1
	s_barrier_wait -1
	s_wait_xcnt 0x0
	s_and_saveexec_b32 s2, s0
	s_cbranch_execz .LBB48_416
; %bb.407:
	s_and_not1_b32 vcc_lo, exec_lo, s3
	s_cbranch_vccnz .LBB48_409
; %bb.408:
	scratch_load_b32 v102, v7, off
	ds_load_b32 v103, v1
	s_wait_loadcnt_dscnt 0x0
	v_mul_f32_e32 v102, v102, v103
	s_cbranch_execz .LBB48_410
	s_branch .LBB48_411
.LBB48_409:
                                        ; implicit-def: $vgpr102
.LBB48_410:
	ds_load_b32 v102, v1
.LBB48_411:
	s_and_saveexec_b32 s5, s1
	s_cbranch_execz .LBB48_415
; %bb.412:
	v_add_nc_u32_e32 v103, -7, v0
	s_mov_b32 s1, 28
	s_movk_i32 s9, 0xec
	s_mov_b32 s8, 0
.LBB48_413:                             ; =>This Inner Loop Header: Depth=1
	scratch_load_b32 v104, off, s1
	v_dual_mov_b32 v105, s9 :: v_dual_add_nc_u32 v103, -1, v103
	s_add_co_i32 s9, s9, 4
	s_wait_xcnt 0x0
	s_add_co_i32 s1, s1, 4
	ds_load_b32 v105, v105
	v_cmp_eq_u32_e32 vcc_lo, 0, v103
	s_or_b32 s8, vcc_lo, s8
	s_wait_loadcnt_dscnt 0x0
	v_fmac_f32_e32 v102, v104, v105
	s_and_not1_b32 exec_lo, exec_lo, s8
	s_cbranch_execnz .LBB48_413
; %bb.414:
	s_or_b32 exec_lo, exec_lo, s8
.LBB48_415:
	s_delay_alu instid0(SALU_CYCLE_1)
	s_or_b32 exec_lo, exec_lo, s5
	v_mov_b32_e32 v103, 0
	ds_load_b32 v103, v103 offset:24
	s_wait_dscnt 0x0
	v_mul_f32_e32 v102, v102, v103
	scratch_store_b32 off, v102, off offset:24
.LBB48_416:
	s_wait_xcnt 0x0
	s_or_b32 exec_lo, exec_lo, s2
	scratch_load_b32 v102, off, off offset:20
	v_cmp_lt_u32_e64 s1, 5, v0
	s_wait_loadcnt 0x0
	ds_store_b32 v1, v102
	s_wait_storecnt_dscnt 0x0
	s_barrier_signal -1
	s_barrier_wait -1
	s_wait_xcnt 0x0
	s_and_saveexec_b32 s2, s1
	s_cbranch_execz .LBB48_426
; %bb.417:
	s_and_not1_b32 vcc_lo, exec_lo, s3
	s_cbranch_vccnz .LBB48_419
; %bb.418:
	scratch_load_b32 v102, v7, off
	ds_load_b32 v103, v1
	s_wait_loadcnt_dscnt 0x0
	v_mul_f32_e32 v102, v102, v103
	s_cbranch_execz .LBB48_420
	s_branch .LBB48_421
.LBB48_419:
                                        ; implicit-def: $vgpr102
.LBB48_420:
	ds_load_b32 v102, v1
.LBB48_421:
	s_and_saveexec_b32 s5, s0
	s_cbranch_execz .LBB48_425
; %bb.422:
	v_add_nc_u32_e32 v103, -6, v0
	s_mov_b32 s0, 24
	s_movk_i32 s9, 0xe8
	s_mov_b32 s8, 0
.LBB48_423:                             ; =>This Inner Loop Header: Depth=1
	scratch_load_b32 v104, off, s0
	v_dual_mov_b32 v105, s9 :: v_dual_add_nc_u32 v103, -1, v103
	s_add_co_i32 s9, s9, 4
	s_wait_xcnt 0x0
	s_add_co_i32 s0, s0, 4
	ds_load_b32 v105, v105
	v_cmp_eq_u32_e32 vcc_lo, 0, v103
	s_or_b32 s8, vcc_lo, s8
	s_wait_loadcnt_dscnt 0x0
	v_fmac_f32_e32 v102, v104, v105
	s_and_not1_b32 exec_lo, exec_lo, s8
	s_cbranch_execnz .LBB48_423
; %bb.424:
	s_or_b32 exec_lo, exec_lo, s8
.LBB48_425:
	s_delay_alu instid0(SALU_CYCLE_1)
	s_or_b32 exec_lo, exec_lo, s5
	v_mov_b32_e32 v103, 0
	ds_load_b32 v103, v103 offset:20
	s_wait_dscnt 0x0
	v_mul_f32_e32 v102, v102, v103
	scratch_store_b32 off, v102, off offset:20
.LBB48_426:
	;; [unrolled: 58-line block ×3, first 2 shown]
	s_wait_xcnt 0x0
	s_or_b32 exec_lo, exec_lo, s2
	scratch_load_b32 v102, off, off offset:12
	v_cmp_lt_u32_e64 s2, 3, v0
	s_wait_loadcnt 0x0
	ds_store_b32 v1, v102
	s_wait_storecnt_dscnt 0x0
	s_barrier_signal -1
	s_barrier_wait -1
	s_wait_xcnt 0x0
	s_and_saveexec_b32 s1, s2
	s_cbranch_execz .LBB48_446
; %bb.437:
	s_and_not1_b32 vcc_lo, exec_lo, s3
	s_cbranch_vccnz .LBB48_439
; %bb.438:
	scratch_load_b32 v102, v7, off
	ds_load_b32 v103, v1
	s_wait_loadcnt_dscnt 0x0
	v_mul_f32_e32 v102, v102, v103
	s_cbranch_execz .LBB48_440
	s_branch .LBB48_441
.LBB48_439:
                                        ; implicit-def: $vgpr102
.LBB48_440:
	ds_load_b32 v102, v1
.LBB48_441:
	s_and_saveexec_b32 s5, s0
	s_cbranch_execz .LBB48_445
; %bb.442:
	v_add_nc_u32_e32 v103, -4, v0
	s_movk_i32 s8, 0xe0
	s_mov_b32 s0, 0
.LBB48_443:                             ; =>This Inner Loop Header: Depth=1
	scratch_load_b32 v104, off, s4
	v_dual_mov_b32 v105, s8 :: v_dual_add_nc_u32 v103, -1, v103
	s_add_co_i32 s8, s8, 4
	s_wait_xcnt 0x0
	s_add_co_i32 s4, s4, 4
	ds_load_b32 v105, v105
	v_cmp_eq_u32_e32 vcc_lo, 0, v103
	s_or_b32 s0, vcc_lo, s0
	s_wait_loadcnt_dscnt 0x0
	v_fmac_f32_e32 v102, v104, v105
	s_and_not1_b32 exec_lo, exec_lo, s0
	s_cbranch_execnz .LBB48_443
; %bb.444:
	s_or_b32 exec_lo, exec_lo, s0
.LBB48_445:
	s_delay_alu instid0(SALU_CYCLE_1)
	s_or_b32 exec_lo, exec_lo, s5
	v_mov_b32_e32 v103, 0
	ds_load_b32 v103, v103 offset:12
	s_wait_dscnt 0x0
	v_mul_f32_e32 v102, v102, v103
	scratch_store_b32 off, v102, off offset:12
.LBB48_446:
	s_wait_xcnt 0x0
	s_or_b32 exec_lo, exec_lo, s1
	scratch_load_b32 v102, off, off offset:8
	v_cmp_lt_u32_e64 s1, 2, v0
	s_wait_loadcnt 0x0
	ds_store_b32 v1, v102
	s_wait_storecnt_dscnt 0x0
	s_barrier_signal -1
	s_barrier_wait -1
	s_wait_xcnt 0x0
	s_and_saveexec_b32 s0, s1
	s_cbranch_execz .LBB48_456
; %bb.447:
	s_and_not1_b32 vcc_lo, exec_lo, s3
	s_cbranch_vccnz .LBB48_449
; %bb.448:
	scratch_load_b32 v102, v7, off
	ds_load_b32 v103, v1
	s_wait_loadcnt_dscnt 0x0
	v_mul_f32_e32 v102, v102, v103
	s_cbranch_execz .LBB48_450
	s_branch .LBB48_451
.LBB48_449:
                                        ; implicit-def: $vgpr102
.LBB48_450:
	ds_load_b32 v102, v1
.LBB48_451:
	s_and_saveexec_b32 s4, s2
	s_cbranch_execz .LBB48_455
; %bb.452:
	v_add_nc_u32_e32 v103, -3, v0
	s_or_b32 s2, 0, 12
	s_movk_i32 s8, 0xdc
	s_mov_b32 s5, 0
.LBB48_453:                             ; =>This Inner Loop Header: Depth=1
	scratch_load_b32 v104, off, s2
	v_dual_mov_b32 v105, s8 :: v_dual_add_nc_u32 v103, -1, v103
	s_add_co_i32 s8, s8, 4
	s_wait_xcnt 0x0
	s_add_co_i32 s2, s2, 4
	ds_load_b32 v105, v105
	v_cmp_eq_u32_e32 vcc_lo, 0, v103
	s_or_b32 s5, vcc_lo, s5
	s_wait_loadcnt_dscnt 0x0
	v_fmac_f32_e32 v102, v104, v105
	s_and_not1_b32 exec_lo, exec_lo, s5
	s_cbranch_execnz .LBB48_453
; %bb.454:
	s_or_b32 exec_lo, exec_lo, s5
.LBB48_455:
	s_delay_alu instid0(SALU_CYCLE_1)
	s_or_b32 exec_lo, exec_lo, s4
	v_mov_b32_e32 v103, 0
	ds_load_b32 v103, v103 offset:8
	s_wait_dscnt 0x0
	v_mul_f32_e32 v102, v102, v103
	scratch_store_b32 off, v102, off offset:8
.LBB48_456:
	s_wait_xcnt 0x0
	s_or_b32 exec_lo, exec_lo, s0
	scratch_load_b32 v102, off, off offset:4
	v_cmp_lt_u32_e64 s0, 1, v0
	s_wait_loadcnt 0x0
	ds_store_b32 v1, v102
	s_wait_storecnt_dscnt 0x0
	s_barrier_signal -1
	s_barrier_wait -1
	s_wait_xcnt 0x0
	s_and_saveexec_b32 s2, s0
	s_cbranch_execz .LBB48_466
; %bb.457:
	s_and_not1_b32 vcc_lo, exec_lo, s3
	s_cbranch_vccnz .LBB48_459
; %bb.458:
	scratch_load_b32 v102, v7, off
	ds_load_b32 v103, v1
	s_wait_loadcnt_dscnt 0x0
	v_mul_f32_e32 v102, v102, v103
	s_cbranch_execz .LBB48_460
	s_branch .LBB48_461
.LBB48_459:
                                        ; implicit-def: $vgpr102
.LBB48_460:
	ds_load_b32 v102, v1
.LBB48_461:
	s_and_saveexec_b32 s4, s1
	s_cbranch_execz .LBB48_465
; %bb.462:
	v_add_nc_u32_e32 v103, -2, v0
	s_or_b32 s1, 0, 8
	s_movk_i32 s8, 0xd8
	s_mov_b32 s5, 0
.LBB48_463:                             ; =>This Inner Loop Header: Depth=1
	scratch_load_b32 v104, off, s1
	v_dual_mov_b32 v105, s8 :: v_dual_add_nc_u32 v103, -1, v103
	s_add_co_i32 s8, s8, 4
	s_wait_xcnt 0x0
	s_add_co_i32 s1, s1, 4
	ds_load_b32 v105, v105
	v_cmp_eq_u32_e32 vcc_lo, 0, v103
	s_or_b32 s5, vcc_lo, s5
	s_wait_loadcnt_dscnt 0x0
	v_fmac_f32_e32 v102, v104, v105
	s_and_not1_b32 exec_lo, exec_lo, s5
	s_cbranch_execnz .LBB48_463
; %bb.464:
	s_or_b32 exec_lo, exec_lo, s5
.LBB48_465:
	s_delay_alu instid0(SALU_CYCLE_1)
	s_or_b32 exec_lo, exec_lo, s4
	v_mov_b32_e32 v103, 0
	ds_load_b32 v103, v103 offset:4
	s_wait_dscnt 0x0
	v_mul_f32_e32 v102, v102, v103
	scratch_store_b32 off, v102, off offset:4
.LBB48_466:
	s_wait_xcnt 0x0
	s_or_b32 exec_lo, exec_lo, s2
	scratch_load_b32 v102, off, off
	s_mov_b32 s1, 0
	s_mov_b32 s2, exec_lo
	s_wait_loadcnt 0x0
	ds_store_b32 v1, v102
	s_wait_storecnt_dscnt 0x0
	s_barrier_signal -1
	s_barrier_wait -1
	s_wait_xcnt 0x0
	v_cmpx_ne_u32_e32 0, v0
	s_cbranch_execz .LBB48_476
; %bb.467:
	s_and_not1_b32 vcc_lo, exec_lo, s3
	s_cbranch_vccnz .LBB48_469
; %bb.468:
	scratch_load_b32 v102, v7, off
	ds_load_b32 v103, v1
	s_wait_loadcnt_dscnt 0x0
	v_mul_f32_e32 v102, v102, v103
	s_cbranch_execz .LBB48_470
	s_branch .LBB48_471
.LBB48_469:
                                        ; implicit-def: $vgpr102
.LBB48_470:
	ds_load_b32 v102, v1
.LBB48_471:
	s_and_saveexec_b32 s4, s0
	s_cbranch_execz .LBB48_475
; %bb.472:
	v_add_nc_u32_e32 v103, -1, v0
	s_or_b32 s0, 0, 4
	s_movk_i32 s8, 0xd4
	s_mov_b32 s5, 0
.LBB48_473:                             ; =>This Inner Loop Header: Depth=1
	scratch_load_b32 v104, off, s0
	v_dual_mov_b32 v105, s8 :: v_dual_add_nc_u32 v103, -1, v103
	s_add_co_i32 s8, s8, 4
	s_wait_xcnt 0x0
	s_add_co_i32 s0, s0, 4
	ds_load_b32 v105, v105
	v_cmp_eq_u32_e32 vcc_lo, 0, v103
	s_or_b32 s5, vcc_lo, s5
	s_wait_loadcnt_dscnt 0x0
	v_fmac_f32_e32 v102, v104, v105
	s_and_not1_b32 exec_lo, exec_lo, s5
	s_cbranch_execnz .LBB48_473
; %bb.474:
	s_or_b32 exec_lo, exec_lo, s5
.LBB48_475:
	s_delay_alu instid0(SALU_CYCLE_1)
	s_or_b32 exec_lo, exec_lo, s4
	v_mov_b32_e32 v103, 0
	ds_load_b32 v103, v103
	s_wait_dscnt 0x0
	v_mul_f32_e32 v102, v102, v103
	scratch_store_b32 off, v102, off
.LBB48_476:
	s_wait_xcnt 0x0
	s_or_b32 exec_lo, exec_lo, s2
.LBB48_477:
	v_lshl_add_u64 v[124:125], v[8:9], 2, s[6:7]
	v_lshl_add_u64 v[122:123], v[10:11], 2, s[6:7]
	;; [unrolled: 1-line block ×47, first 2 shown]
	s_and_b32 vcc_lo, exec_lo, s1
	s_cbranch_vccz .LBB48_949
; %bb.478:
	scratch_load_b32 v78, off, off offset:4
	v_cmp_eq_u32_e64 s0, 0, v0
	s_wait_loadcnt 0x0
	ds_store_b32 v1, v78
	s_wait_storecnt_dscnt 0x0
	s_barrier_signal -1
	s_barrier_wait -1
	s_wait_xcnt 0x0
	s_and_saveexec_b32 s1, s0
	s_cbranch_execz .LBB48_484
; %bb.479:
	s_and_b32 vcc_lo, exec_lo, s3
	s_cbranch_vccz .LBB48_481
; %bb.480:
	scratch_load_b32 v78, v7, off
	ds_load_b32 v79, v1
	s_wait_loadcnt_dscnt 0x0
	v_mul_f32_e32 v78, v78, v79
	s_cbranch_execz .LBB48_482
	s_branch .LBB48_483
.LBB48_481:
                                        ; implicit-def: $vgpr78
.LBB48_482:
	ds_load_b32 v78, v1
.LBB48_483:
	v_mov_b32_e32 v79, 0
	ds_load_b32 v79, v79 offset:4
	s_wait_dscnt 0x0
	v_mul_f32_e32 v78, v78, v79
	scratch_store_b32 off, v78, off offset:4
.LBB48_484:
	s_wait_xcnt 0x0
	s_or_b32 exec_lo, exec_lo, s1
	scratch_load_b32 v79, off, off offset:8
	v_cndmask_b32_e64 v78, 0, 1, s3
	s_mov_b32 s1, exec_lo
	s_wait_loadcnt 0x0
	ds_store_b32 v1, v79
	s_wait_storecnt_dscnt 0x0
	s_barrier_signal -1
	s_barrier_wait -1
	s_wait_xcnt 0x0
	v_cmpx_gt_u32_e32 2, v0
	s_cbranch_execz .LBB48_490
; %bb.485:
	s_and_not1_b32 vcc_lo, exec_lo, s3
	s_cbranch_vccnz .LBB48_487
; %bb.486:
	scratch_load_b32 v79, v7, off
	ds_load_b32 v80, v1
	s_wait_loadcnt_dscnt 0x0
	v_mul_f32_e32 v79, v79, v80
	s_cbranch_execz .LBB48_488
	s_branch .LBB48_489
.LBB48_487:
                                        ; implicit-def: $vgpr79
.LBB48_488:
	ds_load_b32 v79, v1
.LBB48_489:
	scratch_load_b32 v82, off, off offset:4
	v_mov_b32_e32 v80, 0
	ds_load_2addr_b32 v[80:81], v80 offset0:2 offset1:53
	s_wait_loadcnt_dscnt 0x0
	v_fma_f32 v81, v82, v81, v79
	s_delay_alu instid0(VALU_DEP_1) | instskip(NEXT) | instid1(VALU_DEP_1)
	v_cndmask_b32_e64 v79, v79, v81, s0
	v_mul_f32_e32 v79, v79, v80
	scratch_store_b32 off, v79, off offset:8
.LBB48_490:
	s_wait_xcnt 0x0
	s_or_b32 exec_lo, exec_lo, s1
	scratch_load_b32 v79, off, off offset:12
	s_mov_b32 s1, exec_lo
	s_wait_loadcnt 0x0
	ds_store_b32 v1, v79
	s_wait_storecnt_dscnt 0x0
	s_barrier_signal -1
	s_barrier_wait -1
	s_wait_xcnt 0x0
	v_cmpx_gt_u32_e32 3, v0
	s_cbranch_execz .LBB48_498
; %bb.491:
	v_cmp_ne_u32_e32 vcc_lo, 1, v78
	s_cbranch_vccnz .LBB48_493
; %bb.492:
	scratch_load_b32 v79, v7, off
	ds_load_b32 v80, v1
	s_wait_loadcnt_dscnt 0x0
	v_mul_f32_e32 v79, v79, v80
	s_cbranch_execz .LBB48_494
	s_branch .LBB48_495
.LBB48_493:
                                        ; implicit-def: $vgpr79
.LBB48_494:
	ds_load_b32 v79, v1
.LBB48_495:
	s_mov_b32 s2, exec_lo
	v_cmpx_ne_u32_e32 2, v0
	s_cbranch_execz .LBB48_497
; %bb.496:
	scratch_load_b32 v80, v7, off offset:4
	scratch_load_b32 v81, off, off offset:8
	ds_load_b32 v82, v1 offset:4
	v_mov_b32_e32 v83, 0
	ds_load_b32 v83, v83 offset:216
	s_wait_loadcnt_dscnt 0x101
	v_fmac_f32_e32 v79, v80, v82
	s_wait_loadcnt_dscnt 0x0
	s_delay_alu instid0(VALU_DEP_1) | instskip(NEXT) | instid1(VALU_DEP_1)
	v_fma_f32 v80, v81, v83, v79
	v_cndmask_b32_e64 v79, v79, v80, s0
.LBB48_497:
	s_or_b32 exec_lo, exec_lo, s2
	v_mov_b32_e32 v80, 0
	ds_load_b32 v80, v80 offset:12
	s_wait_dscnt 0x0
	v_mul_f32_e32 v79, v79, v80
	scratch_store_b32 off, v79, off offset:12
.LBB48_498:
	s_wait_xcnt 0x0
	s_or_b32 exec_lo, exec_lo, s1
	scratch_load_b32 v79, off, off offset:16
	s_mov_b32 s0, exec_lo
	s_wait_loadcnt 0x0
	ds_store_b32 v1, v79
	s_wait_storecnt_dscnt 0x0
	s_barrier_signal -1
	s_barrier_wait -1
	s_wait_xcnt 0x0
	v_cmpx_gt_u32_e32 4, v0
	s_cbranch_execz .LBB48_508
; %bb.499:
	v_cmp_ne_u32_e32 vcc_lo, 1, v78
	s_cbranch_vccnz .LBB48_501
; %bb.500:
	scratch_load_b32 v79, v7, off
	ds_load_b32 v80, v1
	s_wait_loadcnt_dscnt 0x0
	v_mul_f32_e32 v79, v79, v80
	s_cbranch_execz .LBB48_502
	s_branch .LBB48_503
.LBB48_501:
                                        ; implicit-def: $vgpr79
.LBB48_502:
	ds_load_b32 v79, v1
.LBB48_503:
	s_mov_b32 s1, exec_lo
	v_cmpx_ne_u32_e32 3, v0
	s_cbranch_execz .LBB48_507
; %bb.504:
	v_add_nc_u32_e32 v80, 0xd4, v6
	v_add3_u32 v81, 0, v6, 4
	v_mov_b32_e32 v82, v0
	s_mov_b32 s2, 0
.LBB48_505:                             ; =>This Inner Loop Header: Depth=1
	scratch_load_b32 v83, v81, off
	ds_load_b32 v84, v80
	v_dual_add_nc_u32 v82, 1, v82 :: v_dual_add_nc_u32 v80, 4, v80
	s_wait_xcnt 0x0
	v_add_nc_u32_e32 v81, 4, v81
	s_delay_alu instid0(VALU_DEP_2)
	v_cmp_lt_u32_e32 vcc_lo, 2, v82
	s_or_b32 s2, vcc_lo, s2
	s_wait_loadcnt_dscnt 0x0
	v_fmac_f32_e32 v79, v83, v84
	s_and_not1_b32 exec_lo, exec_lo, s2
	s_cbranch_execnz .LBB48_505
; %bb.506:
	s_or_b32 exec_lo, exec_lo, s2
.LBB48_507:
	s_delay_alu instid0(SALU_CYCLE_1)
	s_or_b32 exec_lo, exec_lo, s1
	v_mov_b32_e32 v80, 0
	ds_load_b32 v80, v80 offset:16
	s_wait_dscnt 0x0
	v_mul_f32_e32 v79, v79, v80
	scratch_store_b32 off, v79, off offset:16
.LBB48_508:
	s_wait_xcnt 0x0
	s_or_b32 exec_lo, exec_lo, s0
	scratch_load_b32 v79, off, off offset:20
	s_mov_b32 s0, exec_lo
	s_wait_loadcnt 0x0
	ds_store_b32 v1, v79
	s_wait_storecnt_dscnt 0x0
	s_barrier_signal -1
	s_barrier_wait -1
	s_wait_xcnt 0x0
	v_cmpx_gt_u32_e32 5, v0
	s_cbranch_execz .LBB48_518
; %bb.509:
	v_cmp_ne_u32_e32 vcc_lo, 1, v78
	s_cbranch_vccnz .LBB48_511
; %bb.510:
	scratch_load_b32 v79, v7, off
	ds_load_b32 v80, v1
	s_wait_loadcnt_dscnt 0x0
	v_mul_f32_e32 v79, v79, v80
	s_cbranch_execz .LBB48_512
	s_branch .LBB48_513
.LBB48_511:
                                        ; implicit-def: $vgpr79
.LBB48_512:
	ds_load_b32 v79, v1
.LBB48_513:
	s_mov_b32 s1, exec_lo
	v_cmpx_ne_u32_e32 4, v0
	s_cbranch_execz .LBB48_517
; %bb.514:
	v_add_nc_u32_e32 v80, 0xd4, v6
	v_add3_u32 v81, 0, v6, 4
	v_mov_b32_e32 v82, v0
	s_mov_b32 s2, 0
.LBB48_515:                             ; =>This Inner Loop Header: Depth=1
	scratch_load_b32 v83, v81, off
	ds_load_b32 v84, v80
	v_dual_add_nc_u32 v82, 1, v82 :: v_dual_add_nc_u32 v80, 4, v80
	s_wait_xcnt 0x0
	v_add_nc_u32_e32 v81, 4, v81
	s_delay_alu instid0(VALU_DEP_2)
	v_cmp_lt_u32_e32 vcc_lo, 3, v82
	s_or_b32 s2, vcc_lo, s2
	s_wait_loadcnt_dscnt 0x0
	v_fmac_f32_e32 v79, v83, v84
	s_and_not1_b32 exec_lo, exec_lo, s2
	s_cbranch_execnz .LBB48_515
; %bb.516:
	s_or_b32 exec_lo, exec_lo, s2
.LBB48_517:
	s_delay_alu instid0(SALU_CYCLE_1)
	s_or_b32 exec_lo, exec_lo, s1
	v_mov_b32_e32 v80, 0
	ds_load_b32 v80, v80 offset:20
	s_wait_dscnt 0x0
	v_mul_f32_e32 v79, v79, v80
	scratch_store_b32 off, v79, off offset:20
.LBB48_518:
	;; [unrolled: 59-line block ×43, first 2 shown]
	s_wait_xcnt 0x0
	s_or_b32 exec_lo, exec_lo, s0
	scratch_load_b32 v79, off, off offset:188
	v_cmp_gt_u32_e64 s0, 47, v0
	s_wait_loadcnt 0x0
	ds_store_b32 v1, v79
	s_wait_storecnt_dscnt 0x0
	s_barrier_signal -1
	s_barrier_wait -1
	s_wait_xcnt 0x0
	s_and_saveexec_b32 s1, s0
	s_cbranch_execz .LBB48_938
; %bb.929:
	v_cmp_ne_u32_e32 vcc_lo, 1, v78
	s_cbranch_vccnz .LBB48_931
; %bb.930:
	scratch_load_b32 v79, v7, off
	ds_load_b32 v80, v1
	s_wait_loadcnt_dscnt 0x0
	v_mul_f32_e32 v79, v79, v80
	s_cbranch_execz .LBB48_932
	s_branch .LBB48_933
.LBB48_931:
                                        ; implicit-def: $vgpr79
.LBB48_932:
	ds_load_b32 v79, v1
.LBB48_933:
	s_mov_b32 s2, exec_lo
	v_cmpx_ne_u32_e32 46, v0
	s_cbranch_execz .LBB48_937
; %bb.934:
	v_add_nc_u32_e32 v80, 0xd4, v6
	v_add3_u32 v81, 0, v6, 4
	v_mov_b32_e32 v82, v0
	s_mov_b32 s3, 0
.LBB48_935:                             ; =>This Inner Loop Header: Depth=1
	scratch_load_b32 v83, v81, off
	ds_load_b32 v84, v80
	v_dual_add_nc_u32 v82, 1, v82 :: v_dual_add_nc_u32 v80, 4, v80
	s_wait_xcnt 0x0
	v_add_nc_u32_e32 v81, 4, v81
	s_delay_alu instid0(VALU_DEP_2)
	v_cmp_lt_u32_e32 vcc_lo, 45, v82
	s_or_b32 s3, vcc_lo, s3
	s_wait_loadcnt_dscnt 0x0
	v_fmac_f32_e32 v79, v83, v84
	s_and_not1_b32 exec_lo, exec_lo, s3
	s_cbranch_execnz .LBB48_935
; %bb.936:
	s_or_b32 exec_lo, exec_lo, s3
.LBB48_937:
	s_delay_alu instid0(SALU_CYCLE_1)
	s_or_b32 exec_lo, exec_lo, s2
	v_mov_b32_e32 v80, 0
	ds_load_b32 v80, v80 offset:188
	s_wait_dscnt 0x0
	v_mul_f32_e32 v79, v79, v80
	scratch_store_b32 off, v79, off offset:188
.LBB48_938:
	s_wait_xcnt 0x0
	s_or_b32 exec_lo, exec_lo, s1
	scratch_load_b32 v79, off, off offset:192
	s_mov_b32 s1, exec_lo
	s_wait_loadcnt 0x0
	ds_store_b32 v1, v79
	s_wait_storecnt_dscnt 0x0
	s_barrier_signal -1
	s_barrier_wait -1
	s_wait_xcnt 0x0
	v_cmpx_ne_u32_e32 48, v0
	s_cbranch_execz .LBB48_948
; %bb.939:
	v_cmp_ne_u32_e32 vcc_lo, 1, v78
	s_cbranch_vccnz .LBB48_941
; %bb.940:
	scratch_load_b32 v7, v7, off
	ds_load_b32 v78, v1
	s_wait_loadcnt_dscnt 0x0
	v_mul_f32_e32 v7, v7, v78
	s_cbranch_execz .LBB48_942
	s_branch .LBB48_943
.LBB48_941:
                                        ; implicit-def: $vgpr7
.LBB48_942:
	ds_load_b32 v7, v1
.LBB48_943:
	s_and_saveexec_b32 s2, s0
	s_cbranch_execz .LBB48_947
; %bb.944:
	v_add_nc_u32_e32 v1, 0xd4, v6
	v_add3_u32 v6, 0, v6, 4
	s_mov_b32 s0, 0
.LBB48_945:                             ; =>This Inner Loop Header: Depth=1
	scratch_load_b32 v78, v6, off
	ds_load_b32 v79, v1
	v_dual_add_nc_u32 v0, 1, v0 :: v_dual_add_nc_u32 v1, 4, v1
	s_wait_xcnt 0x0
	v_add_nc_u32_e32 v6, 4, v6
	s_delay_alu instid0(VALU_DEP_2)
	v_cmp_lt_u32_e32 vcc_lo, 46, v0
	s_or_b32 s0, vcc_lo, s0
	s_wait_loadcnt_dscnt 0x0
	v_fmac_f32_e32 v7, v78, v79
	s_and_not1_b32 exec_lo, exec_lo, s0
	s_cbranch_execnz .LBB48_945
; %bb.946:
	s_or_b32 exec_lo, exec_lo, s0
.LBB48_947:
	s_delay_alu instid0(SALU_CYCLE_1)
	s_or_b32 exec_lo, exec_lo, s2
	v_mov_b32_e32 v0, 0
	ds_load_b32 v0, v0 offset:192
	s_wait_dscnt 0x0
	v_mul_f32_e32 v0, v7, v0
	scratch_store_b32 off, v0, off offset:192
.LBB48_948:
	s_wait_xcnt 0x0
	s_or_b32 exec_lo, exec_lo, s1
.LBB48_949:
	s_clause 0x1
	scratch_load_b128 v[78:81], off, off
	scratch_load_b128 v[82:85], off, off offset:16
	s_wait_loadcnt 0x1
	global_store_b32 v[2:3], v78, off
	scratch_load_b128 v[0:3], off, off offset:32
	s_clause 0x1
	global_store_b32 v[4:5], v79, off
	global_store_b32 v[124:125], v80, off
	scratch_load_b128 v[4:7], off, off offset:48
	global_store_b32 v[122:123], v81, off
	s_clause 0x1
	scratch_load_b128 v[78:81], off, off offset:64
	scratch_load_b128 v[86:89], off, off offset:80
	s_wait_loadcnt 0x4
	s_clause 0x2
	global_store_b32 v[120:121], v82, off
	global_store_b32 v[116:117], v83, off
	;; [unrolled: 1-line block ×3, first 2 shown]
	scratch_load_b128 v[90:93], off, off offset:96
	global_store_b32 v[114:115], v85, off
	s_clause 0x1
	scratch_load_b128 v[82:85], off, off offset:112
	scratch_load_b128 v[94:97], off, off offset:128
	s_wait_loadcnt 0x6
	s_clause 0x2
	global_store_b32 v[112:113], v0, off
	global_store_b32 v[108:109], v1, off
	global_store_b32 v[110:111], v2, off
	scratch_load_b128 v[98:101], off, off offset:144
	global_store_b32 v[106:107], v3, off
	scratch_load_b128 v[0:3], off, off offset:160
	s_wait_loadcnt 0x7
	global_store_b32 v[104:105], v4, off
	s_clause 0x1
	scratch_load_b128 v[104:107], off, off offset:176
	scratch_load_b32 v4, off, off offset:192
	s_clause 0x2
	global_store_b32 v[102:103], v5, off
	global_store_b32 v[8:9], v6, off
	global_store_b32 v[10:11], v7, off
	s_wait_loadcnt 0x8
	s_clause 0x3
	global_store_b32 v[12:13], v78, off
	global_store_b32 v[14:15], v79, off
	global_store_b32 v[16:17], v80, off
	global_store_b32 v[18:19], v81, off
	s_wait_loadcnt 0x7
	s_clause 0x3
	global_store_b32 v[20:21], v86, off
	;; [unrolled: 6-line block ×8, first 2 shown]
	global_store_b32 v[70:71], v105, off
	global_store_b32 v[72:73], v106, off
	;; [unrolled: 1-line block ×3, first 2 shown]
	s_wait_loadcnt 0x0
	global_store_b32 v[76:77], v4, off
.LBB48_950:
	s_sendmsg sendmsg(MSG_DEALLOC_VGPRS)
	s_endpgm
	.section	.rodata,"a",@progbits
	.p2align	6, 0x0
	.amdhsa_kernel _ZN9rocsolver6v33100L18trti2_kernel_smallILi49EfPfEEv13rocblas_fill_17rocblas_diagonal_T1_iil
		.amdhsa_group_segment_fixed_size 404
		.amdhsa_private_segment_fixed_size 208
		.amdhsa_kernarg_size 32
		.amdhsa_user_sgpr_count 2
		.amdhsa_user_sgpr_dispatch_ptr 0
		.amdhsa_user_sgpr_queue_ptr 0
		.amdhsa_user_sgpr_kernarg_segment_ptr 1
		.amdhsa_user_sgpr_dispatch_id 0
		.amdhsa_user_sgpr_kernarg_preload_length 0
		.amdhsa_user_sgpr_kernarg_preload_offset 0
		.amdhsa_user_sgpr_private_segment_size 0
		.amdhsa_wavefront_size32 1
		.amdhsa_uses_dynamic_stack 0
		.amdhsa_enable_private_segment 1
		.amdhsa_system_sgpr_workgroup_id_x 1
		.amdhsa_system_sgpr_workgroup_id_y 0
		.amdhsa_system_sgpr_workgroup_id_z 0
		.amdhsa_system_sgpr_workgroup_info 0
		.amdhsa_system_vgpr_workitem_id 0
		.amdhsa_next_free_vgpr 126
		.amdhsa_next_free_sgpr 20
		.amdhsa_named_barrier_count 0
		.amdhsa_reserve_vcc 1
		.amdhsa_float_round_mode_32 0
		.amdhsa_float_round_mode_16_64 0
		.amdhsa_float_denorm_mode_32 3
		.amdhsa_float_denorm_mode_16_64 3
		.amdhsa_fp16_overflow 0
		.amdhsa_memory_ordered 1
		.amdhsa_forward_progress 1
		.amdhsa_inst_pref_size 213
		.amdhsa_round_robin_scheduling 0
		.amdhsa_exception_fp_ieee_invalid_op 0
		.amdhsa_exception_fp_denorm_src 0
		.amdhsa_exception_fp_ieee_div_zero 0
		.amdhsa_exception_fp_ieee_overflow 0
		.amdhsa_exception_fp_ieee_underflow 0
		.amdhsa_exception_fp_ieee_inexact 0
		.amdhsa_exception_int_div_zero 0
	.end_amdhsa_kernel
	.section	.text._ZN9rocsolver6v33100L18trti2_kernel_smallILi49EfPfEEv13rocblas_fill_17rocblas_diagonal_T1_iil,"axG",@progbits,_ZN9rocsolver6v33100L18trti2_kernel_smallILi49EfPfEEv13rocblas_fill_17rocblas_diagonal_T1_iil,comdat
.Lfunc_end48:
	.size	_ZN9rocsolver6v33100L18trti2_kernel_smallILi49EfPfEEv13rocblas_fill_17rocblas_diagonal_T1_iil, .Lfunc_end48-_ZN9rocsolver6v33100L18trti2_kernel_smallILi49EfPfEEv13rocblas_fill_17rocblas_diagonal_T1_iil
                                        ; -- End function
	.set _ZN9rocsolver6v33100L18trti2_kernel_smallILi49EfPfEEv13rocblas_fill_17rocblas_diagonal_T1_iil.num_vgpr, 126
	.set _ZN9rocsolver6v33100L18trti2_kernel_smallILi49EfPfEEv13rocblas_fill_17rocblas_diagonal_T1_iil.num_agpr, 0
	.set _ZN9rocsolver6v33100L18trti2_kernel_smallILi49EfPfEEv13rocblas_fill_17rocblas_diagonal_T1_iil.numbered_sgpr, 20
	.set _ZN9rocsolver6v33100L18trti2_kernel_smallILi49EfPfEEv13rocblas_fill_17rocblas_diagonal_T1_iil.num_named_barrier, 0
	.set _ZN9rocsolver6v33100L18trti2_kernel_smallILi49EfPfEEv13rocblas_fill_17rocblas_diagonal_T1_iil.private_seg_size, 208
	.set _ZN9rocsolver6v33100L18trti2_kernel_smallILi49EfPfEEv13rocblas_fill_17rocblas_diagonal_T1_iil.uses_vcc, 1
	.set _ZN9rocsolver6v33100L18trti2_kernel_smallILi49EfPfEEv13rocblas_fill_17rocblas_diagonal_T1_iil.uses_flat_scratch, 1
	.set _ZN9rocsolver6v33100L18trti2_kernel_smallILi49EfPfEEv13rocblas_fill_17rocblas_diagonal_T1_iil.has_dyn_sized_stack, 0
	.set _ZN9rocsolver6v33100L18trti2_kernel_smallILi49EfPfEEv13rocblas_fill_17rocblas_diagonal_T1_iil.has_recursion, 0
	.set _ZN9rocsolver6v33100L18trti2_kernel_smallILi49EfPfEEv13rocblas_fill_17rocblas_diagonal_T1_iil.has_indirect_call, 0
	.section	.AMDGPU.csdata,"",@progbits
; Kernel info:
; codeLenInByte = 27216
; TotalNumSgprs: 22
; NumVgprs: 126
; ScratchSize: 208
; MemoryBound: 0
; FloatMode: 240
; IeeeMode: 1
; LDSByteSize: 404 bytes/workgroup (compile time only)
; SGPRBlocks: 0
; VGPRBlocks: 7
; NumSGPRsForWavesPerEU: 22
; NumVGPRsForWavesPerEU: 126
; NamedBarCnt: 0
; Occupancy: 8
; WaveLimiterHint : 0
; COMPUTE_PGM_RSRC2:SCRATCH_EN: 1
; COMPUTE_PGM_RSRC2:USER_SGPR: 2
; COMPUTE_PGM_RSRC2:TRAP_HANDLER: 0
; COMPUTE_PGM_RSRC2:TGID_X_EN: 1
; COMPUTE_PGM_RSRC2:TGID_Y_EN: 0
; COMPUTE_PGM_RSRC2:TGID_Z_EN: 0
; COMPUTE_PGM_RSRC2:TIDIG_COMP_CNT: 0
	.section	.text._ZN9rocsolver6v33100L18trti2_kernel_smallILi50EfPfEEv13rocblas_fill_17rocblas_diagonal_T1_iil,"axG",@progbits,_ZN9rocsolver6v33100L18trti2_kernel_smallILi50EfPfEEv13rocblas_fill_17rocblas_diagonal_T1_iil,comdat
	.globl	_ZN9rocsolver6v33100L18trti2_kernel_smallILi50EfPfEEv13rocblas_fill_17rocblas_diagonal_T1_iil ; -- Begin function _ZN9rocsolver6v33100L18trti2_kernel_smallILi50EfPfEEv13rocblas_fill_17rocblas_diagonal_T1_iil
	.p2align	8
	.type	_ZN9rocsolver6v33100L18trti2_kernel_smallILi50EfPfEEv13rocblas_fill_17rocblas_diagonal_T1_iil,@function
_ZN9rocsolver6v33100L18trti2_kernel_smallILi50EfPfEEv13rocblas_fill_17rocblas_diagonal_T1_iil: ; @_ZN9rocsolver6v33100L18trti2_kernel_smallILi50EfPfEEv13rocblas_fill_17rocblas_diagonal_T1_iil
; %bb.0:
	s_mov_b32 s2, exec_lo
	v_cmpx_gt_u32_e32 50, v0
	s_cbranch_execz .LBB49_970
; %bb.1:
	s_load_b256 s[4:11], s[0:1], 0x0
	s_wait_xcnt 0x0
	s_bfe_u32 s0, ttmp6, 0x4000c
	s_and_b32 s1, ttmp6, 15
	s_add_co_i32 s0, s0, 1
	s_getreg_b32 s2, hwreg(HW_REG_IB_STS2, 6, 4)
	s_mul_i32 s0, ttmp9, s0
	v_dual_mov_b32 v7, 0 :: v_dual_lshlrev_b32 v6, 2, v0
	s_add_co_i32 s0, s1, s0
	s_wait_kmcnt 0x0
	v_add3_u32 v8, s9, s9, v0
	s_ashr_i32 s1, s8, 31
	s_cmp_eq_u32 s2, 0
	s_cselect_b32 s2, ttmp9, s0
	s_delay_alu instid0(VALU_DEP_1)
	v_add_nc_u32_e32 v10, s9, v8
	s_ashr_i32 s3, s2, 31
	s_mov_b32 s0, s8
	s_mul_u64 s[2:3], s[10:11], s[2:3]
	s_lshl_b64 s[0:1], s[0:1], 2
	v_add_nc_u32_e32 v12, s9, v10
	s_lshl_b64 s[2:3], s[2:3], 2
	s_delay_alu instid0(SALU_CYCLE_1) | instskip(NEXT) | instid1(SALU_CYCLE_1)
	s_add_nc_u64 s[2:3], s[6:7], s[2:3]
	s_add_nc_u64 s[6:7], s[2:3], s[0:1]
	s_delay_alu instid0(VALU_DEP_1)
	v_add_nc_u32_e32 v14, s9, v12
	v_add_nc_u64_e32 v[2:3], s[6:7], v[6:7]
	s_mov_b32 s0, s9
	s_ashr_i32 s1, s9, 31
	s_cmp_lg_u32 s5, 0x84
	v_add_nc_u32_e32 v16, s9, v14
	s_cselect_b32 s3, -1, 0
	s_cmp_eq_u32 s5, 0x84
	v_lshl_add_u64 v[4:5], s[0:1], 2, v[2:3]
	s_delay_alu instid0(VALU_DEP_2) | instskip(NEXT) | instid1(VALU_DEP_1)
	v_dual_ashrrev_i32 v11, 31, v10 :: v_dual_add_nc_u32 v18, s9, v16
	v_dual_ashrrev_i32 v13, 31, v12 :: v_dual_ashrrev_i32 v19, 31, v18
	v_add_nc_u32_e32 v20, s9, v18
	s_clause 0x7
	global_load_b32 v80, v0, s[6:7] scale_offset
	global_load_b32 v82, v8, s[6:7] scale_offset
	;; [unrolled: 1-line block ×7, first 2 shown]
	global_load_b32 v81, v[4:5], off
	v_dual_ashrrev_i32 v9, 31, v8 :: v_dual_ashrrev_i32 v15, 31, v14
	v_add_nc_u32_e32 v22, s9, v20
	s_delay_alu instid0(VALU_DEP_1) | instskip(NEXT) | instid1(VALU_DEP_1)
	v_add_nc_u32_e32 v24, s9, v22
	v_add_nc_u32_e32 v26, s9, v24
	s_delay_alu instid0(VALU_DEP_1) | instskip(NEXT) | instid1(VALU_DEP_1)
	v_dual_add_nc_u32 v28, s9, v26 :: v_dual_ashrrev_i32 v17, 31, v16
	v_dual_ashrrev_i32 v23, 31, v22 :: v_dual_add_nc_u32 v30, s9, v28
	s_delay_alu instid0(VALU_DEP_1)
	v_dual_ashrrev_i32 v25, 31, v24 :: v_dual_ashrrev_i32 v31, 31, v30
	v_add_nc_u32_e32 v32, s9, v30
	s_clause 0x3
	global_load_b32 v88, v20, s[6:7] scale_offset
	global_load_b32 v89, v22, s[6:7] scale_offset
	;; [unrolled: 1-line block ×4, first 2 shown]
	v_dual_ashrrev_i32 v21, 31, v20 :: v_dual_ashrrev_i32 v27, 31, v26
	v_add_nc_u32_e32 v34, s9, v32
	s_delay_alu instid0(VALU_DEP_1) | instskip(NEXT) | instid1(VALU_DEP_1)
	v_add_nc_u32_e32 v36, s9, v34
	v_add_nc_u32_e32 v38, s9, v36
	s_delay_alu instid0(VALU_DEP_1)
	v_add_nc_u32_e32 v40, s9, v38
	s_clause 0x3
	global_load_b32 v92, v28, s[6:7] scale_offset
	global_load_b32 v93, v30, s[6:7] scale_offset
	;; [unrolled: 1-line block ×4, first 2 shown]
	v_dual_ashrrev_i32 v29, 31, v28 :: v_dual_ashrrev_i32 v35, 31, v34
	v_add_nc_u32_e32 v42, s9, v40
	s_delay_alu instid0(VALU_DEP_1)
	v_dual_ashrrev_i32 v37, 31, v36 :: v_dual_ashrrev_i32 v43, 31, v42
	v_add_nc_u32_e32 v44, s9, v42
	s_clause 0x3
	global_load_b32 v96, v36, s[6:7] scale_offset
	global_load_b32 v97, v38, s[6:7] scale_offset
	;; [unrolled: 1-line block ×4, first 2 shown]
	v_dual_ashrrev_i32 v33, 31, v32 :: v_dual_ashrrev_i32 v39, 31, v38
	v_add_nc_u32_e32 v46, s9, v44
	s_delay_alu instid0(VALU_DEP_1) | instskip(NEXT) | instid1(VALU_DEP_1)
	v_add_nc_u32_e32 v48, s9, v46
	v_add_nc_u32_e32 v50, s9, v48
	s_delay_alu instid0(VALU_DEP_1) | instskip(NEXT) | instid1(VALU_DEP_1)
	v_dual_add_nc_u32 v52, s9, v50 :: v_dual_ashrrev_i32 v41, 31, v40
	v_dual_ashrrev_i32 v47, 31, v46 :: v_dual_add_nc_u32 v54, s9, v52
	s_delay_alu instid0(VALU_DEP_1)
	v_dual_ashrrev_i32 v49, 31, v48 :: v_dual_ashrrev_i32 v55, 31, v54
	v_add_nc_u32_e32 v56, s9, v54
	s_clause 0x3
	global_load_b32 v100, v44, s[6:7] scale_offset
	global_load_b32 v101, v46, s[6:7] scale_offset
	;; [unrolled: 1-line block ×4, first 2 shown]
	v_dual_ashrrev_i32 v45, 31, v44 :: v_dual_ashrrev_i32 v51, 31, v50
	v_add_nc_u32_e32 v58, s9, v56
	s_delay_alu instid0(VALU_DEP_1) | instskip(NEXT) | instid1(VALU_DEP_1)
	v_add_nc_u32_e32 v60, s9, v58
	v_add_nc_u32_e32 v62, s9, v60
	s_delay_alu instid0(VALU_DEP_1)
	v_add_nc_u32_e32 v64, s9, v62
	s_clause 0x3
	global_load_b32 v104, v52, s[6:7] scale_offset
	global_load_b32 v105, v54, s[6:7] scale_offset
	;; [unrolled: 1-line block ×4, first 2 shown]
	v_dual_ashrrev_i32 v53, 31, v52 :: v_dual_ashrrev_i32 v59, 31, v58
	v_add_nc_u32_e32 v66, s9, v64
	s_delay_alu instid0(VALU_DEP_1) | instskip(SKIP_1) | instid1(VALU_DEP_1)
	v_dual_ashrrev_i32 v61, 31, v60 :: v_dual_ashrrev_i32 v67, 31, v66
	v_dual_add_nc_u32 v68, s9, v66 :: v_dual_ashrrev_i32 v57, 31, v56
	v_dual_ashrrev_i32 v63, 31, v62 :: v_dual_add_nc_u32 v70, s9, v68
	s_delay_alu instid0(VALU_DEP_1) | instskip(NEXT) | instid1(VALU_DEP_1)
	v_add_nc_u32_e32 v72, s9, v70
	v_add_nc_u32_e32 v74, s9, v72
	s_delay_alu instid0(VALU_DEP_1) | instskip(NEXT) | instid1(VALU_DEP_1)
	v_dual_add_nc_u32 v76, s9, v74 :: v_dual_ashrrev_i32 v65, 31, v64
	v_dual_ashrrev_i32 v71, 31, v70 :: v_dual_add_nc_u32 v78, s9, v76
	s_delay_alu instid0(VALU_DEP_1)
	v_dual_ashrrev_i32 v73, 31, v72 :: v_dual_ashrrev_i32 v79, 31, v78
	s_wait_loadcnt 0x14
	scratch_store_b128 off, v[80:83], off
	s_wait_xcnt 0x0
	v_add_nc_u32_e32 v80, s9, v78
	s_clause 0x3
	global_load_b32 v108, v60, s[6:7] scale_offset
	global_load_b32 v109, v62, s[6:7] scale_offset
	;; [unrolled: 1-line block ×4, first 2 shown]
	scratch_store_b128 off, v[84:87], off offset:16
	v_dual_ashrrev_i32 v69, 31, v68 :: v_dual_ashrrev_i32 v75, 31, v74
	v_add_nc_u32_e32 v82, s9, v80
	s_wait_xcnt 0x0
	s_delay_alu instid0(VALU_DEP_1) | instskip(NEXT) | instid1(VALU_DEP_1)
	v_add_nc_u32_e32 v84, s9, v82
	v_add_nc_u32_e32 v86, s9, v84
	s_wait_loadcnt 0x14
	scratch_store_b128 off, v[88:91], off offset:32
	s_clause 0x3
	global_load_b32 v112, v68, s[6:7] scale_offset
	global_load_b32 v113, v70, s[6:7] scale_offset
	;; [unrolled: 1-line block ×4, first 2 shown]
	s_wait_xcnt 0x4
	v_dual_add_nc_u32 v88, s9, v86 :: v_dual_ashrrev_i32 v77, 31, v76
	s_delay_alu instid0(VALU_DEP_1) | instskip(NEXT) | instid1(VALU_DEP_1)
	v_dual_ashrrev_i32 v83, 31, v82 :: v_dual_add_nc_u32 v90, s9, v88
	v_dual_ashrrev_i32 v85, 31, v84 :: v_dual_ashrrev_i32 v91, 31, v90
	s_wait_loadcnt 0x14
	scratch_store_b128 off, v[92:95], off offset:48
	s_clause 0x3
	global_load_b32 v116, v76, s[6:7] scale_offset
	global_load_b32 v117, v78, s[6:7] scale_offset
	global_load_b32 v118, v80, s[6:7] scale_offset
	global_load_b32 v119, v82, s[6:7] scale_offset
	s_wait_xcnt 0x4
	v_dual_add_nc_u32 v92, s9, v90 :: v_dual_ashrrev_i32 v81, 31, v80
	s_delay_alu instid0(VALU_DEP_1) | instskip(SKIP_4) | instid1(VALU_DEP_1)
	v_dual_ashrrev_i32 v87, 31, v86 :: v_dual_add_nc_u32 v94, s9, v92
	s_wait_loadcnt 0x14
	scratch_store_b128 off, v[96:99], off offset:64
	s_wait_xcnt 0x0
	v_add_nc_u32_e32 v96, s9, v94
	v_add_nc_u32_e32 v98, s9, v96
	s_delay_alu instid0(VALU_DEP_1)
	v_dual_ashrrev_i32 v93, 31, v92 :: v_dual_ashrrev_i32 v99, 31, v98
	s_wait_loadcnt 0x10
	scratch_store_b128 off, v[100:103], off offset:80
	s_wait_loadcnt 0xc
	scratch_store_b128 off, v[104:107], off offset:96
	;; [unrolled: 2-line block ×4, first 2 shown]
	s_clause 0x3
	global_load_b32 v100, v84, s[6:7] scale_offset
	global_load_b32 v101, v86, s[6:7] scale_offset
	;; [unrolled: 1-line block ×4, first 2 shown]
	s_wait_loadcnt 0x4
	scratch_store_b128 off, v[116:119], off offset:144
	s_clause 0x3
	global_load_b32 v104, v92, s[6:7] scale_offset
	global_load_b32 v105, v94, s[6:7] scale_offset
	;; [unrolled: 1-line block ×4, first 2 shown]
	s_wait_loadcnt 0x4
	scratch_store_b128 off, v[100:103], off offset:160
	s_wait_xcnt 0x0
	v_dual_add_nc_u32 v100, s9, v98 :: v_dual_ashrrev_i32 v89, 31, v88
	s_delay_alu instid0(VALU_DEP_1) | instskip(SKIP_1) | instid1(VALU_DEP_2)
	v_dual_ashrrev_i32 v95, 31, v94 :: v_dual_add_nc_u32 v102, s9, v100
	v_ashrrev_i32_e32 v97, 31, v96
	v_dual_ashrrev_i32 v101, 31, v100 :: v_dual_ashrrev_i32 v103, 31, v102
	s_wait_loadcnt 0x0
	scratch_store_b128 off, v[104:107], off offset:176
	s_clause 0x1
	global_load_b32 v106, v100, s[6:7] scale_offset
	global_load_b32 v107, v102, s[6:7] scale_offset
	v_mov_b32_e32 v104, -1.0
	s_wait_loadcnt 0x0
	scratch_store_b64 off, v[106:107], off offset:192
	s_cbranch_scc1 .LBB49_3
; %bb.2:
	scratch_load_b32 v1, v0, off scale_offset
	s_wait_loadcnt 0x0
	v_div_scale_f32 v7, null, v1, v1, 1.0
	s_delay_alu instid0(VALU_DEP_1) | instskip(SKIP_1) | instid1(TRANS32_DEP_1)
	v_rcp_f32_e32 v104, v7
	v_nop
	v_fma_f32 v105, -v7, v104, 1.0
	s_delay_alu instid0(VALU_DEP_1) | instskip(SKIP_2) | instid1(VALU_DEP_1)
	v_fmac_f32_e32 v104, v105, v104
	v_div_scale_f32 v105, vcc_lo, 1.0, v1, 1.0
	s_wait_xcnt 0x1
	v_mul_f32_e32 v106, v105, v104
	s_delay_alu instid0(VALU_DEP_1) | instskip(NEXT) | instid1(VALU_DEP_1)
	v_fma_f32 v107, -v7, v106, v105
	v_fmac_f32_e32 v106, v107, v104
	s_delay_alu instid0(VALU_DEP_1) | instskip(NEXT) | instid1(VALU_DEP_1)
	v_fma_f32 v7, -v7, v106, v105
	v_div_fmas_f32 v7, v7, v104, v106
	s_delay_alu instid0(VALU_DEP_1) | instskip(NEXT) | instid1(VALU_DEP_1)
	v_div_fixup_f32 v1, v7, v1, 1.0
	v_xor_b32_e32 v104, 0x80000000, v1
	scratch_store_b32 v0, v1, off scale_offset
.LBB49_3:
	s_wait_xcnt 0x0
	v_add_nc_u32_e32 v1, 0xd0, v6
	v_mov_b32_e32 v7, v6
	s_cmp_eq_u32 s4, 0x79
	s_mov_b32 s1, -1
	ds_store_b32 v6, v104
	s_cbranch_scc1 .LBB49_487
; %bb.4:
	scratch_load_b32 v104, off, off offset:192
	v_cmp_eq_u32_e64 s0, 49, v0
	s_movk_i32 s1, 0x50
	s_movk_i32 s10, 0x60
	;; [unrolled: 1-line block ×7, first 2 shown]
	s_wait_loadcnt 0x0
	ds_store_b32 v1, v104
	s_wait_storecnt_dscnt 0x0
	s_barrier_signal -1
	s_barrier_wait -1
	s_wait_xcnt 0x0
	s_and_saveexec_b32 s2, s0
	s_cbranch_execz .LBB49_10
; %bb.5:
	s_and_b32 vcc_lo, exec_lo, s3
	s_cbranch_vccz .LBB49_7
; %bb.6:
	scratch_load_b32 v104, v7, off
	ds_load_b32 v105, v1
	s_wait_loadcnt_dscnt 0x0
	v_mul_f32_e32 v104, v104, v105
	s_cbranch_execz .LBB49_8
	s_branch .LBB49_9
.LBB49_7:
                                        ; implicit-def: $vgpr104
.LBB49_8:
	ds_load_b32 v104, v1
.LBB49_9:
	v_mov_b32_e32 v105, 0
	ds_load_b32 v105, v105 offset:192
	s_wait_dscnt 0x0
	v_mul_f32_e32 v104, v104, v105
	scratch_store_b32 off, v104, off offset:192
.LBB49_10:
	s_wait_xcnt 0x0
	s_or_b32 exec_lo, exec_lo, s2
	scratch_load_b32 v104, off, off offset:188
	s_mov_b32 s9, s1
	v_cmp_lt_u32_e64 s1, 47, v0
	s_mov_b32 s4, 16
	s_mov_b32 s2, 32
	;; [unrolled: 1-line block ×4, first 2 shown]
	s_wait_loadcnt 0x0
	ds_store_b32 v1, v104
	s_wait_storecnt_dscnt 0x0
	s_barrier_signal -1
	s_barrier_wait -1
	s_wait_xcnt 0x0
	s_and_saveexec_b32 s16, s1
	s_cbranch_execz .LBB49_16
; %bb.11:
	s_and_not1_b32 vcc_lo, exec_lo, s3
	s_cbranch_vccnz .LBB49_13
; %bb.12:
	scratch_load_b32 v104, v7, off
	ds_load_b32 v105, v1
	s_wait_loadcnt_dscnt 0x0
	v_mul_f32_e32 v104, v104, v105
	s_cbranch_execz .LBB49_14
	s_branch .LBB49_15
.LBB49_13:
                                        ; implicit-def: $vgpr104
.LBB49_14:
	ds_load_b32 v104, v1
.LBB49_15:
	scratch_load_b32 v105, off, off offset:192
	v_mov_b32_e32 v106, 0
	ds_load_2addr_b32 v[106:107], v106 offset0:47 offset1:100
	s_wait_loadcnt_dscnt 0x0
	v_fma_f32 v105, v105, v107, v104
	s_delay_alu instid0(VALU_DEP_1) | instskip(NEXT) | instid1(VALU_DEP_1)
	v_cndmask_b32_e64 v104, v104, v105, s0
	v_mul_f32_e32 v104, v104, v106
	scratch_store_b32 off, v104, off offset:188
.LBB49_16:
	s_wait_xcnt 0x0
	s_or_b32 exec_lo, exec_lo, s16
	scratch_load_b32 v104, off, off offset:184
	v_cmp_lt_u32_e64 s0, 46, v0
	s_wait_loadcnt 0x0
	ds_store_b32 v1, v104
	s_wait_storecnt_dscnt 0x0
	s_barrier_signal -1
	s_barrier_wait -1
	s_wait_xcnt 0x0
	s_and_saveexec_b32 s16, s0
	s_cbranch_execz .LBB49_26
; %bb.17:
	s_and_not1_b32 vcc_lo, exec_lo, s3
	s_cbranch_vccnz .LBB49_19
; %bb.18:
	scratch_load_b32 v104, v7, off
	ds_load_b32 v105, v1
	s_wait_loadcnt_dscnt 0x0
	v_mul_f32_e32 v104, v104, v105
	s_cbranch_execz .LBB49_20
	s_branch .LBB49_21
.LBB49_19:
                                        ; implicit-def: $vgpr104
.LBB49_20:
	ds_load_b32 v104, v1
.LBB49_21:
	s_and_saveexec_b32 s17, s1
	s_cbranch_execz .LBB49_25
; %bb.22:
	v_subrev_nc_u32_e32 v105, 47, v0
	s_movk_i32 s1, 0xbc
	s_movk_i32 s19, 0x18c
	s_mov_b32 s18, 0
.LBB49_23:                              ; =>This Inner Loop Header: Depth=1
	scratch_load_b32 v106, off, s1
	v_dual_mov_b32 v107, s19 :: v_dual_add_nc_u32 v105, -1, v105
	s_add_co_i32 s19, s19, 4
	s_wait_xcnt 0x0
	s_add_co_i32 s1, s1, 4
	ds_load_b32 v107, v107
	v_cmp_eq_u32_e32 vcc_lo, 0, v105
	s_or_b32 s18, vcc_lo, s18
	s_wait_loadcnt_dscnt 0x0
	v_fmac_f32_e32 v104, v106, v107
	s_and_not1_b32 exec_lo, exec_lo, s18
	s_cbranch_execnz .LBB49_23
; %bb.24:
	s_or_b32 exec_lo, exec_lo, s18
.LBB49_25:
	s_delay_alu instid0(SALU_CYCLE_1)
	s_or_b32 exec_lo, exec_lo, s17
	v_mov_b32_e32 v105, 0
	ds_load_b32 v105, v105 offset:184
	s_wait_dscnt 0x0
	v_mul_f32_e32 v104, v104, v105
	scratch_store_b32 off, v104, off offset:184
.LBB49_26:
	s_wait_xcnt 0x0
	s_or_b32 exec_lo, exec_lo, s16
	scratch_load_b32 v104, off, off offset:180
	v_cmp_lt_u32_e64 s1, 45, v0
	s_wait_loadcnt 0x0
	ds_store_b32 v1, v104
	s_wait_storecnt_dscnt 0x0
	s_barrier_signal -1
	s_barrier_wait -1
	s_wait_xcnt 0x0
	s_and_saveexec_b32 s16, s1
	s_cbranch_execz .LBB49_36
; %bb.27:
	s_and_not1_b32 vcc_lo, exec_lo, s3
	s_cbranch_vccnz .LBB49_29
; %bb.28:
	scratch_load_b32 v104, v7, off
	ds_load_b32 v105, v1
	s_wait_loadcnt_dscnt 0x0
	v_mul_f32_e32 v104, v104, v105
	s_cbranch_execz .LBB49_30
	s_branch .LBB49_31
.LBB49_29:
                                        ; implicit-def: $vgpr104
.LBB49_30:
	ds_load_b32 v104, v1
.LBB49_31:
	s_and_saveexec_b32 s17, s0
	s_cbranch_execz .LBB49_35
; %bb.32:
	v_subrev_nc_u32_e32 v105, 46, v0
	s_movk_i32 s0, 0xb8
	s_movk_i32 s19, 0x188
	s_mov_b32 s18, 0
.LBB49_33:                              ; =>This Inner Loop Header: Depth=1
	scratch_load_b32 v106, off, s0
	v_dual_mov_b32 v107, s19 :: v_dual_add_nc_u32 v105, -1, v105
	s_add_co_i32 s19, s19, 4
	s_wait_xcnt 0x0
	s_add_co_i32 s0, s0, 4
	ds_load_b32 v107, v107
	v_cmp_eq_u32_e32 vcc_lo, 0, v105
	s_or_b32 s18, vcc_lo, s18
	s_wait_loadcnt_dscnt 0x0
	v_fmac_f32_e32 v104, v106, v107
	s_and_not1_b32 exec_lo, exec_lo, s18
	s_cbranch_execnz .LBB49_33
; %bb.34:
	s_or_b32 exec_lo, exec_lo, s18
.LBB49_35:
	s_delay_alu instid0(SALU_CYCLE_1)
	s_or_b32 exec_lo, exec_lo, s17
	v_mov_b32_e32 v105, 0
	ds_load_b32 v105, v105 offset:180
	s_wait_dscnt 0x0
	v_mul_f32_e32 v104, v104, v105
	scratch_store_b32 off, v104, off offset:180
.LBB49_36:
	;; [unrolled: 58-line block ×3, first 2 shown]
	s_wait_xcnt 0x0
	s_or_b32 exec_lo, exec_lo, s16
	scratch_load_b32 v104, off, off offset:172
	v_cmp_lt_u32_e64 s1, 43, v0
	s_wait_loadcnt 0x0
	ds_store_b32 v1, v104
	s_wait_storecnt_dscnt 0x0
	s_barrier_signal -1
	s_barrier_wait -1
	s_wait_xcnt 0x0
	s_and_saveexec_b32 s16, s1
	s_cbranch_execz .LBB49_56
; %bb.47:
	s_and_not1_b32 vcc_lo, exec_lo, s3
	s_cbranch_vccnz .LBB49_49
; %bb.48:
	scratch_load_b32 v104, v7, off
	ds_load_b32 v105, v1
	s_wait_loadcnt_dscnt 0x0
	v_mul_f32_e32 v104, v104, v105
	s_cbranch_execz .LBB49_50
	s_branch .LBB49_51
.LBB49_49:
                                        ; implicit-def: $vgpr104
.LBB49_50:
	ds_load_b32 v104, v1
.LBB49_51:
	s_and_saveexec_b32 s17, s0
	s_cbranch_execz .LBB49_55
; %bb.52:
	v_subrev_nc_u32_e32 v105, 44, v0
	s_movk_i32 s18, 0x180
	s_mov_b32 s0, 0
.LBB49_53:                              ; =>This Inner Loop Header: Depth=1
	scratch_load_b32 v106, off, s15
	v_dual_mov_b32 v107, s18 :: v_dual_add_nc_u32 v105, -1, v105
	s_add_co_i32 s18, s18, 4
	s_wait_xcnt 0x0
	s_add_co_i32 s15, s15, 4
	ds_load_b32 v107, v107
	v_cmp_eq_u32_e32 vcc_lo, 0, v105
	s_or_b32 s0, vcc_lo, s0
	s_wait_loadcnt_dscnt 0x0
	v_fmac_f32_e32 v104, v106, v107
	s_and_not1_b32 exec_lo, exec_lo, s0
	s_cbranch_execnz .LBB49_53
; %bb.54:
	s_or_b32 exec_lo, exec_lo, s0
.LBB49_55:
	s_delay_alu instid0(SALU_CYCLE_1)
	s_or_b32 exec_lo, exec_lo, s17
	v_mov_b32_e32 v105, 0
	ds_load_b32 v105, v105 offset:172
	s_wait_dscnt 0x0
	v_mul_f32_e32 v104, v104, v105
	scratch_store_b32 off, v104, off offset:172
.LBB49_56:
	s_wait_xcnt 0x0
	s_or_b32 exec_lo, exec_lo, s16
	scratch_load_b32 v104, off, off offset:168
	v_cmp_lt_u32_e64 s0, 42, v0
	s_wait_loadcnt 0x0
	ds_store_b32 v1, v104
	s_wait_storecnt_dscnt 0x0
	s_barrier_signal -1
	s_barrier_wait -1
	s_wait_xcnt 0x0
	s_and_saveexec_b32 s15, s0
	s_cbranch_execz .LBB49_66
; %bb.57:
	s_and_not1_b32 vcc_lo, exec_lo, s3
	s_cbranch_vccnz .LBB49_59
; %bb.58:
	scratch_load_b32 v104, v7, off
	ds_load_b32 v105, v1
	s_wait_loadcnt_dscnt 0x0
	v_mul_f32_e32 v104, v104, v105
	s_cbranch_execz .LBB49_60
	s_branch .LBB49_61
.LBB49_59:
                                        ; implicit-def: $vgpr104
.LBB49_60:
	ds_load_b32 v104, v1
.LBB49_61:
	s_and_saveexec_b32 s16, s1
	s_cbranch_execz .LBB49_65
; %bb.62:
	v_subrev_nc_u32_e32 v105, 43, v0
	s_movk_i32 s1, 0xac
	s_movk_i32 s18, 0x17c
	s_mov_b32 s17, 0
.LBB49_63:                              ; =>This Inner Loop Header: Depth=1
	scratch_load_b32 v106, off, s1
	v_dual_mov_b32 v107, s18 :: v_dual_add_nc_u32 v105, -1, v105
	s_add_co_i32 s18, s18, 4
	s_wait_xcnt 0x0
	s_add_co_i32 s1, s1, 4
	ds_load_b32 v107, v107
	v_cmp_eq_u32_e32 vcc_lo, 0, v105
	s_or_b32 s17, vcc_lo, s17
	s_wait_loadcnt_dscnt 0x0
	v_fmac_f32_e32 v104, v106, v107
	s_and_not1_b32 exec_lo, exec_lo, s17
	s_cbranch_execnz .LBB49_63
; %bb.64:
	s_or_b32 exec_lo, exec_lo, s17
.LBB49_65:
	s_delay_alu instid0(SALU_CYCLE_1)
	s_or_b32 exec_lo, exec_lo, s16
	v_mov_b32_e32 v105, 0
	ds_load_b32 v105, v105 offset:168
	s_wait_dscnt 0x0
	v_mul_f32_e32 v104, v104, v105
	scratch_store_b32 off, v104, off offset:168
.LBB49_66:
	s_wait_xcnt 0x0
	s_or_b32 exec_lo, exec_lo, s15
	scratch_load_b32 v104, off, off offset:164
	v_cmp_lt_u32_e64 s1, 41, v0
	s_wait_loadcnt 0x0
	ds_store_b32 v1, v104
	s_wait_storecnt_dscnt 0x0
	s_barrier_signal -1
	s_barrier_wait -1
	s_wait_xcnt 0x0
	s_and_saveexec_b32 s15, s1
	s_cbranch_execz .LBB49_76
; %bb.67:
	s_and_not1_b32 vcc_lo, exec_lo, s3
	s_cbranch_vccnz .LBB49_69
; %bb.68:
	scratch_load_b32 v104, v7, off
	ds_load_b32 v105, v1
	s_wait_loadcnt_dscnt 0x0
	v_mul_f32_e32 v104, v104, v105
	s_cbranch_execz .LBB49_70
	s_branch .LBB49_71
.LBB49_69:
                                        ; implicit-def: $vgpr104
.LBB49_70:
	ds_load_b32 v104, v1
.LBB49_71:
	s_and_saveexec_b32 s16, s0
	s_cbranch_execz .LBB49_75
; %bb.72:
	v_subrev_nc_u32_e32 v105, 42, v0
	s_movk_i32 s0, 0xa8
	s_movk_i32 s18, 0x178
	s_mov_b32 s17, 0
.LBB49_73:                              ; =>This Inner Loop Header: Depth=1
	scratch_load_b32 v106, off, s0
	v_dual_mov_b32 v107, s18 :: v_dual_add_nc_u32 v105, -1, v105
	s_add_co_i32 s18, s18, 4
	s_wait_xcnt 0x0
	s_add_co_i32 s0, s0, 4
	ds_load_b32 v107, v107
	v_cmp_eq_u32_e32 vcc_lo, 0, v105
	s_or_b32 s17, vcc_lo, s17
	s_wait_loadcnt_dscnt 0x0
	v_fmac_f32_e32 v104, v106, v107
	s_and_not1_b32 exec_lo, exec_lo, s17
	s_cbranch_execnz .LBB49_73
; %bb.74:
	s_or_b32 exec_lo, exec_lo, s17
.LBB49_75:
	s_delay_alu instid0(SALU_CYCLE_1)
	s_or_b32 exec_lo, exec_lo, s16
	v_mov_b32_e32 v105, 0
	ds_load_b32 v105, v105 offset:164
	s_wait_dscnt 0x0
	v_mul_f32_e32 v104, v104, v105
	scratch_store_b32 off, v104, off offset:164
.LBB49_76:
	;; [unrolled: 58-line block ×3, first 2 shown]
	s_wait_xcnt 0x0
	s_or_b32 exec_lo, exec_lo, s15
	scratch_load_b32 v104, off, off offset:156
	v_cmp_lt_u32_e64 s1, 39, v0
	s_wait_loadcnt 0x0
	ds_store_b32 v1, v104
	s_wait_storecnt_dscnt 0x0
	s_barrier_signal -1
	s_barrier_wait -1
	s_wait_xcnt 0x0
	s_and_saveexec_b32 s15, s1
	s_cbranch_execz .LBB49_96
; %bb.87:
	s_and_not1_b32 vcc_lo, exec_lo, s3
	s_cbranch_vccnz .LBB49_89
; %bb.88:
	scratch_load_b32 v104, v7, off
	ds_load_b32 v105, v1
	s_wait_loadcnt_dscnt 0x0
	v_mul_f32_e32 v104, v104, v105
	s_cbranch_execz .LBB49_90
	s_branch .LBB49_91
.LBB49_89:
                                        ; implicit-def: $vgpr104
.LBB49_90:
	ds_load_b32 v104, v1
.LBB49_91:
	s_and_saveexec_b32 s16, s0
	s_cbranch_execz .LBB49_95
; %bb.92:
	v_subrev_nc_u32_e32 v105, 40, v0
	s_movk_i32 s17, 0x170
	s_mov_b32 s0, 0
.LBB49_93:                              ; =>This Inner Loop Header: Depth=1
	scratch_load_b32 v106, off, s14
	v_dual_mov_b32 v107, s17 :: v_dual_add_nc_u32 v105, -1, v105
	s_add_co_i32 s17, s17, 4
	s_wait_xcnt 0x0
	s_add_co_i32 s14, s14, 4
	ds_load_b32 v107, v107
	v_cmp_eq_u32_e32 vcc_lo, 0, v105
	s_or_b32 s0, vcc_lo, s0
	s_wait_loadcnt_dscnt 0x0
	v_fmac_f32_e32 v104, v106, v107
	s_and_not1_b32 exec_lo, exec_lo, s0
	s_cbranch_execnz .LBB49_93
; %bb.94:
	s_or_b32 exec_lo, exec_lo, s0
.LBB49_95:
	s_delay_alu instid0(SALU_CYCLE_1)
	s_or_b32 exec_lo, exec_lo, s16
	v_mov_b32_e32 v105, 0
	ds_load_b32 v105, v105 offset:156
	s_wait_dscnt 0x0
	v_mul_f32_e32 v104, v104, v105
	scratch_store_b32 off, v104, off offset:156
.LBB49_96:
	s_wait_xcnt 0x0
	s_or_b32 exec_lo, exec_lo, s15
	scratch_load_b32 v104, off, off offset:152
	v_cmp_lt_u32_e64 s0, 38, v0
	s_wait_loadcnt 0x0
	ds_store_b32 v1, v104
	s_wait_storecnt_dscnt 0x0
	s_barrier_signal -1
	s_barrier_wait -1
	s_wait_xcnt 0x0
	s_and_saveexec_b32 s14, s0
	s_cbranch_execz .LBB49_106
; %bb.97:
	s_and_not1_b32 vcc_lo, exec_lo, s3
	s_cbranch_vccnz .LBB49_99
; %bb.98:
	scratch_load_b32 v104, v7, off
	ds_load_b32 v105, v1
	s_wait_loadcnt_dscnt 0x0
	v_mul_f32_e32 v104, v104, v105
	s_cbranch_execz .LBB49_100
	s_branch .LBB49_101
.LBB49_99:
                                        ; implicit-def: $vgpr104
.LBB49_100:
	ds_load_b32 v104, v1
.LBB49_101:
	s_and_saveexec_b32 s15, s1
	s_cbranch_execz .LBB49_105
; %bb.102:
	v_subrev_nc_u32_e32 v105, 39, v0
	s_movk_i32 s1, 0x9c
	s_movk_i32 s17, 0x16c
	s_mov_b32 s16, 0
.LBB49_103:                             ; =>This Inner Loop Header: Depth=1
	scratch_load_b32 v106, off, s1
	v_dual_mov_b32 v107, s17 :: v_dual_add_nc_u32 v105, -1, v105
	s_add_co_i32 s17, s17, 4
	s_wait_xcnt 0x0
	s_add_co_i32 s1, s1, 4
	ds_load_b32 v107, v107
	v_cmp_eq_u32_e32 vcc_lo, 0, v105
	s_or_b32 s16, vcc_lo, s16
	s_wait_loadcnt_dscnt 0x0
	v_fmac_f32_e32 v104, v106, v107
	s_and_not1_b32 exec_lo, exec_lo, s16
	s_cbranch_execnz .LBB49_103
; %bb.104:
	s_or_b32 exec_lo, exec_lo, s16
.LBB49_105:
	s_delay_alu instid0(SALU_CYCLE_1)
	s_or_b32 exec_lo, exec_lo, s15
	v_mov_b32_e32 v105, 0
	ds_load_b32 v105, v105 offset:152
	s_wait_dscnt 0x0
	v_mul_f32_e32 v104, v104, v105
	scratch_store_b32 off, v104, off offset:152
.LBB49_106:
	s_wait_xcnt 0x0
	s_or_b32 exec_lo, exec_lo, s14
	scratch_load_b32 v104, off, off offset:148
	v_cmp_lt_u32_e64 s1, 37, v0
	s_wait_loadcnt 0x0
	ds_store_b32 v1, v104
	s_wait_storecnt_dscnt 0x0
	s_barrier_signal -1
	s_barrier_wait -1
	s_wait_xcnt 0x0
	s_and_saveexec_b32 s14, s1
	s_cbranch_execz .LBB49_116
; %bb.107:
	s_and_not1_b32 vcc_lo, exec_lo, s3
	s_cbranch_vccnz .LBB49_109
; %bb.108:
	scratch_load_b32 v104, v7, off
	ds_load_b32 v105, v1
	s_wait_loadcnt_dscnt 0x0
	v_mul_f32_e32 v104, v104, v105
	s_cbranch_execz .LBB49_110
	s_branch .LBB49_111
.LBB49_109:
                                        ; implicit-def: $vgpr104
.LBB49_110:
	ds_load_b32 v104, v1
.LBB49_111:
	s_and_saveexec_b32 s15, s0
	s_cbranch_execz .LBB49_115
; %bb.112:
	v_subrev_nc_u32_e32 v105, 38, v0
	s_movk_i32 s0, 0x98
	s_movk_i32 s17, 0x168
	s_mov_b32 s16, 0
.LBB49_113:                             ; =>This Inner Loop Header: Depth=1
	scratch_load_b32 v106, off, s0
	v_dual_mov_b32 v107, s17 :: v_dual_add_nc_u32 v105, -1, v105
	s_add_co_i32 s17, s17, 4
	s_wait_xcnt 0x0
	s_add_co_i32 s0, s0, 4
	ds_load_b32 v107, v107
	v_cmp_eq_u32_e32 vcc_lo, 0, v105
	s_or_b32 s16, vcc_lo, s16
	s_wait_loadcnt_dscnt 0x0
	v_fmac_f32_e32 v104, v106, v107
	s_and_not1_b32 exec_lo, exec_lo, s16
	s_cbranch_execnz .LBB49_113
; %bb.114:
	s_or_b32 exec_lo, exec_lo, s16
.LBB49_115:
	s_delay_alu instid0(SALU_CYCLE_1)
	s_or_b32 exec_lo, exec_lo, s15
	v_mov_b32_e32 v105, 0
	ds_load_b32 v105, v105 offset:148
	s_wait_dscnt 0x0
	v_mul_f32_e32 v104, v104, v105
	scratch_store_b32 off, v104, off offset:148
.LBB49_116:
	s_wait_xcnt 0x0
	s_or_b32 exec_lo, exec_lo, s14
	scratch_load_b32 v104, off, off offset:144
	v_cmp_lt_u32_e64 s0, 36, v0
	s_wait_loadcnt 0x0
	ds_store_b32 v1, v104
	s_wait_storecnt_dscnt 0x0
	s_barrier_signal -1
	s_barrier_wait -1
	s_wait_xcnt 0x0
	s_and_saveexec_b32 s14, s0
	s_cbranch_execz .LBB49_126
; %bb.117:
	s_and_not1_b32 vcc_lo, exec_lo, s3
	s_cbranch_vccnz .LBB49_119
; %bb.118:
	scratch_load_b32 v104, v7, off
	ds_load_b32 v105, v1
	s_wait_loadcnt_dscnt 0x0
	v_mul_f32_e32 v104, v104, v105
	s_cbranch_execz .LBB49_120
	s_branch .LBB49_121
.LBB49_119:
                                        ; implicit-def: $vgpr104
.LBB49_120:
	ds_load_b32 v104, v1
.LBB49_121:
	s_and_saveexec_b32 s15, s1
	s_cbranch_execz .LBB49_125
; %bb.122:
	v_subrev_nc_u32_e32 v105, 37, v0
	s_movk_i32 s1, 0x94
	s_movk_i32 s17, 0x164
	s_mov_b32 s16, 0
.LBB49_123:                             ; =>This Inner Loop Header: Depth=1
	scratch_load_b32 v106, off, s1
	v_dual_mov_b32 v107, s17 :: v_dual_add_nc_u32 v105, -1, v105
	s_add_co_i32 s17, s17, 4
	s_wait_xcnt 0x0
	s_add_co_i32 s1, s1, 4
	ds_load_b32 v107, v107
	v_cmp_eq_u32_e32 vcc_lo, 0, v105
	s_or_b32 s16, vcc_lo, s16
	s_wait_loadcnt_dscnt 0x0
	v_fmac_f32_e32 v104, v106, v107
	s_and_not1_b32 exec_lo, exec_lo, s16
	s_cbranch_execnz .LBB49_123
; %bb.124:
	s_or_b32 exec_lo, exec_lo, s16
.LBB49_125:
	s_delay_alu instid0(SALU_CYCLE_1)
	s_or_b32 exec_lo, exec_lo, s15
	v_mov_b32_e32 v105, 0
	ds_load_b32 v105, v105 offset:144
	s_wait_dscnt 0x0
	v_mul_f32_e32 v104, v104, v105
	scratch_store_b32 off, v104, off offset:144
.LBB49_126:
	s_wait_xcnt 0x0
	s_or_b32 exec_lo, exec_lo, s14
	scratch_load_b32 v104, off, off offset:140
	v_cmp_lt_u32_e64 s1, 35, v0
	s_wait_loadcnt 0x0
	ds_store_b32 v1, v104
	s_wait_storecnt_dscnt 0x0
	s_barrier_signal -1
	s_barrier_wait -1
	s_wait_xcnt 0x0
	s_and_saveexec_b32 s14, s1
	s_cbranch_execz .LBB49_136
; %bb.127:
	s_and_not1_b32 vcc_lo, exec_lo, s3
	s_cbranch_vccnz .LBB49_129
; %bb.128:
	scratch_load_b32 v104, v7, off
	ds_load_b32 v105, v1
	s_wait_loadcnt_dscnt 0x0
	v_mul_f32_e32 v104, v104, v105
	s_cbranch_execz .LBB49_130
	s_branch .LBB49_131
.LBB49_129:
                                        ; implicit-def: $vgpr104
.LBB49_130:
	ds_load_b32 v104, v1
.LBB49_131:
	s_and_saveexec_b32 s15, s0
	s_cbranch_execz .LBB49_135
; %bb.132:
	v_subrev_nc_u32_e32 v105, 36, v0
	s_movk_i32 s16, 0x160
	s_mov_b32 s0, 0
.LBB49_133:                             ; =>This Inner Loop Header: Depth=1
	scratch_load_b32 v106, off, s13
	v_dual_mov_b32 v107, s16 :: v_dual_add_nc_u32 v105, -1, v105
	s_add_co_i32 s16, s16, 4
	s_wait_xcnt 0x0
	s_add_co_i32 s13, s13, 4
	ds_load_b32 v107, v107
	v_cmp_eq_u32_e32 vcc_lo, 0, v105
	s_or_b32 s0, vcc_lo, s0
	s_wait_loadcnt_dscnt 0x0
	v_fmac_f32_e32 v104, v106, v107
	s_and_not1_b32 exec_lo, exec_lo, s0
	s_cbranch_execnz .LBB49_133
; %bb.134:
	s_or_b32 exec_lo, exec_lo, s0
.LBB49_135:
	s_delay_alu instid0(SALU_CYCLE_1)
	s_or_b32 exec_lo, exec_lo, s15
	v_mov_b32_e32 v105, 0
	ds_load_b32 v105, v105 offset:140
	s_wait_dscnt 0x0
	v_mul_f32_e32 v104, v104, v105
	scratch_store_b32 off, v104, off offset:140
.LBB49_136:
	s_wait_xcnt 0x0
	s_or_b32 exec_lo, exec_lo, s14
	scratch_load_b32 v104, off, off offset:136
	v_cmp_lt_u32_e64 s0, 34, v0
	s_wait_loadcnt 0x0
	ds_store_b32 v1, v104
	s_wait_storecnt_dscnt 0x0
	s_barrier_signal -1
	s_barrier_wait -1
	s_wait_xcnt 0x0
	s_and_saveexec_b32 s13, s0
	s_cbranch_execz .LBB49_146
; %bb.137:
	s_and_not1_b32 vcc_lo, exec_lo, s3
	s_cbranch_vccnz .LBB49_139
; %bb.138:
	scratch_load_b32 v104, v7, off
	ds_load_b32 v105, v1
	s_wait_loadcnt_dscnt 0x0
	v_mul_f32_e32 v104, v104, v105
	s_cbranch_execz .LBB49_140
	s_branch .LBB49_141
.LBB49_139:
                                        ; implicit-def: $vgpr104
.LBB49_140:
	ds_load_b32 v104, v1
.LBB49_141:
	s_and_saveexec_b32 s14, s1
	s_cbranch_execz .LBB49_145
; %bb.142:
	v_subrev_nc_u32_e32 v105, 35, v0
	s_movk_i32 s1, 0x8c
	s_movk_i32 s16, 0x15c
	s_mov_b32 s15, 0
.LBB49_143:                             ; =>This Inner Loop Header: Depth=1
	scratch_load_b32 v106, off, s1
	v_dual_mov_b32 v107, s16 :: v_dual_add_nc_u32 v105, -1, v105
	s_add_co_i32 s16, s16, 4
	s_wait_xcnt 0x0
	s_add_co_i32 s1, s1, 4
	ds_load_b32 v107, v107
	v_cmp_eq_u32_e32 vcc_lo, 0, v105
	s_or_b32 s15, vcc_lo, s15
	s_wait_loadcnt_dscnt 0x0
	v_fmac_f32_e32 v104, v106, v107
	s_and_not1_b32 exec_lo, exec_lo, s15
	s_cbranch_execnz .LBB49_143
; %bb.144:
	s_or_b32 exec_lo, exec_lo, s15
.LBB49_145:
	s_delay_alu instid0(SALU_CYCLE_1)
	s_or_b32 exec_lo, exec_lo, s14
	v_mov_b32_e32 v105, 0
	ds_load_b32 v105, v105 offset:136
	s_wait_dscnt 0x0
	v_mul_f32_e32 v104, v104, v105
	scratch_store_b32 off, v104, off offset:136
.LBB49_146:
	s_wait_xcnt 0x0
	s_or_b32 exec_lo, exec_lo, s13
	scratch_load_b32 v104, off, off offset:132
	v_cmp_lt_u32_e64 s1, 33, v0
	s_wait_loadcnt 0x0
	ds_store_b32 v1, v104
	s_wait_storecnt_dscnt 0x0
	s_barrier_signal -1
	s_barrier_wait -1
	s_wait_xcnt 0x0
	s_and_saveexec_b32 s13, s1
	s_cbranch_execz .LBB49_156
; %bb.147:
	s_and_not1_b32 vcc_lo, exec_lo, s3
	s_cbranch_vccnz .LBB49_149
; %bb.148:
	scratch_load_b32 v104, v7, off
	ds_load_b32 v105, v1
	s_wait_loadcnt_dscnt 0x0
	v_mul_f32_e32 v104, v104, v105
	s_cbranch_execz .LBB49_150
	s_branch .LBB49_151
.LBB49_149:
                                        ; implicit-def: $vgpr104
.LBB49_150:
	ds_load_b32 v104, v1
.LBB49_151:
	s_and_saveexec_b32 s14, s0
	s_cbranch_execz .LBB49_155
; %bb.152:
	v_subrev_nc_u32_e32 v105, 34, v0
	s_movk_i32 s0, 0x88
	s_movk_i32 s16, 0x158
	s_mov_b32 s15, 0
.LBB49_153:                             ; =>This Inner Loop Header: Depth=1
	scratch_load_b32 v106, off, s0
	v_dual_mov_b32 v107, s16 :: v_dual_add_nc_u32 v105, -1, v105
	s_add_co_i32 s16, s16, 4
	s_wait_xcnt 0x0
	s_add_co_i32 s0, s0, 4
	ds_load_b32 v107, v107
	v_cmp_eq_u32_e32 vcc_lo, 0, v105
	s_or_b32 s15, vcc_lo, s15
	s_wait_loadcnt_dscnt 0x0
	v_fmac_f32_e32 v104, v106, v107
	s_and_not1_b32 exec_lo, exec_lo, s15
	s_cbranch_execnz .LBB49_153
; %bb.154:
	s_or_b32 exec_lo, exec_lo, s15
.LBB49_155:
	s_delay_alu instid0(SALU_CYCLE_1)
	s_or_b32 exec_lo, exec_lo, s14
	v_mov_b32_e32 v105, 0
	ds_load_b32 v105, v105 offset:132
	s_wait_dscnt 0x0
	v_mul_f32_e32 v104, v104, v105
	scratch_store_b32 off, v104, off offset:132
.LBB49_156:
	;; [unrolled: 58-line block ×3, first 2 shown]
	s_wait_xcnt 0x0
	s_or_b32 exec_lo, exec_lo, s13
	scratch_load_b32 v104, off, off offset:124
	v_cmp_lt_u32_e64 s1, 31, v0
	s_wait_loadcnt 0x0
	ds_store_b32 v1, v104
	s_wait_storecnt_dscnt 0x0
	s_barrier_signal -1
	s_barrier_wait -1
	s_wait_xcnt 0x0
	s_and_saveexec_b32 s13, s1
	s_cbranch_execz .LBB49_176
; %bb.167:
	s_and_not1_b32 vcc_lo, exec_lo, s3
	s_cbranch_vccnz .LBB49_169
; %bb.168:
	scratch_load_b32 v104, v7, off
	ds_load_b32 v105, v1
	s_wait_loadcnt_dscnt 0x0
	v_mul_f32_e32 v104, v104, v105
	s_cbranch_execz .LBB49_170
	s_branch .LBB49_171
.LBB49_169:
                                        ; implicit-def: $vgpr104
.LBB49_170:
	ds_load_b32 v104, v1
.LBB49_171:
	s_and_saveexec_b32 s14, s0
	s_cbranch_execz .LBB49_175
; %bb.172:
	v_subrev_nc_u32_e32 v105, 32, v0
	s_movk_i32 s15, 0x150
	s_mov_b32 s0, 0
.LBB49_173:                             ; =>This Inner Loop Header: Depth=1
	scratch_load_b32 v106, off, s12
	v_dual_mov_b32 v107, s15 :: v_dual_add_nc_u32 v105, -1, v105
	s_add_co_i32 s15, s15, 4
	s_wait_xcnt 0x0
	s_add_co_i32 s12, s12, 4
	ds_load_b32 v107, v107
	v_cmp_eq_u32_e32 vcc_lo, 0, v105
	s_or_b32 s0, vcc_lo, s0
	s_wait_loadcnt_dscnt 0x0
	v_fmac_f32_e32 v104, v106, v107
	s_and_not1_b32 exec_lo, exec_lo, s0
	s_cbranch_execnz .LBB49_173
; %bb.174:
	s_or_b32 exec_lo, exec_lo, s0
.LBB49_175:
	s_delay_alu instid0(SALU_CYCLE_1)
	s_or_b32 exec_lo, exec_lo, s14
	v_mov_b32_e32 v105, 0
	ds_load_b32 v105, v105 offset:124
	s_wait_dscnt 0x0
	v_mul_f32_e32 v104, v104, v105
	scratch_store_b32 off, v104, off offset:124
.LBB49_176:
	s_wait_xcnt 0x0
	s_or_b32 exec_lo, exec_lo, s13
	scratch_load_b32 v104, off, off offset:120
	v_cmp_lt_u32_e64 s0, 30, v0
	s_wait_loadcnt 0x0
	ds_store_b32 v1, v104
	s_wait_storecnt_dscnt 0x0
	s_barrier_signal -1
	s_barrier_wait -1
	s_wait_xcnt 0x0
	s_and_saveexec_b32 s12, s0
	s_cbranch_execz .LBB49_186
; %bb.177:
	s_and_not1_b32 vcc_lo, exec_lo, s3
	s_cbranch_vccnz .LBB49_179
; %bb.178:
	scratch_load_b32 v104, v7, off
	ds_load_b32 v105, v1
	s_wait_loadcnt_dscnt 0x0
	v_mul_f32_e32 v104, v104, v105
	s_cbranch_execz .LBB49_180
	s_branch .LBB49_181
.LBB49_179:
                                        ; implicit-def: $vgpr104
.LBB49_180:
	ds_load_b32 v104, v1
.LBB49_181:
	s_and_saveexec_b32 s13, s1
	s_cbranch_execz .LBB49_185
; %bb.182:
	v_subrev_nc_u32_e32 v105, 31, v0
	s_movk_i32 s1, 0x7c
	s_movk_i32 s15, 0x14c
	s_mov_b32 s14, 0
.LBB49_183:                             ; =>This Inner Loop Header: Depth=1
	scratch_load_b32 v106, off, s1
	v_dual_mov_b32 v107, s15 :: v_dual_add_nc_u32 v105, -1, v105
	s_add_co_i32 s15, s15, 4
	s_wait_xcnt 0x0
	s_add_co_i32 s1, s1, 4
	ds_load_b32 v107, v107
	v_cmp_eq_u32_e32 vcc_lo, 0, v105
	s_or_b32 s14, vcc_lo, s14
	s_wait_loadcnt_dscnt 0x0
	v_fmac_f32_e32 v104, v106, v107
	s_and_not1_b32 exec_lo, exec_lo, s14
	s_cbranch_execnz .LBB49_183
; %bb.184:
	s_or_b32 exec_lo, exec_lo, s14
.LBB49_185:
	s_delay_alu instid0(SALU_CYCLE_1)
	s_or_b32 exec_lo, exec_lo, s13
	v_mov_b32_e32 v105, 0
	ds_load_b32 v105, v105 offset:120
	s_wait_dscnt 0x0
	v_mul_f32_e32 v104, v104, v105
	scratch_store_b32 off, v104, off offset:120
.LBB49_186:
	s_wait_xcnt 0x0
	s_or_b32 exec_lo, exec_lo, s12
	scratch_load_b32 v104, off, off offset:116
	v_cmp_lt_u32_e64 s1, 29, v0
	s_wait_loadcnt 0x0
	ds_store_b32 v1, v104
	s_wait_storecnt_dscnt 0x0
	s_barrier_signal -1
	s_barrier_wait -1
	s_wait_xcnt 0x0
	s_and_saveexec_b32 s12, s1
	s_cbranch_execz .LBB49_196
; %bb.187:
	s_and_not1_b32 vcc_lo, exec_lo, s3
	s_cbranch_vccnz .LBB49_189
; %bb.188:
	scratch_load_b32 v104, v7, off
	ds_load_b32 v105, v1
	s_wait_loadcnt_dscnt 0x0
	v_mul_f32_e32 v104, v104, v105
	s_cbranch_execz .LBB49_190
	s_branch .LBB49_191
.LBB49_189:
                                        ; implicit-def: $vgpr104
.LBB49_190:
	ds_load_b32 v104, v1
.LBB49_191:
	s_and_saveexec_b32 s13, s0
	s_cbranch_execz .LBB49_195
; %bb.192:
	v_subrev_nc_u32_e32 v105, 30, v0
	s_movk_i32 s0, 0x78
	s_movk_i32 s15, 0x148
	s_mov_b32 s14, 0
.LBB49_193:                             ; =>This Inner Loop Header: Depth=1
	scratch_load_b32 v106, off, s0
	v_dual_mov_b32 v107, s15 :: v_dual_add_nc_u32 v105, -1, v105
	s_add_co_i32 s15, s15, 4
	s_wait_xcnt 0x0
	s_add_co_i32 s0, s0, 4
	ds_load_b32 v107, v107
	v_cmp_eq_u32_e32 vcc_lo, 0, v105
	s_or_b32 s14, vcc_lo, s14
	s_wait_loadcnt_dscnt 0x0
	v_fmac_f32_e32 v104, v106, v107
	s_and_not1_b32 exec_lo, exec_lo, s14
	s_cbranch_execnz .LBB49_193
; %bb.194:
	s_or_b32 exec_lo, exec_lo, s14
.LBB49_195:
	s_delay_alu instid0(SALU_CYCLE_1)
	s_or_b32 exec_lo, exec_lo, s13
	v_mov_b32_e32 v105, 0
	ds_load_b32 v105, v105 offset:116
	s_wait_dscnt 0x0
	v_mul_f32_e32 v104, v104, v105
	scratch_store_b32 off, v104, off offset:116
.LBB49_196:
	;; [unrolled: 58-line block ×3, first 2 shown]
	s_wait_xcnt 0x0
	s_or_b32 exec_lo, exec_lo, s12
	scratch_load_b32 v104, off, off offset:108
	v_cmp_lt_u32_e64 s1, 27, v0
	s_wait_loadcnt 0x0
	ds_store_b32 v1, v104
	s_wait_storecnt_dscnt 0x0
	s_barrier_signal -1
	s_barrier_wait -1
	s_wait_xcnt 0x0
	s_and_saveexec_b32 s12, s1
	s_cbranch_execz .LBB49_216
; %bb.207:
	s_and_not1_b32 vcc_lo, exec_lo, s3
	s_cbranch_vccnz .LBB49_209
; %bb.208:
	scratch_load_b32 v104, v7, off
	ds_load_b32 v105, v1
	s_wait_loadcnt_dscnt 0x0
	v_mul_f32_e32 v104, v104, v105
	s_cbranch_execz .LBB49_210
	s_branch .LBB49_211
.LBB49_209:
                                        ; implicit-def: $vgpr104
.LBB49_210:
	ds_load_b32 v104, v1
.LBB49_211:
	s_and_saveexec_b32 s13, s0
	s_cbranch_execz .LBB49_215
; %bb.212:
	v_subrev_nc_u32_e32 v105, 28, v0
	s_movk_i32 s14, 0x140
	s_mov_b32 s0, 0
.LBB49_213:                             ; =>This Inner Loop Header: Depth=1
	scratch_load_b32 v106, off, s11
	v_dual_mov_b32 v107, s14 :: v_dual_add_nc_u32 v105, -1, v105
	s_add_co_i32 s14, s14, 4
	s_wait_xcnt 0x0
	s_add_co_i32 s11, s11, 4
	ds_load_b32 v107, v107
	v_cmp_eq_u32_e32 vcc_lo, 0, v105
	s_or_b32 s0, vcc_lo, s0
	s_wait_loadcnt_dscnt 0x0
	v_fmac_f32_e32 v104, v106, v107
	s_and_not1_b32 exec_lo, exec_lo, s0
	s_cbranch_execnz .LBB49_213
; %bb.214:
	s_or_b32 exec_lo, exec_lo, s0
.LBB49_215:
	s_delay_alu instid0(SALU_CYCLE_1)
	s_or_b32 exec_lo, exec_lo, s13
	v_mov_b32_e32 v105, 0
	ds_load_b32 v105, v105 offset:108
	s_wait_dscnt 0x0
	v_mul_f32_e32 v104, v104, v105
	scratch_store_b32 off, v104, off offset:108
.LBB49_216:
	s_wait_xcnt 0x0
	s_or_b32 exec_lo, exec_lo, s12
	scratch_load_b32 v104, off, off offset:104
	v_cmp_lt_u32_e64 s0, 26, v0
	s_wait_loadcnt 0x0
	ds_store_b32 v1, v104
	s_wait_storecnt_dscnt 0x0
	s_barrier_signal -1
	s_barrier_wait -1
	s_wait_xcnt 0x0
	s_and_saveexec_b32 s11, s0
	s_cbranch_execz .LBB49_226
; %bb.217:
	s_and_not1_b32 vcc_lo, exec_lo, s3
	s_cbranch_vccnz .LBB49_219
; %bb.218:
	scratch_load_b32 v104, v7, off
	ds_load_b32 v105, v1
	s_wait_loadcnt_dscnt 0x0
	v_mul_f32_e32 v104, v104, v105
	s_cbranch_execz .LBB49_220
	s_branch .LBB49_221
.LBB49_219:
                                        ; implicit-def: $vgpr104
.LBB49_220:
	ds_load_b32 v104, v1
.LBB49_221:
	s_and_saveexec_b32 s12, s1
	s_cbranch_execz .LBB49_225
; %bb.222:
	v_subrev_nc_u32_e32 v105, 27, v0
	s_movk_i32 s1, 0x6c
	s_movk_i32 s14, 0x13c
	s_mov_b32 s13, 0
.LBB49_223:                             ; =>This Inner Loop Header: Depth=1
	scratch_load_b32 v106, off, s1
	v_dual_mov_b32 v107, s14 :: v_dual_add_nc_u32 v105, -1, v105
	s_add_co_i32 s14, s14, 4
	s_wait_xcnt 0x0
	s_add_co_i32 s1, s1, 4
	ds_load_b32 v107, v107
	v_cmp_eq_u32_e32 vcc_lo, 0, v105
	s_or_b32 s13, vcc_lo, s13
	s_wait_loadcnt_dscnt 0x0
	v_fmac_f32_e32 v104, v106, v107
	s_and_not1_b32 exec_lo, exec_lo, s13
	s_cbranch_execnz .LBB49_223
; %bb.224:
	s_or_b32 exec_lo, exec_lo, s13
.LBB49_225:
	s_delay_alu instid0(SALU_CYCLE_1)
	s_or_b32 exec_lo, exec_lo, s12
	v_mov_b32_e32 v105, 0
	ds_load_b32 v105, v105 offset:104
	s_wait_dscnt 0x0
	v_mul_f32_e32 v104, v104, v105
	scratch_store_b32 off, v104, off offset:104
.LBB49_226:
	s_wait_xcnt 0x0
	s_or_b32 exec_lo, exec_lo, s11
	scratch_load_b32 v104, off, off offset:100
	v_cmp_lt_u32_e64 s1, 25, v0
	s_wait_loadcnt 0x0
	ds_store_b32 v1, v104
	s_wait_storecnt_dscnt 0x0
	s_barrier_signal -1
	s_barrier_wait -1
	s_wait_xcnt 0x0
	s_and_saveexec_b32 s11, s1
	s_cbranch_execz .LBB49_236
; %bb.227:
	s_and_not1_b32 vcc_lo, exec_lo, s3
	s_cbranch_vccnz .LBB49_229
; %bb.228:
	scratch_load_b32 v104, v7, off
	ds_load_b32 v105, v1
	s_wait_loadcnt_dscnt 0x0
	v_mul_f32_e32 v104, v104, v105
	s_cbranch_execz .LBB49_230
	s_branch .LBB49_231
.LBB49_229:
                                        ; implicit-def: $vgpr104
.LBB49_230:
	ds_load_b32 v104, v1
.LBB49_231:
	s_and_saveexec_b32 s12, s0
	s_cbranch_execz .LBB49_235
; %bb.232:
	v_subrev_nc_u32_e32 v105, 26, v0
	s_movk_i32 s0, 0x68
	s_movk_i32 s14, 0x138
	s_mov_b32 s13, 0
.LBB49_233:                             ; =>This Inner Loop Header: Depth=1
	scratch_load_b32 v106, off, s0
	v_dual_mov_b32 v107, s14 :: v_dual_add_nc_u32 v105, -1, v105
	s_add_co_i32 s14, s14, 4
	s_wait_xcnt 0x0
	s_add_co_i32 s0, s0, 4
	ds_load_b32 v107, v107
	v_cmp_eq_u32_e32 vcc_lo, 0, v105
	s_or_b32 s13, vcc_lo, s13
	s_wait_loadcnt_dscnt 0x0
	v_fmac_f32_e32 v104, v106, v107
	s_and_not1_b32 exec_lo, exec_lo, s13
	s_cbranch_execnz .LBB49_233
; %bb.234:
	s_or_b32 exec_lo, exec_lo, s13
.LBB49_235:
	s_delay_alu instid0(SALU_CYCLE_1)
	s_or_b32 exec_lo, exec_lo, s12
	v_mov_b32_e32 v105, 0
	ds_load_b32 v105, v105 offset:100
	s_wait_dscnt 0x0
	v_mul_f32_e32 v104, v104, v105
	scratch_store_b32 off, v104, off offset:100
.LBB49_236:
	;; [unrolled: 58-line block ×3, first 2 shown]
	s_wait_xcnt 0x0
	s_or_b32 exec_lo, exec_lo, s11
	scratch_load_b32 v104, off, off offset:92
	v_cmp_lt_u32_e64 s1, 23, v0
	s_wait_loadcnt 0x0
	ds_store_b32 v1, v104
	s_wait_storecnt_dscnt 0x0
	s_barrier_signal -1
	s_barrier_wait -1
	s_wait_xcnt 0x0
	s_and_saveexec_b32 s11, s1
	s_cbranch_execz .LBB49_256
; %bb.247:
	s_and_not1_b32 vcc_lo, exec_lo, s3
	s_cbranch_vccnz .LBB49_249
; %bb.248:
	scratch_load_b32 v104, v7, off
	ds_load_b32 v105, v1
	s_wait_loadcnt_dscnt 0x0
	v_mul_f32_e32 v104, v104, v105
	s_cbranch_execz .LBB49_250
	s_branch .LBB49_251
.LBB49_249:
                                        ; implicit-def: $vgpr104
.LBB49_250:
	ds_load_b32 v104, v1
.LBB49_251:
	s_and_saveexec_b32 s12, s0
	s_cbranch_execz .LBB49_255
; %bb.252:
	v_subrev_nc_u32_e32 v105, 24, v0
	s_movk_i32 s13, 0x130
	s_mov_b32 s0, 0
.LBB49_253:                             ; =>This Inner Loop Header: Depth=1
	scratch_load_b32 v106, off, s10
	v_dual_mov_b32 v107, s13 :: v_dual_add_nc_u32 v105, -1, v105
	s_add_co_i32 s13, s13, 4
	s_wait_xcnt 0x0
	s_add_co_i32 s10, s10, 4
	ds_load_b32 v107, v107
	v_cmp_eq_u32_e32 vcc_lo, 0, v105
	s_or_b32 s0, vcc_lo, s0
	s_wait_loadcnt_dscnt 0x0
	v_fmac_f32_e32 v104, v106, v107
	s_and_not1_b32 exec_lo, exec_lo, s0
	s_cbranch_execnz .LBB49_253
; %bb.254:
	s_or_b32 exec_lo, exec_lo, s0
.LBB49_255:
	s_delay_alu instid0(SALU_CYCLE_1)
	s_or_b32 exec_lo, exec_lo, s12
	v_mov_b32_e32 v105, 0
	ds_load_b32 v105, v105 offset:92
	s_wait_dscnt 0x0
	v_mul_f32_e32 v104, v104, v105
	scratch_store_b32 off, v104, off offset:92
.LBB49_256:
	s_wait_xcnt 0x0
	s_or_b32 exec_lo, exec_lo, s11
	scratch_load_b32 v104, off, off offset:88
	v_cmp_lt_u32_e64 s0, 22, v0
	s_wait_loadcnt 0x0
	ds_store_b32 v1, v104
	s_wait_storecnt_dscnt 0x0
	s_barrier_signal -1
	s_barrier_wait -1
	s_wait_xcnt 0x0
	s_and_saveexec_b32 s10, s0
	s_cbranch_execz .LBB49_266
; %bb.257:
	s_and_not1_b32 vcc_lo, exec_lo, s3
	s_cbranch_vccnz .LBB49_259
; %bb.258:
	scratch_load_b32 v104, v7, off
	ds_load_b32 v105, v1
	s_wait_loadcnt_dscnt 0x0
	v_mul_f32_e32 v104, v104, v105
	s_cbranch_execz .LBB49_260
	s_branch .LBB49_261
.LBB49_259:
                                        ; implicit-def: $vgpr104
.LBB49_260:
	ds_load_b32 v104, v1
.LBB49_261:
	s_and_saveexec_b32 s11, s1
	s_cbranch_execz .LBB49_265
; %bb.262:
	v_subrev_nc_u32_e32 v105, 23, v0
	s_movk_i32 s1, 0x5c
	s_movk_i32 s13, 0x12c
	s_mov_b32 s12, 0
.LBB49_263:                             ; =>This Inner Loop Header: Depth=1
	scratch_load_b32 v106, off, s1
	v_dual_mov_b32 v107, s13 :: v_dual_add_nc_u32 v105, -1, v105
	s_add_co_i32 s13, s13, 4
	s_wait_xcnt 0x0
	s_add_co_i32 s1, s1, 4
	ds_load_b32 v107, v107
	v_cmp_eq_u32_e32 vcc_lo, 0, v105
	s_or_b32 s12, vcc_lo, s12
	s_wait_loadcnt_dscnt 0x0
	v_fmac_f32_e32 v104, v106, v107
	s_and_not1_b32 exec_lo, exec_lo, s12
	s_cbranch_execnz .LBB49_263
; %bb.264:
	s_or_b32 exec_lo, exec_lo, s12
.LBB49_265:
	s_delay_alu instid0(SALU_CYCLE_1)
	s_or_b32 exec_lo, exec_lo, s11
	v_mov_b32_e32 v105, 0
	ds_load_b32 v105, v105 offset:88
	s_wait_dscnt 0x0
	v_mul_f32_e32 v104, v104, v105
	scratch_store_b32 off, v104, off offset:88
.LBB49_266:
	s_wait_xcnt 0x0
	s_or_b32 exec_lo, exec_lo, s10
	scratch_load_b32 v104, off, off offset:84
	v_cmp_lt_u32_e64 s1, 21, v0
	s_wait_loadcnt 0x0
	ds_store_b32 v1, v104
	s_wait_storecnt_dscnt 0x0
	s_barrier_signal -1
	s_barrier_wait -1
	s_wait_xcnt 0x0
	s_and_saveexec_b32 s10, s1
	s_cbranch_execz .LBB49_276
; %bb.267:
	s_and_not1_b32 vcc_lo, exec_lo, s3
	s_cbranch_vccnz .LBB49_269
; %bb.268:
	scratch_load_b32 v104, v7, off
	ds_load_b32 v105, v1
	s_wait_loadcnt_dscnt 0x0
	v_mul_f32_e32 v104, v104, v105
	s_cbranch_execz .LBB49_270
	s_branch .LBB49_271
.LBB49_269:
                                        ; implicit-def: $vgpr104
.LBB49_270:
	ds_load_b32 v104, v1
.LBB49_271:
	s_and_saveexec_b32 s11, s0
	s_cbranch_execz .LBB49_275
; %bb.272:
	v_subrev_nc_u32_e32 v105, 22, v0
	s_movk_i32 s0, 0x58
	s_movk_i32 s13, 0x128
	s_mov_b32 s12, 0
.LBB49_273:                             ; =>This Inner Loop Header: Depth=1
	scratch_load_b32 v106, off, s0
	v_dual_mov_b32 v107, s13 :: v_dual_add_nc_u32 v105, -1, v105
	s_add_co_i32 s13, s13, 4
	s_wait_xcnt 0x0
	s_add_co_i32 s0, s0, 4
	ds_load_b32 v107, v107
	v_cmp_eq_u32_e32 vcc_lo, 0, v105
	s_or_b32 s12, vcc_lo, s12
	s_wait_loadcnt_dscnt 0x0
	v_fmac_f32_e32 v104, v106, v107
	s_and_not1_b32 exec_lo, exec_lo, s12
	s_cbranch_execnz .LBB49_273
; %bb.274:
	s_or_b32 exec_lo, exec_lo, s12
.LBB49_275:
	s_delay_alu instid0(SALU_CYCLE_1)
	s_or_b32 exec_lo, exec_lo, s11
	v_mov_b32_e32 v105, 0
	ds_load_b32 v105, v105 offset:84
	s_wait_dscnt 0x0
	v_mul_f32_e32 v104, v104, v105
	scratch_store_b32 off, v104, off offset:84
.LBB49_276:
	;; [unrolled: 58-line block ×3, first 2 shown]
	s_wait_xcnt 0x0
	s_or_b32 exec_lo, exec_lo, s10
	scratch_load_b32 v104, off, off offset:76
	v_cmp_lt_u32_e64 s1, 19, v0
	s_wait_loadcnt 0x0
	ds_store_b32 v1, v104
	s_wait_storecnt_dscnt 0x0
	s_barrier_signal -1
	s_barrier_wait -1
	s_wait_xcnt 0x0
	s_and_saveexec_b32 s10, s1
	s_cbranch_execz .LBB49_296
; %bb.287:
	s_and_not1_b32 vcc_lo, exec_lo, s3
	s_cbranch_vccnz .LBB49_289
; %bb.288:
	scratch_load_b32 v104, v7, off
	ds_load_b32 v105, v1
	s_wait_loadcnt_dscnt 0x0
	v_mul_f32_e32 v104, v104, v105
	s_cbranch_execz .LBB49_290
	s_branch .LBB49_291
.LBB49_289:
                                        ; implicit-def: $vgpr104
.LBB49_290:
	ds_load_b32 v104, v1
.LBB49_291:
	s_and_saveexec_b32 s11, s0
	s_cbranch_execz .LBB49_295
; %bb.292:
	v_subrev_nc_u32_e32 v105, 20, v0
	s_movk_i32 s12, 0x120
	s_mov_b32 s0, 0
.LBB49_293:                             ; =>This Inner Loop Header: Depth=1
	scratch_load_b32 v106, off, s9
	v_dual_mov_b32 v107, s12 :: v_dual_add_nc_u32 v105, -1, v105
	s_add_co_i32 s12, s12, 4
	s_wait_xcnt 0x0
	s_add_co_i32 s9, s9, 4
	ds_load_b32 v107, v107
	v_cmp_eq_u32_e32 vcc_lo, 0, v105
	s_or_b32 s0, vcc_lo, s0
	s_wait_loadcnt_dscnt 0x0
	v_fmac_f32_e32 v104, v106, v107
	s_and_not1_b32 exec_lo, exec_lo, s0
	s_cbranch_execnz .LBB49_293
; %bb.294:
	s_or_b32 exec_lo, exec_lo, s0
.LBB49_295:
	s_delay_alu instid0(SALU_CYCLE_1)
	s_or_b32 exec_lo, exec_lo, s11
	v_mov_b32_e32 v105, 0
	ds_load_b32 v105, v105 offset:76
	s_wait_dscnt 0x0
	v_mul_f32_e32 v104, v104, v105
	scratch_store_b32 off, v104, off offset:76
.LBB49_296:
	s_wait_xcnt 0x0
	s_or_b32 exec_lo, exec_lo, s10
	scratch_load_b32 v104, off, off offset:72
	v_cmp_lt_u32_e64 s0, 18, v0
	s_wait_loadcnt 0x0
	ds_store_b32 v1, v104
	s_wait_storecnt_dscnt 0x0
	s_barrier_signal -1
	s_barrier_wait -1
	s_wait_xcnt 0x0
	s_and_saveexec_b32 s9, s0
	s_cbranch_execz .LBB49_306
; %bb.297:
	s_and_not1_b32 vcc_lo, exec_lo, s3
	s_cbranch_vccnz .LBB49_299
; %bb.298:
	scratch_load_b32 v104, v7, off
	ds_load_b32 v105, v1
	s_wait_loadcnt_dscnt 0x0
	v_mul_f32_e32 v104, v104, v105
	s_cbranch_execz .LBB49_300
	s_branch .LBB49_301
.LBB49_299:
                                        ; implicit-def: $vgpr104
.LBB49_300:
	ds_load_b32 v104, v1
.LBB49_301:
	s_and_saveexec_b32 s10, s1
	s_cbranch_execz .LBB49_305
; %bb.302:
	v_subrev_nc_u32_e32 v105, 19, v0
	s_movk_i32 s1, 0x4c
	s_movk_i32 s12, 0x11c
	s_mov_b32 s11, 0
.LBB49_303:                             ; =>This Inner Loop Header: Depth=1
	scratch_load_b32 v106, off, s1
	v_dual_mov_b32 v107, s12 :: v_dual_add_nc_u32 v105, -1, v105
	s_add_co_i32 s12, s12, 4
	s_wait_xcnt 0x0
	s_add_co_i32 s1, s1, 4
	ds_load_b32 v107, v107
	v_cmp_eq_u32_e32 vcc_lo, 0, v105
	s_or_b32 s11, vcc_lo, s11
	s_wait_loadcnt_dscnt 0x0
	v_fmac_f32_e32 v104, v106, v107
	s_and_not1_b32 exec_lo, exec_lo, s11
	s_cbranch_execnz .LBB49_303
; %bb.304:
	s_or_b32 exec_lo, exec_lo, s11
.LBB49_305:
	s_delay_alu instid0(SALU_CYCLE_1)
	s_or_b32 exec_lo, exec_lo, s10
	v_mov_b32_e32 v105, 0
	ds_load_b32 v105, v105 offset:72
	s_wait_dscnt 0x0
	v_mul_f32_e32 v104, v104, v105
	scratch_store_b32 off, v104, off offset:72
.LBB49_306:
	s_wait_xcnt 0x0
	s_or_b32 exec_lo, exec_lo, s9
	scratch_load_b32 v104, off, off offset:68
	v_cmp_lt_u32_e64 s1, 17, v0
	s_wait_loadcnt 0x0
	ds_store_b32 v1, v104
	s_wait_storecnt_dscnt 0x0
	s_barrier_signal -1
	s_barrier_wait -1
	s_wait_xcnt 0x0
	s_and_saveexec_b32 s9, s1
	s_cbranch_execz .LBB49_316
; %bb.307:
	s_and_not1_b32 vcc_lo, exec_lo, s3
	s_cbranch_vccnz .LBB49_309
; %bb.308:
	scratch_load_b32 v104, v7, off
	ds_load_b32 v105, v1
	s_wait_loadcnt_dscnt 0x0
	v_mul_f32_e32 v104, v104, v105
	s_cbranch_execz .LBB49_310
	s_branch .LBB49_311
.LBB49_309:
                                        ; implicit-def: $vgpr104
.LBB49_310:
	ds_load_b32 v104, v1
.LBB49_311:
	s_and_saveexec_b32 s10, s0
	s_cbranch_execz .LBB49_315
; %bb.312:
	v_subrev_nc_u32_e32 v105, 18, v0
	s_movk_i32 s0, 0x48
	s_movk_i32 s12, 0x118
	s_mov_b32 s11, 0
.LBB49_313:                             ; =>This Inner Loop Header: Depth=1
	scratch_load_b32 v106, off, s0
	v_dual_mov_b32 v107, s12 :: v_dual_add_nc_u32 v105, -1, v105
	s_add_co_i32 s12, s12, 4
	s_wait_xcnt 0x0
	s_add_co_i32 s0, s0, 4
	ds_load_b32 v107, v107
	v_cmp_eq_u32_e32 vcc_lo, 0, v105
	s_or_b32 s11, vcc_lo, s11
	s_wait_loadcnt_dscnt 0x0
	v_fmac_f32_e32 v104, v106, v107
	s_and_not1_b32 exec_lo, exec_lo, s11
	s_cbranch_execnz .LBB49_313
; %bb.314:
	s_or_b32 exec_lo, exec_lo, s11
.LBB49_315:
	s_delay_alu instid0(SALU_CYCLE_1)
	s_or_b32 exec_lo, exec_lo, s10
	v_mov_b32_e32 v105, 0
	ds_load_b32 v105, v105 offset:68
	s_wait_dscnt 0x0
	v_mul_f32_e32 v104, v104, v105
	scratch_store_b32 off, v104, off offset:68
.LBB49_316:
	;; [unrolled: 58-line block ×3, first 2 shown]
	s_wait_xcnt 0x0
	s_or_b32 exec_lo, exec_lo, s9
	scratch_load_b32 v104, off, off offset:60
	v_cmp_lt_u32_e64 s1, 15, v0
	s_wait_loadcnt 0x0
	ds_store_b32 v1, v104
	s_wait_storecnt_dscnt 0x0
	s_barrier_signal -1
	s_barrier_wait -1
	s_wait_xcnt 0x0
	s_and_saveexec_b32 s9, s1
	s_cbranch_execz .LBB49_336
; %bb.327:
	s_and_not1_b32 vcc_lo, exec_lo, s3
	s_cbranch_vccnz .LBB49_329
; %bb.328:
	scratch_load_b32 v104, v7, off
	ds_load_b32 v105, v1
	s_wait_loadcnt_dscnt 0x0
	v_mul_f32_e32 v104, v104, v105
	s_cbranch_execz .LBB49_330
	s_branch .LBB49_331
.LBB49_329:
                                        ; implicit-def: $vgpr104
.LBB49_330:
	ds_load_b32 v104, v1
.LBB49_331:
	s_and_saveexec_b32 s10, s0
	s_cbranch_execz .LBB49_335
; %bb.332:
	v_add_nc_u32_e32 v105, -16, v0
	s_movk_i32 s11, 0x110
	s_mov_b32 s0, 0
.LBB49_333:                             ; =>This Inner Loop Header: Depth=1
	scratch_load_b32 v106, off, s8
	v_dual_mov_b32 v107, s11 :: v_dual_add_nc_u32 v105, -1, v105
	s_add_co_i32 s11, s11, 4
	s_wait_xcnt 0x0
	s_add_co_i32 s8, s8, 4
	ds_load_b32 v107, v107
	v_cmp_eq_u32_e32 vcc_lo, 0, v105
	s_or_b32 s0, vcc_lo, s0
	s_wait_loadcnt_dscnt 0x0
	v_fmac_f32_e32 v104, v106, v107
	s_and_not1_b32 exec_lo, exec_lo, s0
	s_cbranch_execnz .LBB49_333
; %bb.334:
	s_or_b32 exec_lo, exec_lo, s0
.LBB49_335:
	s_delay_alu instid0(SALU_CYCLE_1)
	s_or_b32 exec_lo, exec_lo, s10
	v_mov_b32_e32 v105, 0
	ds_load_b32 v105, v105 offset:60
	s_wait_dscnt 0x0
	v_mul_f32_e32 v104, v104, v105
	scratch_store_b32 off, v104, off offset:60
.LBB49_336:
	s_wait_xcnt 0x0
	s_or_b32 exec_lo, exec_lo, s9
	scratch_load_b32 v104, off, off offset:56
	v_cmp_lt_u32_e64 s0, 14, v0
	s_wait_loadcnt 0x0
	ds_store_b32 v1, v104
	s_wait_storecnt_dscnt 0x0
	s_barrier_signal -1
	s_barrier_wait -1
	s_wait_xcnt 0x0
	s_and_saveexec_b32 s8, s0
	s_cbranch_execz .LBB49_346
; %bb.337:
	s_and_not1_b32 vcc_lo, exec_lo, s3
	s_cbranch_vccnz .LBB49_339
; %bb.338:
	scratch_load_b32 v104, v7, off
	ds_load_b32 v105, v1
	s_wait_loadcnt_dscnt 0x0
	v_mul_f32_e32 v104, v104, v105
	s_cbranch_execz .LBB49_340
	s_branch .LBB49_341
.LBB49_339:
                                        ; implicit-def: $vgpr104
.LBB49_340:
	ds_load_b32 v104, v1
.LBB49_341:
	s_and_saveexec_b32 s9, s1
	s_cbranch_execz .LBB49_345
; %bb.342:
	v_add_nc_u32_e32 v105, -15, v0
	s_mov_b32 s1, 60
	s_movk_i32 s11, 0x10c
	s_mov_b32 s10, 0
.LBB49_343:                             ; =>This Inner Loop Header: Depth=1
	scratch_load_b32 v106, off, s1
	v_dual_mov_b32 v107, s11 :: v_dual_add_nc_u32 v105, -1, v105
	s_add_co_i32 s11, s11, 4
	s_wait_xcnt 0x0
	s_add_co_i32 s1, s1, 4
	ds_load_b32 v107, v107
	v_cmp_eq_u32_e32 vcc_lo, 0, v105
	s_or_b32 s10, vcc_lo, s10
	s_wait_loadcnt_dscnt 0x0
	v_fmac_f32_e32 v104, v106, v107
	s_and_not1_b32 exec_lo, exec_lo, s10
	s_cbranch_execnz .LBB49_343
; %bb.344:
	s_or_b32 exec_lo, exec_lo, s10
.LBB49_345:
	s_delay_alu instid0(SALU_CYCLE_1)
	s_or_b32 exec_lo, exec_lo, s9
	v_mov_b32_e32 v105, 0
	ds_load_b32 v105, v105 offset:56
	s_wait_dscnt 0x0
	v_mul_f32_e32 v104, v104, v105
	scratch_store_b32 off, v104, off offset:56
.LBB49_346:
	s_wait_xcnt 0x0
	s_or_b32 exec_lo, exec_lo, s8
	scratch_load_b32 v104, off, off offset:52
	v_cmp_lt_u32_e64 s1, 13, v0
	s_wait_loadcnt 0x0
	ds_store_b32 v1, v104
	s_wait_storecnt_dscnt 0x0
	s_barrier_signal -1
	s_barrier_wait -1
	s_wait_xcnt 0x0
	s_and_saveexec_b32 s8, s1
	s_cbranch_execz .LBB49_356
; %bb.347:
	s_and_not1_b32 vcc_lo, exec_lo, s3
	s_cbranch_vccnz .LBB49_349
; %bb.348:
	scratch_load_b32 v104, v7, off
	ds_load_b32 v105, v1
	s_wait_loadcnt_dscnt 0x0
	v_mul_f32_e32 v104, v104, v105
	s_cbranch_execz .LBB49_350
	s_branch .LBB49_351
.LBB49_349:
                                        ; implicit-def: $vgpr104
.LBB49_350:
	ds_load_b32 v104, v1
.LBB49_351:
	s_and_saveexec_b32 s9, s0
	s_cbranch_execz .LBB49_355
; %bb.352:
	v_add_nc_u32_e32 v105, -14, v0
	s_mov_b32 s0, 56
	s_movk_i32 s11, 0x108
	s_mov_b32 s10, 0
.LBB49_353:                             ; =>This Inner Loop Header: Depth=1
	scratch_load_b32 v106, off, s0
	v_dual_mov_b32 v107, s11 :: v_dual_add_nc_u32 v105, -1, v105
	s_add_co_i32 s11, s11, 4
	s_wait_xcnt 0x0
	s_add_co_i32 s0, s0, 4
	ds_load_b32 v107, v107
	v_cmp_eq_u32_e32 vcc_lo, 0, v105
	s_or_b32 s10, vcc_lo, s10
	s_wait_loadcnt_dscnt 0x0
	v_fmac_f32_e32 v104, v106, v107
	s_and_not1_b32 exec_lo, exec_lo, s10
	s_cbranch_execnz .LBB49_353
; %bb.354:
	s_or_b32 exec_lo, exec_lo, s10
.LBB49_355:
	s_delay_alu instid0(SALU_CYCLE_1)
	s_or_b32 exec_lo, exec_lo, s9
	v_mov_b32_e32 v105, 0
	ds_load_b32 v105, v105 offset:52
	s_wait_dscnt 0x0
	v_mul_f32_e32 v104, v104, v105
	scratch_store_b32 off, v104, off offset:52
.LBB49_356:
	;; [unrolled: 58-line block ×3, first 2 shown]
	s_wait_xcnt 0x0
	s_or_b32 exec_lo, exec_lo, s8
	scratch_load_b32 v104, off, off offset:44
	v_cmp_lt_u32_e64 s1, 11, v0
	s_wait_loadcnt 0x0
	ds_store_b32 v1, v104
	s_wait_storecnt_dscnt 0x0
	s_barrier_signal -1
	s_barrier_wait -1
	s_wait_xcnt 0x0
	s_and_saveexec_b32 s8, s1
	s_cbranch_execz .LBB49_376
; %bb.367:
	s_and_not1_b32 vcc_lo, exec_lo, s3
	s_cbranch_vccnz .LBB49_369
; %bb.368:
	scratch_load_b32 v104, v7, off
	ds_load_b32 v105, v1
	s_wait_loadcnt_dscnt 0x0
	v_mul_f32_e32 v104, v104, v105
	s_cbranch_execz .LBB49_370
	s_branch .LBB49_371
.LBB49_369:
                                        ; implicit-def: $vgpr104
.LBB49_370:
	ds_load_b32 v104, v1
.LBB49_371:
	s_and_saveexec_b32 s9, s0
	s_cbranch_execz .LBB49_375
; %bb.372:
	v_add_nc_u32_e32 v105, -12, v0
	s_movk_i32 s10, 0x100
	s_mov_b32 s0, 0
.LBB49_373:                             ; =>This Inner Loop Header: Depth=1
	scratch_load_b32 v106, off, s5
	v_dual_mov_b32 v107, s10 :: v_dual_add_nc_u32 v105, -1, v105
	s_add_co_i32 s10, s10, 4
	s_wait_xcnt 0x0
	s_add_co_i32 s5, s5, 4
	ds_load_b32 v107, v107
	v_cmp_eq_u32_e32 vcc_lo, 0, v105
	s_or_b32 s0, vcc_lo, s0
	s_wait_loadcnt_dscnt 0x0
	v_fmac_f32_e32 v104, v106, v107
	s_and_not1_b32 exec_lo, exec_lo, s0
	s_cbranch_execnz .LBB49_373
; %bb.374:
	s_or_b32 exec_lo, exec_lo, s0
.LBB49_375:
	s_delay_alu instid0(SALU_CYCLE_1)
	s_or_b32 exec_lo, exec_lo, s9
	v_mov_b32_e32 v105, 0
	ds_load_b32 v105, v105 offset:44
	s_wait_dscnt 0x0
	v_mul_f32_e32 v104, v104, v105
	scratch_store_b32 off, v104, off offset:44
.LBB49_376:
	s_wait_xcnt 0x0
	s_or_b32 exec_lo, exec_lo, s8
	scratch_load_b32 v104, off, off offset:40
	v_cmp_lt_u32_e64 s0, 10, v0
	s_wait_loadcnt 0x0
	ds_store_b32 v1, v104
	s_wait_storecnt_dscnt 0x0
	s_barrier_signal -1
	s_barrier_wait -1
	s_wait_xcnt 0x0
	s_and_saveexec_b32 s5, s0
	s_cbranch_execz .LBB49_386
; %bb.377:
	s_and_not1_b32 vcc_lo, exec_lo, s3
	s_cbranch_vccnz .LBB49_379
; %bb.378:
	scratch_load_b32 v104, v7, off
	ds_load_b32 v105, v1
	s_wait_loadcnt_dscnt 0x0
	v_mul_f32_e32 v104, v104, v105
	s_cbranch_execz .LBB49_380
	s_branch .LBB49_381
.LBB49_379:
                                        ; implicit-def: $vgpr104
.LBB49_380:
	ds_load_b32 v104, v1
.LBB49_381:
	s_and_saveexec_b32 s8, s1
	s_cbranch_execz .LBB49_385
; %bb.382:
	v_add_nc_u32_e32 v105, -11, v0
	s_mov_b32 s1, 44
	s_movk_i32 s10, 0xfc
	s_mov_b32 s9, 0
.LBB49_383:                             ; =>This Inner Loop Header: Depth=1
	scratch_load_b32 v106, off, s1
	v_dual_mov_b32 v107, s10 :: v_dual_add_nc_u32 v105, -1, v105
	s_add_co_i32 s10, s10, 4
	s_wait_xcnt 0x0
	s_add_co_i32 s1, s1, 4
	ds_load_b32 v107, v107
	v_cmp_eq_u32_e32 vcc_lo, 0, v105
	s_or_b32 s9, vcc_lo, s9
	s_wait_loadcnt_dscnt 0x0
	v_fmac_f32_e32 v104, v106, v107
	s_and_not1_b32 exec_lo, exec_lo, s9
	s_cbranch_execnz .LBB49_383
; %bb.384:
	s_or_b32 exec_lo, exec_lo, s9
.LBB49_385:
	s_delay_alu instid0(SALU_CYCLE_1)
	s_or_b32 exec_lo, exec_lo, s8
	v_mov_b32_e32 v105, 0
	ds_load_b32 v105, v105 offset:40
	s_wait_dscnt 0x0
	v_mul_f32_e32 v104, v104, v105
	scratch_store_b32 off, v104, off offset:40
.LBB49_386:
	s_wait_xcnt 0x0
	s_or_b32 exec_lo, exec_lo, s5
	scratch_load_b32 v104, off, off offset:36
	v_cmp_lt_u32_e64 s1, 9, v0
	s_wait_loadcnt 0x0
	ds_store_b32 v1, v104
	s_wait_storecnt_dscnt 0x0
	s_barrier_signal -1
	s_barrier_wait -1
	s_wait_xcnt 0x0
	s_and_saveexec_b32 s5, s1
	s_cbranch_execz .LBB49_396
; %bb.387:
	s_and_not1_b32 vcc_lo, exec_lo, s3
	s_cbranch_vccnz .LBB49_389
; %bb.388:
	scratch_load_b32 v104, v7, off
	ds_load_b32 v105, v1
	s_wait_loadcnt_dscnt 0x0
	v_mul_f32_e32 v104, v104, v105
	s_cbranch_execz .LBB49_390
	s_branch .LBB49_391
.LBB49_389:
                                        ; implicit-def: $vgpr104
.LBB49_390:
	ds_load_b32 v104, v1
.LBB49_391:
	s_and_saveexec_b32 s8, s0
	s_cbranch_execz .LBB49_395
; %bb.392:
	v_add_nc_u32_e32 v105, -10, v0
	s_mov_b32 s0, 40
	s_movk_i32 s10, 0xf8
	s_mov_b32 s9, 0
.LBB49_393:                             ; =>This Inner Loop Header: Depth=1
	scratch_load_b32 v106, off, s0
	v_dual_mov_b32 v107, s10 :: v_dual_add_nc_u32 v105, -1, v105
	s_add_co_i32 s10, s10, 4
	s_wait_xcnt 0x0
	s_add_co_i32 s0, s0, 4
	ds_load_b32 v107, v107
	v_cmp_eq_u32_e32 vcc_lo, 0, v105
	s_or_b32 s9, vcc_lo, s9
	s_wait_loadcnt_dscnt 0x0
	v_fmac_f32_e32 v104, v106, v107
	s_and_not1_b32 exec_lo, exec_lo, s9
	s_cbranch_execnz .LBB49_393
; %bb.394:
	s_or_b32 exec_lo, exec_lo, s9
.LBB49_395:
	s_delay_alu instid0(SALU_CYCLE_1)
	s_or_b32 exec_lo, exec_lo, s8
	v_mov_b32_e32 v105, 0
	ds_load_b32 v105, v105 offset:36
	s_wait_dscnt 0x0
	v_mul_f32_e32 v104, v104, v105
	scratch_store_b32 off, v104, off offset:36
.LBB49_396:
	s_wait_xcnt 0x0
	s_or_b32 exec_lo, exec_lo, s5
	scratch_load_b32 v104, off, off offset:32
	v_cmp_lt_u32_e64 s0, 8, v0
	s_wait_loadcnt 0x0
	ds_store_b32 v1, v104
	s_wait_storecnt_dscnt 0x0
	s_barrier_signal -1
	s_barrier_wait -1
	s_wait_xcnt 0x0
	s_and_saveexec_b32 s5, s0
	s_cbranch_execz .LBB49_406
; %bb.397:
	s_and_not1_b32 vcc_lo, exec_lo, s3
	s_cbranch_vccnz .LBB49_399
; %bb.398:
	scratch_load_b32 v104, v7, off
	ds_load_b32 v105, v1
	s_wait_loadcnt_dscnt 0x0
	v_mul_f32_e32 v104, v104, v105
	s_cbranch_execz .LBB49_400
	s_branch .LBB49_401
.LBB49_399:
                                        ; implicit-def: $vgpr104
.LBB49_400:
	ds_load_b32 v104, v1
.LBB49_401:
	s_and_saveexec_b32 s8, s1
	s_cbranch_execz .LBB49_405
; %bb.402:
	v_add_nc_u32_e32 v105, -9, v0
	s_mov_b32 s1, 36
	s_movk_i32 s10, 0xf4
	s_mov_b32 s9, 0
.LBB49_403:                             ; =>This Inner Loop Header: Depth=1
	scratch_load_b32 v106, off, s1
	v_dual_mov_b32 v107, s10 :: v_dual_add_nc_u32 v105, -1, v105
	s_add_co_i32 s10, s10, 4
	s_wait_xcnt 0x0
	s_add_co_i32 s1, s1, 4
	ds_load_b32 v107, v107
	v_cmp_eq_u32_e32 vcc_lo, 0, v105
	s_or_b32 s9, vcc_lo, s9
	s_wait_loadcnt_dscnt 0x0
	v_fmac_f32_e32 v104, v106, v107
	s_and_not1_b32 exec_lo, exec_lo, s9
	s_cbranch_execnz .LBB49_403
; %bb.404:
	s_or_b32 exec_lo, exec_lo, s9
.LBB49_405:
	s_delay_alu instid0(SALU_CYCLE_1)
	s_or_b32 exec_lo, exec_lo, s8
	v_mov_b32_e32 v105, 0
	ds_load_b32 v105, v105 offset:32
	s_wait_dscnt 0x0
	v_mul_f32_e32 v104, v104, v105
	scratch_store_b32 off, v104, off offset:32
.LBB49_406:
	s_wait_xcnt 0x0
	s_or_b32 exec_lo, exec_lo, s5
	scratch_load_b32 v104, off, off offset:28
	v_cmp_lt_u32_e64 s1, 7, v0
	s_wait_loadcnt 0x0
	ds_store_b32 v1, v104
	s_wait_storecnt_dscnt 0x0
	s_barrier_signal -1
	s_barrier_wait -1
	s_wait_xcnt 0x0
	s_and_saveexec_b32 s5, s1
	s_cbranch_execz .LBB49_416
; %bb.407:
	s_and_not1_b32 vcc_lo, exec_lo, s3
	s_cbranch_vccnz .LBB49_409
; %bb.408:
	scratch_load_b32 v104, v7, off
	ds_load_b32 v105, v1
	s_wait_loadcnt_dscnt 0x0
	v_mul_f32_e32 v104, v104, v105
	s_cbranch_execz .LBB49_410
	s_branch .LBB49_411
.LBB49_409:
                                        ; implicit-def: $vgpr104
.LBB49_410:
	ds_load_b32 v104, v1
.LBB49_411:
	s_and_saveexec_b32 s8, s0
	s_cbranch_execz .LBB49_415
; %bb.412:
	v_add_nc_u32_e32 v105, -8, v0
	s_movk_i32 s9, 0xf0
	s_mov_b32 s0, 0
.LBB49_413:                             ; =>This Inner Loop Header: Depth=1
	scratch_load_b32 v106, off, s2
	v_dual_mov_b32 v107, s9 :: v_dual_add_nc_u32 v105, -1, v105
	s_add_co_i32 s9, s9, 4
	s_wait_xcnt 0x0
	s_add_co_i32 s2, s2, 4
	ds_load_b32 v107, v107
	v_cmp_eq_u32_e32 vcc_lo, 0, v105
	s_or_b32 s0, vcc_lo, s0
	s_wait_loadcnt_dscnt 0x0
	v_fmac_f32_e32 v104, v106, v107
	s_and_not1_b32 exec_lo, exec_lo, s0
	s_cbranch_execnz .LBB49_413
; %bb.414:
	s_or_b32 exec_lo, exec_lo, s0
.LBB49_415:
	s_delay_alu instid0(SALU_CYCLE_1)
	s_or_b32 exec_lo, exec_lo, s8
	v_mov_b32_e32 v105, 0
	ds_load_b32 v105, v105 offset:28
	s_wait_dscnt 0x0
	v_mul_f32_e32 v104, v104, v105
	scratch_store_b32 off, v104, off offset:28
.LBB49_416:
	s_wait_xcnt 0x0
	s_or_b32 exec_lo, exec_lo, s5
	scratch_load_b32 v104, off, off offset:24
	v_cmp_lt_u32_e64 s0, 6, v0
	s_wait_loadcnt 0x0
	ds_store_b32 v1, v104
	s_wait_storecnt_dscnt 0x0
	s_barrier_signal -1
	s_barrier_wait -1
	s_wait_xcnt 0x0
	s_and_saveexec_b32 s2, s0
	s_cbranch_execz .LBB49_426
; %bb.417:
	s_and_not1_b32 vcc_lo, exec_lo, s3
	s_cbranch_vccnz .LBB49_419
; %bb.418:
	scratch_load_b32 v104, v7, off
	ds_load_b32 v105, v1
	s_wait_loadcnt_dscnt 0x0
	v_mul_f32_e32 v104, v104, v105
	s_cbranch_execz .LBB49_420
	s_branch .LBB49_421
.LBB49_419:
                                        ; implicit-def: $vgpr104
.LBB49_420:
	ds_load_b32 v104, v1
.LBB49_421:
	s_and_saveexec_b32 s5, s1
	s_cbranch_execz .LBB49_425
; %bb.422:
	v_add_nc_u32_e32 v105, -7, v0
	s_mov_b32 s1, 28
	s_movk_i32 s9, 0xec
	s_mov_b32 s8, 0
.LBB49_423:                             ; =>This Inner Loop Header: Depth=1
	scratch_load_b32 v106, off, s1
	v_dual_mov_b32 v107, s9 :: v_dual_add_nc_u32 v105, -1, v105
	s_add_co_i32 s9, s9, 4
	s_wait_xcnt 0x0
	s_add_co_i32 s1, s1, 4
	ds_load_b32 v107, v107
	v_cmp_eq_u32_e32 vcc_lo, 0, v105
	s_or_b32 s8, vcc_lo, s8
	s_wait_loadcnt_dscnt 0x0
	v_fmac_f32_e32 v104, v106, v107
	s_and_not1_b32 exec_lo, exec_lo, s8
	s_cbranch_execnz .LBB49_423
; %bb.424:
	s_or_b32 exec_lo, exec_lo, s8
.LBB49_425:
	s_delay_alu instid0(SALU_CYCLE_1)
	s_or_b32 exec_lo, exec_lo, s5
	v_mov_b32_e32 v105, 0
	ds_load_b32 v105, v105 offset:24
	s_wait_dscnt 0x0
	v_mul_f32_e32 v104, v104, v105
	scratch_store_b32 off, v104, off offset:24
.LBB49_426:
	s_wait_xcnt 0x0
	s_or_b32 exec_lo, exec_lo, s2
	scratch_load_b32 v104, off, off offset:20
	v_cmp_lt_u32_e64 s1, 5, v0
	s_wait_loadcnt 0x0
	ds_store_b32 v1, v104
	s_wait_storecnt_dscnt 0x0
	s_barrier_signal -1
	s_barrier_wait -1
	s_wait_xcnt 0x0
	s_and_saveexec_b32 s2, s1
	s_cbranch_execz .LBB49_436
; %bb.427:
	s_and_not1_b32 vcc_lo, exec_lo, s3
	s_cbranch_vccnz .LBB49_429
; %bb.428:
	scratch_load_b32 v104, v7, off
	ds_load_b32 v105, v1
	s_wait_loadcnt_dscnt 0x0
	v_mul_f32_e32 v104, v104, v105
	s_cbranch_execz .LBB49_430
	s_branch .LBB49_431
.LBB49_429:
                                        ; implicit-def: $vgpr104
.LBB49_430:
	ds_load_b32 v104, v1
.LBB49_431:
	s_and_saveexec_b32 s5, s0
	s_cbranch_execz .LBB49_435
; %bb.432:
	v_add_nc_u32_e32 v105, -6, v0
	s_mov_b32 s0, 24
	s_movk_i32 s9, 0xe8
	s_mov_b32 s8, 0
.LBB49_433:                             ; =>This Inner Loop Header: Depth=1
	scratch_load_b32 v106, off, s0
	v_dual_mov_b32 v107, s9 :: v_dual_add_nc_u32 v105, -1, v105
	s_add_co_i32 s9, s9, 4
	s_wait_xcnt 0x0
	s_add_co_i32 s0, s0, 4
	ds_load_b32 v107, v107
	v_cmp_eq_u32_e32 vcc_lo, 0, v105
	s_or_b32 s8, vcc_lo, s8
	s_wait_loadcnt_dscnt 0x0
	v_fmac_f32_e32 v104, v106, v107
	s_and_not1_b32 exec_lo, exec_lo, s8
	s_cbranch_execnz .LBB49_433
; %bb.434:
	s_or_b32 exec_lo, exec_lo, s8
.LBB49_435:
	s_delay_alu instid0(SALU_CYCLE_1)
	s_or_b32 exec_lo, exec_lo, s5
	v_mov_b32_e32 v105, 0
	ds_load_b32 v105, v105 offset:20
	s_wait_dscnt 0x0
	v_mul_f32_e32 v104, v104, v105
	scratch_store_b32 off, v104, off offset:20
.LBB49_436:
	;; [unrolled: 58-line block ×3, first 2 shown]
	s_wait_xcnt 0x0
	s_or_b32 exec_lo, exec_lo, s2
	scratch_load_b32 v104, off, off offset:12
	v_cmp_lt_u32_e64 s2, 3, v0
	s_wait_loadcnt 0x0
	ds_store_b32 v1, v104
	s_wait_storecnt_dscnt 0x0
	s_barrier_signal -1
	s_barrier_wait -1
	s_wait_xcnt 0x0
	s_and_saveexec_b32 s1, s2
	s_cbranch_execz .LBB49_456
; %bb.447:
	s_and_not1_b32 vcc_lo, exec_lo, s3
	s_cbranch_vccnz .LBB49_449
; %bb.448:
	scratch_load_b32 v104, v7, off
	ds_load_b32 v105, v1
	s_wait_loadcnt_dscnt 0x0
	v_mul_f32_e32 v104, v104, v105
	s_cbranch_execz .LBB49_450
	s_branch .LBB49_451
.LBB49_449:
                                        ; implicit-def: $vgpr104
.LBB49_450:
	ds_load_b32 v104, v1
.LBB49_451:
	s_and_saveexec_b32 s5, s0
	s_cbranch_execz .LBB49_455
; %bb.452:
	v_add_nc_u32_e32 v105, -4, v0
	s_movk_i32 s8, 0xe0
	s_mov_b32 s0, 0
.LBB49_453:                             ; =>This Inner Loop Header: Depth=1
	scratch_load_b32 v106, off, s4
	v_dual_mov_b32 v107, s8 :: v_dual_add_nc_u32 v105, -1, v105
	s_add_co_i32 s8, s8, 4
	s_wait_xcnt 0x0
	s_add_co_i32 s4, s4, 4
	ds_load_b32 v107, v107
	v_cmp_eq_u32_e32 vcc_lo, 0, v105
	s_or_b32 s0, vcc_lo, s0
	s_wait_loadcnt_dscnt 0x0
	v_fmac_f32_e32 v104, v106, v107
	s_and_not1_b32 exec_lo, exec_lo, s0
	s_cbranch_execnz .LBB49_453
; %bb.454:
	s_or_b32 exec_lo, exec_lo, s0
.LBB49_455:
	s_delay_alu instid0(SALU_CYCLE_1)
	s_or_b32 exec_lo, exec_lo, s5
	v_mov_b32_e32 v105, 0
	ds_load_b32 v105, v105 offset:12
	s_wait_dscnt 0x0
	v_mul_f32_e32 v104, v104, v105
	scratch_store_b32 off, v104, off offset:12
.LBB49_456:
	s_wait_xcnt 0x0
	s_or_b32 exec_lo, exec_lo, s1
	scratch_load_b32 v104, off, off offset:8
	v_cmp_lt_u32_e64 s1, 2, v0
	s_wait_loadcnt 0x0
	ds_store_b32 v1, v104
	s_wait_storecnt_dscnt 0x0
	s_barrier_signal -1
	s_barrier_wait -1
	s_wait_xcnt 0x0
	s_and_saveexec_b32 s0, s1
	s_cbranch_execz .LBB49_466
; %bb.457:
	s_and_not1_b32 vcc_lo, exec_lo, s3
	s_cbranch_vccnz .LBB49_459
; %bb.458:
	scratch_load_b32 v104, v7, off
	ds_load_b32 v105, v1
	s_wait_loadcnt_dscnt 0x0
	v_mul_f32_e32 v104, v104, v105
	s_cbranch_execz .LBB49_460
	s_branch .LBB49_461
.LBB49_459:
                                        ; implicit-def: $vgpr104
.LBB49_460:
	ds_load_b32 v104, v1
.LBB49_461:
	s_and_saveexec_b32 s4, s2
	s_cbranch_execz .LBB49_465
; %bb.462:
	v_add_nc_u32_e32 v105, -3, v0
	s_or_b32 s2, 0, 12
	s_movk_i32 s8, 0xdc
	s_mov_b32 s5, 0
.LBB49_463:                             ; =>This Inner Loop Header: Depth=1
	scratch_load_b32 v106, off, s2
	v_dual_mov_b32 v107, s8 :: v_dual_add_nc_u32 v105, -1, v105
	s_add_co_i32 s8, s8, 4
	s_wait_xcnt 0x0
	s_add_co_i32 s2, s2, 4
	ds_load_b32 v107, v107
	v_cmp_eq_u32_e32 vcc_lo, 0, v105
	s_or_b32 s5, vcc_lo, s5
	s_wait_loadcnt_dscnt 0x0
	v_fmac_f32_e32 v104, v106, v107
	s_and_not1_b32 exec_lo, exec_lo, s5
	s_cbranch_execnz .LBB49_463
; %bb.464:
	s_or_b32 exec_lo, exec_lo, s5
.LBB49_465:
	s_delay_alu instid0(SALU_CYCLE_1)
	s_or_b32 exec_lo, exec_lo, s4
	v_mov_b32_e32 v105, 0
	ds_load_b32 v105, v105 offset:8
	s_wait_dscnt 0x0
	v_mul_f32_e32 v104, v104, v105
	scratch_store_b32 off, v104, off offset:8
.LBB49_466:
	s_wait_xcnt 0x0
	s_or_b32 exec_lo, exec_lo, s0
	scratch_load_b32 v104, off, off offset:4
	v_cmp_lt_u32_e64 s0, 1, v0
	s_wait_loadcnt 0x0
	ds_store_b32 v1, v104
	s_wait_storecnt_dscnt 0x0
	s_barrier_signal -1
	s_barrier_wait -1
	s_wait_xcnt 0x0
	s_and_saveexec_b32 s2, s0
	s_cbranch_execz .LBB49_476
; %bb.467:
	s_and_not1_b32 vcc_lo, exec_lo, s3
	s_cbranch_vccnz .LBB49_469
; %bb.468:
	scratch_load_b32 v104, v7, off
	ds_load_b32 v105, v1
	s_wait_loadcnt_dscnt 0x0
	v_mul_f32_e32 v104, v104, v105
	s_cbranch_execz .LBB49_470
	s_branch .LBB49_471
.LBB49_469:
                                        ; implicit-def: $vgpr104
.LBB49_470:
	ds_load_b32 v104, v1
.LBB49_471:
	s_and_saveexec_b32 s4, s1
	s_cbranch_execz .LBB49_475
; %bb.472:
	v_add_nc_u32_e32 v105, -2, v0
	s_or_b32 s1, 0, 8
	s_movk_i32 s8, 0xd8
	s_mov_b32 s5, 0
.LBB49_473:                             ; =>This Inner Loop Header: Depth=1
	scratch_load_b32 v106, off, s1
	v_dual_mov_b32 v107, s8 :: v_dual_add_nc_u32 v105, -1, v105
	s_add_co_i32 s8, s8, 4
	s_wait_xcnt 0x0
	s_add_co_i32 s1, s1, 4
	ds_load_b32 v107, v107
	v_cmp_eq_u32_e32 vcc_lo, 0, v105
	s_or_b32 s5, vcc_lo, s5
	s_wait_loadcnt_dscnt 0x0
	v_fmac_f32_e32 v104, v106, v107
	s_and_not1_b32 exec_lo, exec_lo, s5
	s_cbranch_execnz .LBB49_473
; %bb.474:
	s_or_b32 exec_lo, exec_lo, s5
.LBB49_475:
	s_delay_alu instid0(SALU_CYCLE_1)
	s_or_b32 exec_lo, exec_lo, s4
	v_mov_b32_e32 v105, 0
	ds_load_b32 v105, v105 offset:4
	s_wait_dscnt 0x0
	v_mul_f32_e32 v104, v104, v105
	scratch_store_b32 off, v104, off offset:4
.LBB49_476:
	s_wait_xcnt 0x0
	s_or_b32 exec_lo, exec_lo, s2
	scratch_load_b32 v104, off, off
	s_mov_b32 s1, 0
	s_mov_b32 s2, exec_lo
	s_wait_loadcnt 0x0
	ds_store_b32 v1, v104
	s_wait_storecnt_dscnt 0x0
	s_barrier_signal -1
	s_barrier_wait -1
	s_wait_xcnt 0x0
	v_cmpx_ne_u32_e32 0, v0
	s_cbranch_execz .LBB49_486
; %bb.477:
	s_and_not1_b32 vcc_lo, exec_lo, s3
	s_cbranch_vccnz .LBB49_479
; %bb.478:
	scratch_load_b32 v104, v7, off
	ds_load_b32 v105, v1
	s_wait_loadcnt_dscnt 0x0
	v_mul_f32_e32 v104, v104, v105
	s_cbranch_execz .LBB49_480
	s_branch .LBB49_481
.LBB49_479:
                                        ; implicit-def: $vgpr104
.LBB49_480:
	ds_load_b32 v104, v1
.LBB49_481:
	s_and_saveexec_b32 s4, s0
	s_cbranch_execz .LBB49_485
; %bb.482:
	v_add_nc_u32_e32 v105, -1, v0
	s_or_b32 s0, 0, 4
	s_movk_i32 s8, 0xd4
	s_mov_b32 s5, 0
.LBB49_483:                             ; =>This Inner Loop Header: Depth=1
	scratch_load_b32 v106, off, s0
	v_dual_mov_b32 v107, s8 :: v_dual_add_nc_u32 v105, -1, v105
	s_add_co_i32 s8, s8, 4
	s_wait_xcnt 0x0
	s_add_co_i32 s0, s0, 4
	ds_load_b32 v107, v107
	v_cmp_eq_u32_e32 vcc_lo, 0, v105
	s_or_b32 s5, vcc_lo, s5
	s_wait_loadcnt_dscnt 0x0
	v_fmac_f32_e32 v104, v106, v107
	s_and_not1_b32 exec_lo, exec_lo, s5
	s_cbranch_execnz .LBB49_483
; %bb.484:
	s_or_b32 exec_lo, exec_lo, s5
.LBB49_485:
	s_delay_alu instid0(SALU_CYCLE_1)
	s_or_b32 exec_lo, exec_lo, s4
	v_mov_b32_e32 v105, 0
	ds_load_b32 v105, v105
	s_wait_dscnt 0x0
	v_mul_f32_e32 v104, v104, v105
	scratch_store_b32 off, v104, off
.LBB49_486:
	s_wait_xcnt 0x0
	s_or_b32 exec_lo, exec_lo, s2
.LBB49_487:
	v_lshl_add_u64 v[126:127], v[8:9], 2, s[6:7]
	v_lshl_add_u64 v[128:129], v[10:11], 2, s[6:7]
	;; [unrolled: 1-line block ×48, first 2 shown]
	s_and_b32 vcc_lo, exec_lo, s1
	s_cbranch_vccz .LBB49_969
; %bb.488:
	scratch_load_b32 v78, off, off offset:4
	v_cmp_eq_u32_e64 s0, 0, v0
	s_wait_loadcnt 0x0
	ds_store_b32 v1, v78
	s_wait_storecnt_dscnt 0x0
	s_barrier_signal -1
	s_barrier_wait -1
	s_wait_xcnt 0x0
	s_and_saveexec_b32 s1, s0
	s_cbranch_execz .LBB49_494
; %bb.489:
	s_and_b32 vcc_lo, exec_lo, s3
	s_cbranch_vccz .LBB49_491
; %bb.490:
	scratch_load_b32 v78, v7, off
	ds_load_b32 v79, v1
	s_wait_loadcnt_dscnt 0x0
	v_mul_f32_e32 v78, v78, v79
	s_cbranch_execz .LBB49_492
	s_branch .LBB49_493
.LBB49_491:
                                        ; implicit-def: $vgpr78
.LBB49_492:
	ds_load_b32 v78, v1
.LBB49_493:
	v_mov_b32_e32 v79, 0
	ds_load_b32 v79, v79 offset:4
	s_wait_dscnt 0x0
	v_mul_f32_e32 v78, v78, v79
	scratch_store_b32 off, v78, off offset:4
.LBB49_494:
	s_wait_xcnt 0x0
	s_or_b32 exec_lo, exec_lo, s1
	scratch_load_b32 v79, off, off offset:8
	v_cndmask_b32_e64 v78, 0, 1, s3
	s_mov_b32 s1, exec_lo
	s_wait_loadcnt 0x0
	ds_store_b32 v1, v79
	s_wait_storecnt_dscnt 0x0
	s_barrier_signal -1
	s_barrier_wait -1
	s_wait_xcnt 0x0
	v_cmpx_gt_u32_e32 2, v0
	s_cbranch_execz .LBB49_500
; %bb.495:
	s_and_not1_b32 vcc_lo, exec_lo, s3
	s_cbranch_vccnz .LBB49_497
; %bb.496:
	scratch_load_b32 v79, v7, off
	ds_load_b32 v80, v1
	s_wait_loadcnt_dscnt 0x0
	v_mul_f32_e32 v79, v79, v80
	s_cbranch_execz .LBB49_498
	s_branch .LBB49_499
.LBB49_497:
                                        ; implicit-def: $vgpr79
.LBB49_498:
	ds_load_b32 v79, v1
.LBB49_499:
	scratch_load_b32 v82, off, off offset:4
	v_mov_b32_e32 v80, 0
	ds_load_2addr_b32 v[80:81], v80 offset0:2 offset1:53
	s_wait_loadcnt_dscnt 0x0
	v_fma_f32 v81, v82, v81, v79
	s_delay_alu instid0(VALU_DEP_1) | instskip(NEXT) | instid1(VALU_DEP_1)
	v_cndmask_b32_e64 v79, v79, v81, s0
	v_mul_f32_e32 v79, v79, v80
	scratch_store_b32 off, v79, off offset:8
.LBB49_500:
	s_wait_xcnt 0x0
	s_or_b32 exec_lo, exec_lo, s1
	scratch_load_b32 v79, off, off offset:12
	s_mov_b32 s1, exec_lo
	s_wait_loadcnt 0x0
	ds_store_b32 v1, v79
	s_wait_storecnt_dscnt 0x0
	s_barrier_signal -1
	s_barrier_wait -1
	s_wait_xcnt 0x0
	v_cmpx_gt_u32_e32 3, v0
	s_cbranch_execz .LBB49_508
; %bb.501:
	v_cmp_ne_u32_e32 vcc_lo, 1, v78
	s_cbranch_vccnz .LBB49_503
; %bb.502:
	scratch_load_b32 v79, v7, off
	ds_load_b32 v80, v1
	s_wait_loadcnt_dscnt 0x0
	v_mul_f32_e32 v79, v79, v80
	s_cbranch_execz .LBB49_504
	s_branch .LBB49_505
.LBB49_503:
                                        ; implicit-def: $vgpr79
.LBB49_504:
	ds_load_b32 v79, v1
.LBB49_505:
	s_mov_b32 s2, exec_lo
	v_cmpx_ne_u32_e32 2, v0
	s_cbranch_execz .LBB49_507
; %bb.506:
	scratch_load_b32 v80, v7, off offset:4
	scratch_load_b32 v81, off, off offset:8
	ds_load_b32 v82, v1 offset:4
	v_mov_b32_e32 v83, 0
	ds_load_b32 v83, v83 offset:216
	s_wait_loadcnt_dscnt 0x101
	v_fmac_f32_e32 v79, v80, v82
	s_wait_loadcnt_dscnt 0x0
	s_delay_alu instid0(VALU_DEP_1) | instskip(NEXT) | instid1(VALU_DEP_1)
	v_fma_f32 v80, v81, v83, v79
	v_cndmask_b32_e64 v79, v79, v80, s0
.LBB49_507:
	s_or_b32 exec_lo, exec_lo, s2
	v_mov_b32_e32 v80, 0
	ds_load_b32 v80, v80 offset:12
	s_wait_dscnt 0x0
	v_mul_f32_e32 v79, v79, v80
	scratch_store_b32 off, v79, off offset:12
.LBB49_508:
	s_wait_xcnt 0x0
	s_or_b32 exec_lo, exec_lo, s1
	scratch_load_b32 v79, off, off offset:16
	s_mov_b32 s0, exec_lo
	s_wait_loadcnt 0x0
	ds_store_b32 v1, v79
	s_wait_storecnt_dscnt 0x0
	s_barrier_signal -1
	s_barrier_wait -1
	s_wait_xcnt 0x0
	v_cmpx_gt_u32_e32 4, v0
	s_cbranch_execz .LBB49_518
; %bb.509:
	v_cmp_ne_u32_e32 vcc_lo, 1, v78
	s_cbranch_vccnz .LBB49_511
; %bb.510:
	scratch_load_b32 v79, v7, off
	ds_load_b32 v80, v1
	s_wait_loadcnt_dscnt 0x0
	v_mul_f32_e32 v79, v79, v80
	s_cbranch_execz .LBB49_512
	s_branch .LBB49_513
.LBB49_511:
                                        ; implicit-def: $vgpr79
.LBB49_512:
	ds_load_b32 v79, v1
.LBB49_513:
	s_mov_b32 s1, exec_lo
	v_cmpx_ne_u32_e32 3, v0
	s_cbranch_execz .LBB49_517
; %bb.514:
	v_add_nc_u32_e32 v80, 0xd4, v6
	v_add3_u32 v81, 0, v6, 4
	v_mov_b32_e32 v82, v0
	s_mov_b32 s2, 0
.LBB49_515:                             ; =>This Inner Loop Header: Depth=1
	scratch_load_b32 v83, v81, off
	ds_load_b32 v84, v80
	v_dual_add_nc_u32 v82, 1, v82 :: v_dual_add_nc_u32 v80, 4, v80
	s_wait_xcnt 0x0
	v_add_nc_u32_e32 v81, 4, v81
	s_delay_alu instid0(VALU_DEP_2)
	v_cmp_lt_u32_e32 vcc_lo, 2, v82
	s_or_b32 s2, vcc_lo, s2
	s_wait_loadcnt_dscnt 0x0
	v_fmac_f32_e32 v79, v83, v84
	s_and_not1_b32 exec_lo, exec_lo, s2
	s_cbranch_execnz .LBB49_515
; %bb.516:
	s_or_b32 exec_lo, exec_lo, s2
.LBB49_517:
	s_delay_alu instid0(SALU_CYCLE_1)
	s_or_b32 exec_lo, exec_lo, s1
	v_mov_b32_e32 v80, 0
	ds_load_b32 v80, v80 offset:16
	s_wait_dscnt 0x0
	v_mul_f32_e32 v79, v79, v80
	scratch_store_b32 off, v79, off offset:16
.LBB49_518:
	s_wait_xcnt 0x0
	s_or_b32 exec_lo, exec_lo, s0
	scratch_load_b32 v79, off, off offset:20
	s_mov_b32 s0, exec_lo
	s_wait_loadcnt 0x0
	ds_store_b32 v1, v79
	s_wait_storecnt_dscnt 0x0
	s_barrier_signal -1
	s_barrier_wait -1
	s_wait_xcnt 0x0
	v_cmpx_gt_u32_e32 5, v0
	s_cbranch_execz .LBB49_528
; %bb.519:
	v_cmp_ne_u32_e32 vcc_lo, 1, v78
	s_cbranch_vccnz .LBB49_521
; %bb.520:
	scratch_load_b32 v79, v7, off
	ds_load_b32 v80, v1
	s_wait_loadcnt_dscnt 0x0
	v_mul_f32_e32 v79, v79, v80
	s_cbranch_execz .LBB49_522
	s_branch .LBB49_523
.LBB49_521:
                                        ; implicit-def: $vgpr79
.LBB49_522:
	ds_load_b32 v79, v1
.LBB49_523:
	s_mov_b32 s1, exec_lo
	v_cmpx_ne_u32_e32 4, v0
	s_cbranch_execz .LBB49_527
; %bb.524:
	v_add_nc_u32_e32 v80, 0xd4, v6
	v_add3_u32 v81, 0, v6, 4
	v_mov_b32_e32 v82, v0
	s_mov_b32 s2, 0
.LBB49_525:                             ; =>This Inner Loop Header: Depth=1
	scratch_load_b32 v83, v81, off
	ds_load_b32 v84, v80
	v_dual_add_nc_u32 v82, 1, v82 :: v_dual_add_nc_u32 v80, 4, v80
	s_wait_xcnt 0x0
	v_add_nc_u32_e32 v81, 4, v81
	s_delay_alu instid0(VALU_DEP_2)
	v_cmp_lt_u32_e32 vcc_lo, 3, v82
	s_or_b32 s2, vcc_lo, s2
	s_wait_loadcnt_dscnt 0x0
	v_fmac_f32_e32 v79, v83, v84
	s_and_not1_b32 exec_lo, exec_lo, s2
	s_cbranch_execnz .LBB49_525
; %bb.526:
	s_or_b32 exec_lo, exec_lo, s2
.LBB49_527:
	s_delay_alu instid0(SALU_CYCLE_1)
	s_or_b32 exec_lo, exec_lo, s1
	v_mov_b32_e32 v80, 0
	ds_load_b32 v80, v80 offset:20
	s_wait_dscnt 0x0
	v_mul_f32_e32 v79, v79, v80
	scratch_store_b32 off, v79, off offset:20
.LBB49_528:
	s_wait_xcnt 0x0
	s_or_b32 exec_lo, exec_lo, s0
	scratch_load_b32 v79, off, off offset:24
	s_mov_b32 s0, exec_lo
	s_wait_loadcnt 0x0
	ds_store_b32 v1, v79
	s_wait_storecnt_dscnt 0x0
	s_barrier_signal -1
	s_barrier_wait -1
	s_wait_xcnt 0x0
	v_cmpx_gt_u32_e32 6, v0
	s_cbranch_execz .LBB49_538
; %bb.529:
	v_cmp_ne_u32_e32 vcc_lo, 1, v78
	s_cbranch_vccnz .LBB49_531
; %bb.530:
	scratch_load_b32 v79, v7, off
	ds_load_b32 v80, v1
	s_wait_loadcnt_dscnt 0x0
	v_mul_f32_e32 v79, v79, v80
	s_cbranch_execz .LBB49_532
	s_branch .LBB49_533
.LBB49_531:
                                        ; implicit-def: $vgpr79
.LBB49_532:
	ds_load_b32 v79, v1
.LBB49_533:
	s_mov_b32 s1, exec_lo
	v_cmpx_ne_u32_e32 5, v0
	s_cbranch_execz .LBB49_537
; %bb.534:
	v_add_nc_u32_e32 v80, 0xd4, v6
	v_add3_u32 v81, 0, v6, 4
	v_mov_b32_e32 v82, v0
	s_mov_b32 s2, 0
.LBB49_535:                             ; =>This Inner Loop Header: Depth=1
	scratch_load_b32 v83, v81, off
	ds_load_b32 v84, v80
	v_dual_add_nc_u32 v82, 1, v82 :: v_dual_add_nc_u32 v80, 4, v80
	s_wait_xcnt 0x0
	v_add_nc_u32_e32 v81, 4, v81
	s_delay_alu instid0(VALU_DEP_2)
	v_cmp_lt_u32_e32 vcc_lo, 4, v82
	s_or_b32 s2, vcc_lo, s2
	s_wait_loadcnt_dscnt 0x0
	v_fmac_f32_e32 v79, v83, v84
	s_and_not1_b32 exec_lo, exec_lo, s2
	s_cbranch_execnz .LBB49_535
; %bb.536:
	s_or_b32 exec_lo, exec_lo, s2
.LBB49_537:
	s_delay_alu instid0(SALU_CYCLE_1)
	s_or_b32 exec_lo, exec_lo, s1
	v_mov_b32_e32 v80, 0
	ds_load_b32 v80, v80 offset:24
	s_wait_dscnt 0x0
	v_mul_f32_e32 v79, v79, v80
	scratch_store_b32 off, v79, off offset:24
.LBB49_538:
	s_wait_xcnt 0x0
	s_or_b32 exec_lo, exec_lo, s0
	scratch_load_b32 v79, off, off offset:28
	s_mov_b32 s0, exec_lo
	s_wait_loadcnt 0x0
	ds_store_b32 v1, v79
	s_wait_storecnt_dscnt 0x0
	s_barrier_signal -1
	s_barrier_wait -1
	s_wait_xcnt 0x0
	v_cmpx_gt_u32_e32 7, v0
	s_cbranch_execz .LBB49_548
; %bb.539:
	v_cmp_ne_u32_e32 vcc_lo, 1, v78
	s_cbranch_vccnz .LBB49_541
; %bb.540:
	scratch_load_b32 v79, v7, off
	ds_load_b32 v80, v1
	s_wait_loadcnt_dscnt 0x0
	v_mul_f32_e32 v79, v79, v80
	s_cbranch_execz .LBB49_542
	s_branch .LBB49_543
.LBB49_541:
                                        ; implicit-def: $vgpr79
.LBB49_542:
	ds_load_b32 v79, v1
.LBB49_543:
	s_mov_b32 s1, exec_lo
	v_cmpx_ne_u32_e32 6, v0
	s_cbranch_execz .LBB49_547
; %bb.544:
	v_add_nc_u32_e32 v80, 0xd4, v6
	v_add3_u32 v81, 0, v6, 4
	v_mov_b32_e32 v82, v0
	s_mov_b32 s2, 0
.LBB49_545:                             ; =>This Inner Loop Header: Depth=1
	scratch_load_b32 v83, v81, off
	ds_load_b32 v84, v80
	v_dual_add_nc_u32 v82, 1, v82 :: v_dual_add_nc_u32 v80, 4, v80
	s_wait_xcnt 0x0
	v_add_nc_u32_e32 v81, 4, v81
	s_delay_alu instid0(VALU_DEP_2)
	v_cmp_lt_u32_e32 vcc_lo, 5, v82
	s_or_b32 s2, vcc_lo, s2
	s_wait_loadcnt_dscnt 0x0
	v_fmac_f32_e32 v79, v83, v84
	s_and_not1_b32 exec_lo, exec_lo, s2
	s_cbranch_execnz .LBB49_545
; %bb.546:
	s_or_b32 exec_lo, exec_lo, s2
.LBB49_547:
	s_delay_alu instid0(SALU_CYCLE_1)
	s_or_b32 exec_lo, exec_lo, s1
	v_mov_b32_e32 v80, 0
	ds_load_b32 v80, v80 offset:28
	s_wait_dscnt 0x0
	v_mul_f32_e32 v79, v79, v80
	scratch_store_b32 off, v79, off offset:28
.LBB49_548:
	s_wait_xcnt 0x0
	s_or_b32 exec_lo, exec_lo, s0
	scratch_load_b32 v79, off, off offset:32
	s_mov_b32 s0, exec_lo
	s_wait_loadcnt 0x0
	ds_store_b32 v1, v79
	s_wait_storecnt_dscnt 0x0
	s_barrier_signal -1
	s_barrier_wait -1
	s_wait_xcnt 0x0
	v_cmpx_gt_u32_e32 8, v0
	s_cbranch_execz .LBB49_558
; %bb.549:
	v_cmp_ne_u32_e32 vcc_lo, 1, v78
	s_cbranch_vccnz .LBB49_551
; %bb.550:
	scratch_load_b32 v79, v7, off
	ds_load_b32 v80, v1
	s_wait_loadcnt_dscnt 0x0
	v_mul_f32_e32 v79, v79, v80
	s_cbranch_execz .LBB49_552
	s_branch .LBB49_553
.LBB49_551:
                                        ; implicit-def: $vgpr79
.LBB49_552:
	ds_load_b32 v79, v1
.LBB49_553:
	s_mov_b32 s1, exec_lo
	v_cmpx_ne_u32_e32 7, v0
	s_cbranch_execz .LBB49_557
; %bb.554:
	v_add_nc_u32_e32 v80, 0xd4, v6
	v_add3_u32 v81, 0, v6, 4
	v_mov_b32_e32 v82, v0
	s_mov_b32 s2, 0
.LBB49_555:                             ; =>This Inner Loop Header: Depth=1
	scratch_load_b32 v83, v81, off
	ds_load_b32 v84, v80
	v_dual_add_nc_u32 v82, 1, v82 :: v_dual_add_nc_u32 v80, 4, v80
	s_wait_xcnt 0x0
	v_add_nc_u32_e32 v81, 4, v81
	s_delay_alu instid0(VALU_DEP_2)
	v_cmp_lt_u32_e32 vcc_lo, 6, v82
	s_or_b32 s2, vcc_lo, s2
	s_wait_loadcnt_dscnt 0x0
	v_fmac_f32_e32 v79, v83, v84
	s_and_not1_b32 exec_lo, exec_lo, s2
	s_cbranch_execnz .LBB49_555
; %bb.556:
	s_or_b32 exec_lo, exec_lo, s2
.LBB49_557:
	s_delay_alu instid0(SALU_CYCLE_1)
	s_or_b32 exec_lo, exec_lo, s1
	v_mov_b32_e32 v80, 0
	ds_load_b32 v80, v80 offset:32
	s_wait_dscnt 0x0
	v_mul_f32_e32 v79, v79, v80
	scratch_store_b32 off, v79, off offset:32
.LBB49_558:
	s_wait_xcnt 0x0
	s_or_b32 exec_lo, exec_lo, s0
	scratch_load_b32 v79, off, off offset:36
	s_mov_b32 s0, exec_lo
	s_wait_loadcnt 0x0
	ds_store_b32 v1, v79
	s_wait_storecnt_dscnt 0x0
	s_barrier_signal -1
	s_barrier_wait -1
	s_wait_xcnt 0x0
	v_cmpx_gt_u32_e32 9, v0
	s_cbranch_execz .LBB49_568
; %bb.559:
	v_cmp_ne_u32_e32 vcc_lo, 1, v78
	s_cbranch_vccnz .LBB49_561
; %bb.560:
	scratch_load_b32 v79, v7, off
	ds_load_b32 v80, v1
	s_wait_loadcnt_dscnt 0x0
	v_mul_f32_e32 v79, v79, v80
	s_cbranch_execz .LBB49_562
	s_branch .LBB49_563
.LBB49_561:
                                        ; implicit-def: $vgpr79
.LBB49_562:
	ds_load_b32 v79, v1
.LBB49_563:
	s_mov_b32 s1, exec_lo
	v_cmpx_ne_u32_e32 8, v0
	s_cbranch_execz .LBB49_567
; %bb.564:
	v_add_nc_u32_e32 v80, 0xd4, v6
	v_add3_u32 v81, 0, v6, 4
	v_mov_b32_e32 v82, v0
	s_mov_b32 s2, 0
.LBB49_565:                             ; =>This Inner Loop Header: Depth=1
	scratch_load_b32 v83, v81, off
	ds_load_b32 v84, v80
	v_dual_add_nc_u32 v82, 1, v82 :: v_dual_add_nc_u32 v80, 4, v80
	s_wait_xcnt 0x0
	v_add_nc_u32_e32 v81, 4, v81
	s_delay_alu instid0(VALU_DEP_2)
	v_cmp_lt_u32_e32 vcc_lo, 7, v82
	s_or_b32 s2, vcc_lo, s2
	s_wait_loadcnt_dscnt 0x0
	v_fmac_f32_e32 v79, v83, v84
	s_and_not1_b32 exec_lo, exec_lo, s2
	s_cbranch_execnz .LBB49_565
; %bb.566:
	s_or_b32 exec_lo, exec_lo, s2
.LBB49_567:
	s_delay_alu instid0(SALU_CYCLE_1)
	s_or_b32 exec_lo, exec_lo, s1
	v_mov_b32_e32 v80, 0
	ds_load_b32 v80, v80 offset:36
	s_wait_dscnt 0x0
	v_mul_f32_e32 v79, v79, v80
	scratch_store_b32 off, v79, off offset:36
.LBB49_568:
	s_wait_xcnt 0x0
	s_or_b32 exec_lo, exec_lo, s0
	scratch_load_b32 v79, off, off offset:40
	s_mov_b32 s0, exec_lo
	s_wait_loadcnt 0x0
	ds_store_b32 v1, v79
	s_wait_storecnt_dscnt 0x0
	s_barrier_signal -1
	s_barrier_wait -1
	s_wait_xcnt 0x0
	v_cmpx_gt_u32_e32 10, v0
	s_cbranch_execz .LBB49_578
; %bb.569:
	v_cmp_ne_u32_e32 vcc_lo, 1, v78
	s_cbranch_vccnz .LBB49_571
; %bb.570:
	scratch_load_b32 v79, v7, off
	ds_load_b32 v80, v1
	s_wait_loadcnt_dscnt 0x0
	v_mul_f32_e32 v79, v79, v80
	s_cbranch_execz .LBB49_572
	s_branch .LBB49_573
.LBB49_571:
                                        ; implicit-def: $vgpr79
.LBB49_572:
	ds_load_b32 v79, v1
.LBB49_573:
	s_mov_b32 s1, exec_lo
	v_cmpx_ne_u32_e32 9, v0
	s_cbranch_execz .LBB49_577
; %bb.574:
	v_add_nc_u32_e32 v80, 0xd4, v6
	v_add3_u32 v81, 0, v6, 4
	v_mov_b32_e32 v82, v0
	s_mov_b32 s2, 0
.LBB49_575:                             ; =>This Inner Loop Header: Depth=1
	scratch_load_b32 v83, v81, off
	ds_load_b32 v84, v80
	v_dual_add_nc_u32 v82, 1, v82 :: v_dual_add_nc_u32 v80, 4, v80
	s_wait_xcnt 0x0
	v_add_nc_u32_e32 v81, 4, v81
	s_delay_alu instid0(VALU_DEP_2)
	v_cmp_lt_u32_e32 vcc_lo, 8, v82
	s_or_b32 s2, vcc_lo, s2
	s_wait_loadcnt_dscnt 0x0
	v_fmac_f32_e32 v79, v83, v84
	s_and_not1_b32 exec_lo, exec_lo, s2
	s_cbranch_execnz .LBB49_575
; %bb.576:
	s_or_b32 exec_lo, exec_lo, s2
.LBB49_577:
	s_delay_alu instid0(SALU_CYCLE_1)
	s_or_b32 exec_lo, exec_lo, s1
	v_mov_b32_e32 v80, 0
	ds_load_b32 v80, v80 offset:40
	s_wait_dscnt 0x0
	v_mul_f32_e32 v79, v79, v80
	scratch_store_b32 off, v79, off offset:40
.LBB49_578:
	s_wait_xcnt 0x0
	s_or_b32 exec_lo, exec_lo, s0
	scratch_load_b32 v79, off, off offset:44
	s_mov_b32 s0, exec_lo
	s_wait_loadcnt 0x0
	ds_store_b32 v1, v79
	s_wait_storecnt_dscnt 0x0
	s_barrier_signal -1
	s_barrier_wait -1
	s_wait_xcnt 0x0
	v_cmpx_gt_u32_e32 11, v0
	s_cbranch_execz .LBB49_588
; %bb.579:
	v_cmp_ne_u32_e32 vcc_lo, 1, v78
	s_cbranch_vccnz .LBB49_581
; %bb.580:
	scratch_load_b32 v79, v7, off
	ds_load_b32 v80, v1
	s_wait_loadcnt_dscnt 0x0
	v_mul_f32_e32 v79, v79, v80
	s_cbranch_execz .LBB49_582
	s_branch .LBB49_583
.LBB49_581:
                                        ; implicit-def: $vgpr79
.LBB49_582:
	ds_load_b32 v79, v1
.LBB49_583:
	s_mov_b32 s1, exec_lo
	v_cmpx_ne_u32_e32 10, v0
	s_cbranch_execz .LBB49_587
; %bb.584:
	v_add_nc_u32_e32 v80, 0xd4, v6
	v_add3_u32 v81, 0, v6, 4
	v_mov_b32_e32 v82, v0
	s_mov_b32 s2, 0
.LBB49_585:                             ; =>This Inner Loop Header: Depth=1
	scratch_load_b32 v83, v81, off
	ds_load_b32 v84, v80
	v_dual_add_nc_u32 v82, 1, v82 :: v_dual_add_nc_u32 v80, 4, v80
	s_wait_xcnt 0x0
	v_add_nc_u32_e32 v81, 4, v81
	s_delay_alu instid0(VALU_DEP_2)
	v_cmp_lt_u32_e32 vcc_lo, 9, v82
	s_or_b32 s2, vcc_lo, s2
	s_wait_loadcnt_dscnt 0x0
	v_fmac_f32_e32 v79, v83, v84
	s_and_not1_b32 exec_lo, exec_lo, s2
	s_cbranch_execnz .LBB49_585
; %bb.586:
	s_or_b32 exec_lo, exec_lo, s2
.LBB49_587:
	s_delay_alu instid0(SALU_CYCLE_1)
	s_or_b32 exec_lo, exec_lo, s1
	v_mov_b32_e32 v80, 0
	ds_load_b32 v80, v80 offset:44
	s_wait_dscnt 0x0
	v_mul_f32_e32 v79, v79, v80
	scratch_store_b32 off, v79, off offset:44
.LBB49_588:
	s_wait_xcnt 0x0
	s_or_b32 exec_lo, exec_lo, s0
	scratch_load_b32 v79, off, off offset:48
	s_mov_b32 s0, exec_lo
	s_wait_loadcnt 0x0
	ds_store_b32 v1, v79
	s_wait_storecnt_dscnt 0x0
	s_barrier_signal -1
	s_barrier_wait -1
	s_wait_xcnt 0x0
	v_cmpx_gt_u32_e32 12, v0
	s_cbranch_execz .LBB49_598
; %bb.589:
	v_cmp_ne_u32_e32 vcc_lo, 1, v78
	s_cbranch_vccnz .LBB49_591
; %bb.590:
	scratch_load_b32 v79, v7, off
	ds_load_b32 v80, v1
	s_wait_loadcnt_dscnt 0x0
	v_mul_f32_e32 v79, v79, v80
	s_cbranch_execz .LBB49_592
	s_branch .LBB49_593
.LBB49_591:
                                        ; implicit-def: $vgpr79
.LBB49_592:
	ds_load_b32 v79, v1
.LBB49_593:
	s_mov_b32 s1, exec_lo
	v_cmpx_ne_u32_e32 11, v0
	s_cbranch_execz .LBB49_597
; %bb.594:
	v_add_nc_u32_e32 v80, 0xd4, v6
	v_add3_u32 v81, 0, v6, 4
	v_mov_b32_e32 v82, v0
	s_mov_b32 s2, 0
.LBB49_595:                             ; =>This Inner Loop Header: Depth=1
	scratch_load_b32 v83, v81, off
	ds_load_b32 v84, v80
	v_dual_add_nc_u32 v82, 1, v82 :: v_dual_add_nc_u32 v80, 4, v80
	s_wait_xcnt 0x0
	v_add_nc_u32_e32 v81, 4, v81
	s_delay_alu instid0(VALU_DEP_2)
	v_cmp_lt_u32_e32 vcc_lo, 10, v82
	s_or_b32 s2, vcc_lo, s2
	s_wait_loadcnt_dscnt 0x0
	v_fmac_f32_e32 v79, v83, v84
	s_and_not1_b32 exec_lo, exec_lo, s2
	s_cbranch_execnz .LBB49_595
; %bb.596:
	s_or_b32 exec_lo, exec_lo, s2
.LBB49_597:
	s_delay_alu instid0(SALU_CYCLE_1)
	s_or_b32 exec_lo, exec_lo, s1
	v_mov_b32_e32 v80, 0
	ds_load_b32 v80, v80 offset:48
	s_wait_dscnt 0x0
	v_mul_f32_e32 v79, v79, v80
	scratch_store_b32 off, v79, off offset:48
.LBB49_598:
	s_wait_xcnt 0x0
	s_or_b32 exec_lo, exec_lo, s0
	scratch_load_b32 v79, off, off offset:52
	s_mov_b32 s0, exec_lo
	s_wait_loadcnt 0x0
	ds_store_b32 v1, v79
	s_wait_storecnt_dscnt 0x0
	s_barrier_signal -1
	s_barrier_wait -1
	s_wait_xcnt 0x0
	v_cmpx_gt_u32_e32 13, v0
	s_cbranch_execz .LBB49_608
; %bb.599:
	v_cmp_ne_u32_e32 vcc_lo, 1, v78
	s_cbranch_vccnz .LBB49_601
; %bb.600:
	scratch_load_b32 v79, v7, off
	ds_load_b32 v80, v1
	s_wait_loadcnt_dscnt 0x0
	v_mul_f32_e32 v79, v79, v80
	s_cbranch_execz .LBB49_602
	s_branch .LBB49_603
.LBB49_601:
                                        ; implicit-def: $vgpr79
.LBB49_602:
	ds_load_b32 v79, v1
.LBB49_603:
	s_mov_b32 s1, exec_lo
	v_cmpx_ne_u32_e32 12, v0
	s_cbranch_execz .LBB49_607
; %bb.604:
	v_add_nc_u32_e32 v80, 0xd4, v6
	v_add3_u32 v81, 0, v6, 4
	v_mov_b32_e32 v82, v0
	s_mov_b32 s2, 0
.LBB49_605:                             ; =>This Inner Loop Header: Depth=1
	scratch_load_b32 v83, v81, off
	ds_load_b32 v84, v80
	v_dual_add_nc_u32 v82, 1, v82 :: v_dual_add_nc_u32 v80, 4, v80
	s_wait_xcnt 0x0
	v_add_nc_u32_e32 v81, 4, v81
	s_delay_alu instid0(VALU_DEP_2)
	v_cmp_lt_u32_e32 vcc_lo, 11, v82
	s_or_b32 s2, vcc_lo, s2
	s_wait_loadcnt_dscnt 0x0
	v_fmac_f32_e32 v79, v83, v84
	s_and_not1_b32 exec_lo, exec_lo, s2
	s_cbranch_execnz .LBB49_605
; %bb.606:
	s_or_b32 exec_lo, exec_lo, s2
.LBB49_607:
	s_delay_alu instid0(SALU_CYCLE_1)
	s_or_b32 exec_lo, exec_lo, s1
	v_mov_b32_e32 v80, 0
	ds_load_b32 v80, v80 offset:52
	s_wait_dscnt 0x0
	v_mul_f32_e32 v79, v79, v80
	scratch_store_b32 off, v79, off offset:52
.LBB49_608:
	s_wait_xcnt 0x0
	s_or_b32 exec_lo, exec_lo, s0
	scratch_load_b32 v79, off, off offset:56
	s_mov_b32 s0, exec_lo
	s_wait_loadcnt 0x0
	ds_store_b32 v1, v79
	s_wait_storecnt_dscnt 0x0
	s_barrier_signal -1
	s_barrier_wait -1
	s_wait_xcnt 0x0
	v_cmpx_gt_u32_e32 14, v0
	s_cbranch_execz .LBB49_618
; %bb.609:
	v_cmp_ne_u32_e32 vcc_lo, 1, v78
	s_cbranch_vccnz .LBB49_611
; %bb.610:
	scratch_load_b32 v79, v7, off
	ds_load_b32 v80, v1
	s_wait_loadcnt_dscnt 0x0
	v_mul_f32_e32 v79, v79, v80
	s_cbranch_execz .LBB49_612
	s_branch .LBB49_613
.LBB49_611:
                                        ; implicit-def: $vgpr79
.LBB49_612:
	ds_load_b32 v79, v1
.LBB49_613:
	s_mov_b32 s1, exec_lo
	v_cmpx_ne_u32_e32 13, v0
	s_cbranch_execz .LBB49_617
; %bb.614:
	v_add_nc_u32_e32 v80, 0xd4, v6
	v_add3_u32 v81, 0, v6, 4
	v_mov_b32_e32 v82, v0
	s_mov_b32 s2, 0
.LBB49_615:                             ; =>This Inner Loop Header: Depth=1
	scratch_load_b32 v83, v81, off
	ds_load_b32 v84, v80
	v_dual_add_nc_u32 v82, 1, v82 :: v_dual_add_nc_u32 v80, 4, v80
	s_wait_xcnt 0x0
	v_add_nc_u32_e32 v81, 4, v81
	s_delay_alu instid0(VALU_DEP_2)
	v_cmp_lt_u32_e32 vcc_lo, 12, v82
	s_or_b32 s2, vcc_lo, s2
	s_wait_loadcnt_dscnt 0x0
	v_fmac_f32_e32 v79, v83, v84
	s_and_not1_b32 exec_lo, exec_lo, s2
	s_cbranch_execnz .LBB49_615
; %bb.616:
	s_or_b32 exec_lo, exec_lo, s2
.LBB49_617:
	s_delay_alu instid0(SALU_CYCLE_1)
	s_or_b32 exec_lo, exec_lo, s1
	v_mov_b32_e32 v80, 0
	ds_load_b32 v80, v80 offset:56
	s_wait_dscnt 0x0
	v_mul_f32_e32 v79, v79, v80
	scratch_store_b32 off, v79, off offset:56
.LBB49_618:
	s_wait_xcnt 0x0
	s_or_b32 exec_lo, exec_lo, s0
	scratch_load_b32 v79, off, off offset:60
	s_mov_b32 s0, exec_lo
	s_wait_loadcnt 0x0
	ds_store_b32 v1, v79
	s_wait_storecnt_dscnt 0x0
	s_barrier_signal -1
	s_barrier_wait -1
	s_wait_xcnt 0x0
	v_cmpx_gt_u32_e32 15, v0
	s_cbranch_execz .LBB49_628
; %bb.619:
	v_cmp_ne_u32_e32 vcc_lo, 1, v78
	s_cbranch_vccnz .LBB49_621
; %bb.620:
	scratch_load_b32 v79, v7, off
	ds_load_b32 v80, v1
	s_wait_loadcnt_dscnt 0x0
	v_mul_f32_e32 v79, v79, v80
	s_cbranch_execz .LBB49_622
	s_branch .LBB49_623
.LBB49_621:
                                        ; implicit-def: $vgpr79
.LBB49_622:
	ds_load_b32 v79, v1
.LBB49_623:
	s_mov_b32 s1, exec_lo
	v_cmpx_ne_u32_e32 14, v0
	s_cbranch_execz .LBB49_627
; %bb.624:
	v_add_nc_u32_e32 v80, 0xd4, v6
	v_add3_u32 v81, 0, v6, 4
	v_mov_b32_e32 v82, v0
	s_mov_b32 s2, 0
.LBB49_625:                             ; =>This Inner Loop Header: Depth=1
	scratch_load_b32 v83, v81, off
	ds_load_b32 v84, v80
	v_dual_add_nc_u32 v82, 1, v82 :: v_dual_add_nc_u32 v80, 4, v80
	s_wait_xcnt 0x0
	v_add_nc_u32_e32 v81, 4, v81
	s_delay_alu instid0(VALU_DEP_2)
	v_cmp_lt_u32_e32 vcc_lo, 13, v82
	s_or_b32 s2, vcc_lo, s2
	s_wait_loadcnt_dscnt 0x0
	v_fmac_f32_e32 v79, v83, v84
	s_and_not1_b32 exec_lo, exec_lo, s2
	s_cbranch_execnz .LBB49_625
; %bb.626:
	s_or_b32 exec_lo, exec_lo, s2
.LBB49_627:
	s_delay_alu instid0(SALU_CYCLE_1)
	s_or_b32 exec_lo, exec_lo, s1
	v_mov_b32_e32 v80, 0
	ds_load_b32 v80, v80 offset:60
	s_wait_dscnt 0x0
	v_mul_f32_e32 v79, v79, v80
	scratch_store_b32 off, v79, off offset:60
.LBB49_628:
	s_wait_xcnt 0x0
	s_or_b32 exec_lo, exec_lo, s0
	scratch_load_b32 v79, off, off offset:64
	s_mov_b32 s0, exec_lo
	s_wait_loadcnt 0x0
	ds_store_b32 v1, v79
	s_wait_storecnt_dscnt 0x0
	s_barrier_signal -1
	s_barrier_wait -1
	s_wait_xcnt 0x0
	v_cmpx_gt_u32_e32 16, v0
	s_cbranch_execz .LBB49_638
; %bb.629:
	v_cmp_ne_u32_e32 vcc_lo, 1, v78
	s_cbranch_vccnz .LBB49_631
; %bb.630:
	scratch_load_b32 v79, v7, off
	ds_load_b32 v80, v1
	s_wait_loadcnt_dscnt 0x0
	v_mul_f32_e32 v79, v79, v80
	s_cbranch_execz .LBB49_632
	s_branch .LBB49_633
.LBB49_631:
                                        ; implicit-def: $vgpr79
.LBB49_632:
	ds_load_b32 v79, v1
.LBB49_633:
	s_mov_b32 s1, exec_lo
	v_cmpx_ne_u32_e32 15, v0
	s_cbranch_execz .LBB49_637
; %bb.634:
	v_add_nc_u32_e32 v80, 0xd4, v6
	v_add3_u32 v81, 0, v6, 4
	v_mov_b32_e32 v82, v0
	s_mov_b32 s2, 0
.LBB49_635:                             ; =>This Inner Loop Header: Depth=1
	scratch_load_b32 v83, v81, off
	ds_load_b32 v84, v80
	v_dual_add_nc_u32 v82, 1, v82 :: v_dual_add_nc_u32 v80, 4, v80
	s_wait_xcnt 0x0
	v_add_nc_u32_e32 v81, 4, v81
	s_delay_alu instid0(VALU_DEP_2)
	v_cmp_lt_u32_e32 vcc_lo, 14, v82
	s_or_b32 s2, vcc_lo, s2
	s_wait_loadcnt_dscnt 0x0
	v_fmac_f32_e32 v79, v83, v84
	s_and_not1_b32 exec_lo, exec_lo, s2
	s_cbranch_execnz .LBB49_635
; %bb.636:
	s_or_b32 exec_lo, exec_lo, s2
.LBB49_637:
	s_delay_alu instid0(SALU_CYCLE_1)
	s_or_b32 exec_lo, exec_lo, s1
	v_mov_b32_e32 v80, 0
	ds_load_b32 v80, v80 offset:64
	s_wait_dscnt 0x0
	v_mul_f32_e32 v79, v79, v80
	scratch_store_b32 off, v79, off offset:64
.LBB49_638:
	s_wait_xcnt 0x0
	s_or_b32 exec_lo, exec_lo, s0
	scratch_load_b32 v79, off, off offset:68
	s_mov_b32 s0, exec_lo
	s_wait_loadcnt 0x0
	ds_store_b32 v1, v79
	s_wait_storecnt_dscnt 0x0
	s_barrier_signal -1
	s_barrier_wait -1
	s_wait_xcnt 0x0
	v_cmpx_gt_u32_e32 17, v0
	s_cbranch_execz .LBB49_648
; %bb.639:
	v_cmp_ne_u32_e32 vcc_lo, 1, v78
	s_cbranch_vccnz .LBB49_641
; %bb.640:
	scratch_load_b32 v79, v7, off
	ds_load_b32 v80, v1
	s_wait_loadcnt_dscnt 0x0
	v_mul_f32_e32 v79, v79, v80
	s_cbranch_execz .LBB49_642
	s_branch .LBB49_643
.LBB49_641:
                                        ; implicit-def: $vgpr79
.LBB49_642:
	ds_load_b32 v79, v1
.LBB49_643:
	s_mov_b32 s1, exec_lo
	v_cmpx_ne_u32_e32 16, v0
	s_cbranch_execz .LBB49_647
; %bb.644:
	v_add_nc_u32_e32 v80, 0xd4, v6
	v_add3_u32 v81, 0, v6, 4
	v_mov_b32_e32 v82, v0
	s_mov_b32 s2, 0
.LBB49_645:                             ; =>This Inner Loop Header: Depth=1
	scratch_load_b32 v83, v81, off
	ds_load_b32 v84, v80
	v_dual_add_nc_u32 v82, 1, v82 :: v_dual_add_nc_u32 v80, 4, v80
	s_wait_xcnt 0x0
	v_add_nc_u32_e32 v81, 4, v81
	s_delay_alu instid0(VALU_DEP_2)
	v_cmp_lt_u32_e32 vcc_lo, 15, v82
	s_or_b32 s2, vcc_lo, s2
	s_wait_loadcnt_dscnt 0x0
	v_fmac_f32_e32 v79, v83, v84
	s_and_not1_b32 exec_lo, exec_lo, s2
	s_cbranch_execnz .LBB49_645
; %bb.646:
	s_or_b32 exec_lo, exec_lo, s2
.LBB49_647:
	s_delay_alu instid0(SALU_CYCLE_1)
	s_or_b32 exec_lo, exec_lo, s1
	v_mov_b32_e32 v80, 0
	ds_load_b32 v80, v80 offset:68
	s_wait_dscnt 0x0
	v_mul_f32_e32 v79, v79, v80
	scratch_store_b32 off, v79, off offset:68
.LBB49_648:
	s_wait_xcnt 0x0
	s_or_b32 exec_lo, exec_lo, s0
	scratch_load_b32 v79, off, off offset:72
	s_mov_b32 s0, exec_lo
	s_wait_loadcnt 0x0
	ds_store_b32 v1, v79
	s_wait_storecnt_dscnt 0x0
	s_barrier_signal -1
	s_barrier_wait -1
	s_wait_xcnt 0x0
	v_cmpx_gt_u32_e32 18, v0
	s_cbranch_execz .LBB49_658
; %bb.649:
	v_cmp_ne_u32_e32 vcc_lo, 1, v78
	s_cbranch_vccnz .LBB49_651
; %bb.650:
	scratch_load_b32 v79, v7, off
	ds_load_b32 v80, v1
	s_wait_loadcnt_dscnt 0x0
	v_mul_f32_e32 v79, v79, v80
	s_cbranch_execz .LBB49_652
	s_branch .LBB49_653
.LBB49_651:
                                        ; implicit-def: $vgpr79
.LBB49_652:
	ds_load_b32 v79, v1
.LBB49_653:
	s_mov_b32 s1, exec_lo
	v_cmpx_ne_u32_e32 17, v0
	s_cbranch_execz .LBB49_657
; %bb.654:
	v_add_nc_u32_e32 v80, 0xd4, v6
	v_add3_u32 v81, 0, v6, 4
	v_mov_b32_e32 v82, v0
	s_mov_b32 s2, 0
.LBB49_655:                             ; =>This Inner Loop Header: Depth=1
	scratch_load_b32 v83, v81, off
	ds_load_b32 v84, v80
	v_dual_add_nc_u32 v82, 1, v82 :: v_dual_add_nc_u32 v80, 4, v80
	s_wait_xcnt 0x0
	v_add_nc_u32_e32 v81, 4, v81
	s_delay_alu instid0(VALU_DEP_2)
	v_cmp_lt_u32_e32 vcc_lo, 16, v82
	s_or_b32 s2, vcc_lo, s2
	s_wait_loadcnt_dscnt 0x0
	v_fmac_f32_e32 v79, v83, v84
	s_and_not1_b32 exec_lo, exec_lo, s2
	s_cbranch_execnz .LBB49_655
; %bb.656:
	s_or_b32 exec_lo, exec_lo, s2
.LBB49_657:
	s_delay_alu instid0(SALU_CYCLE_1)
	s_or_b32 exec_lo, exec_lo, s1
	v_mov_b32_e32 v80, 0
	ds_load_b32 v80, v80 offset:72
	s_wait_dscnt 0x0
	v_mul_f32_e32 v79, v79, v80
	scratch_store_b32 off, v79, off offset:72
.LBB49_658:
	s_wait_xcnt 0x0
	s_or_b32 exec_lo, exec_lo, s0
	scratch_load_b32 v79, off, off offset:76
	s_mov_b32 s0, exec_lo
	s_wait_loadcnt 0x0
	ds_store_b32 v1, v79
	s_wait_storecnt_dscnt 0x0
	s_barrier_signal -1
	s_barrier_wait -1
	s_wait_xcnt 0x0
	v_cmpx_gt_u32_e32 19, v0
	s_cbranch_execz .LBB49_668
; %bb.659:
	v_cmp_ne_u32_e32 vcc_lo, 1, v78
	s_cbranch_vccnz .LBB49_661
; %bb.660:
	scratch_load_b32 v79, v7, off
	ds_load_b32 v80, v1
	s_wait_loadcnt_dscnt 0x0
	v_mul_f32_e32 v79, v79, v80
	s_cbranch_execz .LBB49_662
	s_branch .LBB49_663
.LBB49_661:
                                        ; implicit-def: $vgpr79
.LBB49_662:
	ds_load_b32 v79, v1
.LBB49_663:
	s_mov_b32 s1, exec_lo
	v_cmpx_ne_u32_e32 18, v0
	s_cbranch_execz .LBB49_667
; %bb.664:
	v_add_nc_u32_e32 v80, 0xd4, v6
	v_add3_u32 v81, 0, v6, 4
	v_mov_b32_e32 v82, v0
	s_mov_b32 s2, 0
.LBB49_665:                             ; =>This Inner Loop Header: Depth=1
	scratch_load_b32 v83, v81, off
	ds_load_b32 v84, v80
	v_dual_add_nc_u32 v82, 1, v82 :: v_dual_add_nc_u32 v80, 4, v80
	s_wait_xcnt 0x0
	v_add_nc_u32_e32 v81, 4, v81
	s_delay_alu instid0(VALU_DEP_2)
	v_cmp_lt_u32_e32 vcc_lo, 17, v82
	s_or_b32 s2, vcc_lo, s2
	s_wait_loadcnt_dscnt 0x0
	v_fmac_f32_e32 v79, v83, v84
	s_and_not1_b32 exec_lo, exec_lo, s2
	s_cbranch_execnz .LBB49_665
; %bb.666:
	s_or_b32 exec_lo, exec_lo, s2
.LBB49_667:
	s_delay_alu instid0(SALU_CYCLE_1)
	s_or_b32 exec_lo, exec_lo, s1
	v_mov_b32_e32 v80, 0
	ds_load_b32 v80, v80 offset:76
	s_wait_dscnt 0x0
	v_mul_f32_e32 v79, v79, v80
	scratch_store_b32 off, v79, off offset:76
.LBB49_668:
	s_wait_xcnt 0x0
	s_or_b32 exec_lo, exec_lo, s0
	scratch_load_b32 v79, off, off offset:80
	s_mov_b32 s0, exec_lo
	s_wait_loadcnt 0x0
	ds_store_b32 v1, v79
	s_wait_storecnt_dscnt 0x0
	s_barrier_signal -1
	s_barrier_wait -1
	s_wait_xcnt 0x0
	v_cmpx_gt_u32_e32 20, v0
	s_cbranch_execz .LBB49_678
; %bb.669:
	v_cmp_ne_u32_e32 vcc_lo, 1, v78
	s_cbranch_vccnz .LBB49_671
; %bb.670:
	scratch_load_b32 v79, v7, off
	ds_load_b32 v80, v1
	s_wait_loadcnt_dscnt 0x0
	v_mul_f32_e32 v79, v79, v80
	s_cbranch_execz .LBB49_672
	s_branch .LBB49_673
.LBB49_671:
                                        ; implicit-def: $vgpr79
.LBB49_672:
	ds_load_b32 v79, v1
.LBB49_673:
	s_mov_b32 s1, exec_lo
	v_cmpx_ne_u32_e32 19, v0
	s_cbranch_execz .LBB49_677
; %bb.674:
	v_add_nc_u32_e32 v80, 0xd4, v6
	v_add3_u32 v81, 0, v6, 4
	v_mov_b32_e32 v82, v0
	s_mov_b32 s2, 0
.LBB49_675:                             ; =>This Inner Loop Header: Depth=1
	scratch_load_b32 v83, v81, off
	ds_load_b32 v84, v80
	v_dual_add_nc_u32 v82, 1, v82 :: v_dual_add_nc_u32 v80, 4, v80
	s_wait_xcnt 0x0
	v_add_nc_u32_e32 v81, 4, v81
	s_delay_alu instid0(VALU_DEP_2)
	v_cmp_lt_u32_e32 vcc_lo, 18, v82
	s_or_b32 s2, vcc_lo, s2
	s_wait_loadcnt_dscnt 0x0
	v_fmac_f32_e32 v79, v83, v84
	s_and_not1_b32 exec_lo, exec_lo, s2
	s_cbranch_execnz .LBB49_675
; %bb.676:
	s_or_b32 exec_lo, exec_lo, s2
.LBB49_677:
	s_delay_alu instid0(SALU_CYCLE_1)
	s_or_b32 exec_lo, exec_lo, s1
	v_mov_b32_e32 v80, 0
	ds_load_b32 v80, v80 offset:80
	s_wait_dscnt 0x0
	v_mul_f32_e32 v79, v79, v80
	scratch_store_b32 off, v79, off offset:80
.LBB49_678:
	s_wait_xcnt 0x0
	s_or_b32 exec_lo, exec_lo, s0
	scratch_load_b32 v79, off, off offset:84
	s_mov_b32 s0, exec_lo
	s_wait_loadcnt 0x0
	ds_store_b32 v1, v79
	s_wait_storecnt_dscnt 0x0
	s_barrier_signal -1
	s_barrier_wait -1
	s_wait_xcnt 0x0
	v_cmpx_gt_u32_e32 21, v0
	s_cbranch_execz .LBB49_688
; %bb.679:
	v_cmp_ne_u32_e32 vcc_lo, 1, v78
	s_cbranch_vccnz .LBB49_681
; %bb.680:
	scratch_load_b32 v79, v7, off
	ds_load_b32 v80, v1
	s_wait_loadcnt_dscnt 0x0
	v_mul_f32_e32 v79, v79, v80
	s_cbranch_execz .LBB49_682
	s_branch .LBB49_683
.LBB49_681:
                                        ; implicit-def: $vgpr79
.LBB49_682:
	ds_load_b32 v79, v1
.LBB49_683:
	s_mov_b32 s1, exec_lo
	v_cmpx_ne_u32_e32 20, v0
	s_cbranch_execz .LBB49_687
; %bb.684:
	v_add_nc_u32_e32 v80, 0xd4, v6
	v_add3_u32 v81, 0, v6, 4
	v_mov_b32_e32 v82, v0
	s_mov_b32 s2, 0
.LBB49_685:                             ; =>This Inner Loop Header: Depth=1
	scratch_load_b32 v83, v81, off
	ds_load_b32 v84, v80
	v_dual_add_nc_u32 v82, 1, v82 :: v_dual_add_nc_u32 v80, 4, v80
	s_wait_xcnt 0x0
	v_add_nc_u32_e32 v81, 4, v81
	s_delay_alu instid0(VALU_DEP_2)
	v_cmp_lt_u32_e32 vcc_lo, 19, v82
	s_or_b32 s2, vcc_lo, s2
	s_wait_loadcnt_dscnt 0x0
	v_fmac_f32_e32 v79, v83, v84
	s_and_not1_b32 exec_lo, exec_lo, s2
	s_cbranch_execnz .LBB49_685
; %bb.686:
	s_or_b32 exec_lo, exec_lo, s2
.LBB49_687:
	s_delay_alu instid0(SALU_CYCLE_1)
	s_or_b32 exec_lo, exec_lo, s1
	v_mov_b32_e32 v80, 0
	ds_load_b32 v80, v80 offset:84
	s_wait_dscnt 0x0
	v_mul_f32_e32 v79, v79, v80
	scratch_store_b32 off, v79, off offset:84
.LBB49_688:
	s_wait_xcnt 0x0
	s_or_b32 exec_lo, exec_lo, s0
	scratch_load_b32 v79, off, off offset:88
	s_mov_b32 s0, exec_lo
	s_wait_loadcnt 0x0
	ds_store_b32 v1, v79
	s_wait_storecnt_dscnt 0x0
	s_barrier_signal -1
	s_barrier_wait -1
	s_wait_xcnt 0x0
	v_cmpx_gt_u32_e32 22, v0
	s_cbranch_execz .LBB49_698
; %bb.689:
	v_cmp_ne_u32_e32 vcc_lo, 1, v78
	s_cbranch_vccnz .LBB49_691
; %bb.690:
	scratch_load_b32 v79, v7, off
	ds_load_b32 v80, v1
	s_wait_loadcnt_dscnt 0x0
	v_mul_f32_e32 v79, v79, v80
	s_cbranch_execz .LBB49_692
	s_branch .LBB49_693
.LBB49_691:
                                        ; implicit-def: $vgpr79
.LBB49_692:
	ds_load_b32 v79, v1
.LBB49_693:
	s_mov_b32 s1, exec_lo
	v_cmpx_ne_u32_e32 21, v0
	s_cbranch_execz .LBB49_697
; %bb.694:
	v_add_nc_u32_e32 v80, 0xd4, v6
	v_add3_u32 v81, 0, v6, 4
	v_mov_b32_e32 v82, v0
	s_mov_b32 s2, 0
.LBB49_695:                             ; =>This Inner Loop Header: Depth=1
	scratch_load_b32 v83, v81, off
	ds_load_b32 v84, v80
	v_dual_add_nc_u32 v82, 1, v82 :: v_dual_add_nc_u32 v80, 4, v80
	s_wait_xcnt 0x0
	v_add_nc_u32_e32 v81, 4, v81
	s_delay_alu instid0(VALU_DEP_2)
	v_cmp_lt_u32_e32 vcc_lo, 20, v82
	s_or_b32 s2, vcc_lo, s2
	s_wait_loadcnt_dscnt 0x0
	v_fmac_f32_e32 v79, v83, v84
	s_and_not1_b32 exec_lo, exec_lo, s2
	s_cbranch_execnz .LBB49_695
; %bb.696:
	s_or_b32 exec_lo, exec_lo, s2
.LBB49_697:
	s_delay_alu instid0(SALU_CYCLE_1)
	s_or_b32 exec_lo, exec_lo, s1
	v_mov_b32_e32 v80, 0
	ds_load_b32 v80, v80 offset:88
	s_wait_dscnt 0x0
	v_mul_f32_e32 v79, v79, v80
	scratch_store_b32 off, v79, off offset:88
.LBB49_698:
	s_wait_xcnt 0x0
	s_or_b32 exec_lo, exec_lo, s0
	scratch_load_b32 v79, off, off offset:92
	s_mov_b32 s0, exec_lo
	s_wait_loadcnt 0x0
	ds_store_b32 v1, v79
	s_wait_storecnt_dscnt 0x0
	s_barrier_signal -1
	s_barrier_wait -1
	s_wait_xcnt 0x0
	v_cmpx_gt_u32_e32 23, v0
	s_cbranch_execz .LBB49_708
; %bb.699:
	v_cmp_ne_u32_e32 vcc_lo, 1, v78
	s_cbranch_vccnz .LBB49_701
; %bb.700:
	scratch_load_b32 v79, v7, off
	ds_load_b32 v80, v1
	s_wait_loadcnt_dscnt 0x0
	v_mul_f32_e32 v79, v79, v80
	s_cbranch_execz .LBB49_702
	s_branch .LBB49_703
.LBB49_701:
                                        ; implicit-def: $vgpr79
.LBB49_702:
	ds_load_b32 v79, v1
.LBB49_703:
	s_mov_b32 s1, exec_lo
	v_cmpx_ne_u32_e32 22, v0
	s_cbranch_execz .LBB49_707
; %bb.704:
	v_add_nc_u32_e32 v80, 0xd4, v6
	v_add3_u32 v81, 0, v6, 4
	v_mov_b32_e32 v82, v0
	s_mov_b32 s2, 0
.LBB49_705:                             ; =>This Inner Loop Header: Depth=1
	scratch_load_b32 v83, v81, off
	ds_load_b32 v84, v80
	v_dual_add_nc_u32 v82, 1, v82 :: v_dual_add_nc_u32 v80, 4, v80
	s_wait_xcnt 0x0
	v_add_nc_u32_e32 v81, 4, v81
	s_delay_alu instid0(VALU_DEP_2)
	v_cmp_lt_u32_e32 vcc_lo, 21, v82
	s_or_b32 s2, vcc_lo, s2
	s_wait_loadcnt_dscnt 0x0
	v_fmac_f32_e32 v79, v83, v84
	s_and_not1_b32 exec_lo, exec_lo, s2
	s_cbranch_execnz .LBB49_705
; %bb.706:
	s_or_b32 exec_lo, exec_lo, s2
.LBB49_707:
	s_delay_alu instid0(SALU_CYCLE_1)
	s_or_b32 exec_lo, exec_lo, s1
	v_mov_b32_e32 v80, 0
	ds_load_b32 v80, v80 offset:92
	s_wait_dscnt 0x0
	v_mul_f32_e32 v79, v79, v80
	scratch_store_b32 off, v79, off offset:92
.LBB49_708:
	s_wait_xcnt 0x0
	s_or_b32 exec_lo, exec_lo, s0
	scratch_load_b32 v79, off, off offset:96
	s_mov_b32 s0, exec_lo
	s_wait_loadcnt 0x0
	ds_store_b32 v1, v79
	s_wait_storecnt_dscnt 0x0
	s_barrier_signal -1
	s_barrier_wait -1
	s_wait_xcnt 0x0
	v_cmpx_gt_u32_e32 24, v0
	s_cbranch_execz .LBB49_718
; %bb.709:
	v_cmp_ne_u32_e32 vcc_lo, 1, v78
	s_cbranch_vccnz .LBB49_711
; %bb.710:
	scratch_load_b32 v79, v7, off
	ds_load_b32 v80, v1
	s_wait_loadcnt_dscnt 0x0
	v_mul_f32_e32 v79, v79, v80
	s_cbranch_execz .LBB49_712
	s_branch .LBB49_713
.LBB49_711:
                                        ; implicit-def: $vgpr79
.LBB49_712:
	ds_load_b32 v79, v1
.LBB49_713:
	s_mov_b32 s1, exec_lo
	v_cmpx_ne_u32_e32 23, v0
	s_cbranch_execz .LBB49_717
; %bb.714:
	v_add_nc_u32_e32 v80, 0xd4, v6
	v_add3_u32 v81, 0, v6, 4
	v_mov_b32_e32 v82, v0
	s_mov_b32 s2, 0
.LBB49_715:                             ; =>This Inner Loop Header: Depth=1
	scratch_load_b32 v83, v81, off
	ds_load_b32 v84, v80
	v_dual_add_nc_u32 v82, 1, v82 :: v_dual_add_nc_u32 v80, 4, v80
	s_wait_xcnt 0x0
	v_add_nc_u32_e32 v81, 4, v81
	s_delay_alu instid0(VALU_DEP_2)
	v_cmp_lt_u32_e32 vcc_lo, 22, v82
	s_or_b32 s2, vcc_lo, s2
	s_wait_loadcnt_dscnt 0x0
	v_fmac_f32_e32 v79, v83, v84
	s_and_not1_b32 exec_lo, exec_lo, s2
	s_cbranch_execnz .LBB49_715
; %bb.716:
	s_or_b32 exec_lo, exec_lo, s2
.LBB49_717:
	s_delay_alu instid0(SALU_CYCLE_1)
	s_or_b32 exec_lo, exec_lo, s1
	v_mov_b32_e32 v80, 0
	ds_load_b32 v80, v80 offset:96
	s_wait_dscnt 0x0
	v_mul_f32_e32 v79, v79, v80
	scratch_store_b32 off, v79, off offset:96
.LBB49_718:
	s_wait_xcnt 0x0
	s_or_b32 exec_lo, exec_lo, s0
	scratch_load_b32 v79, off, off offset:100
	s_mov_b32 s0, exec_lo
	s_wait_loadcnt 0x0
	ds_store_b32 v1, v79
	s_wait_storecnt_dscnt 0x0
	s_barrier_signal -1
	s_barrier_wait -1
	s_wait_xcnt 0x0
	v_cmpx_gt_u32_e32 25, v0
	s_cbranch_execz .LBB49_728
; %bb.719:
	v_cmp_ne_u32_e32 vcc_lo, 1, v78
	s_cbranch_vccnz .LBB49_721
; %bb.720:
	scratch_load_b32 v79, v7, off
	ds_load_b32 v80, v1
	s_wait_loadcnt_dscnt 0x0
	v_mul_f32_e32 v79, v79, v80
	s_cbranch_execz .LBB49_722
	s_branch .LBB49_723
.LBB49_721:
                                        ; implicit-def: $vgpr79
.LBB49_722:
	ds_load_b32 v79, v1
.LBB49_723:
	s_mov_b32 s1, exec_lo
	v_cmpx_ne_u32_e32 24, v0
	s_cbranch_execz .LBB49_727
; %bb.724:
	v_add_nc_u32_e32 v80, 0xd4, v6
	v_add3_u32 v81, 0, v6, 4
	v_mov_b32_e32 v82, v0
	s_mov_b32 s2, 0
.LBB49_725:                             ; =>This Inner Loop Header: Depth=1
	scratch_load_b32 v83, v81, off
	ds_load_b32 v84, v80
	v_dual_add_nc_u32 v82, 1, v82 :: v_dual_add_nc_u32 v80, 4, v80
	s_wait_xcnt 0x0
	v_add_nc_u32_e32 v81, 4, v81
	s_delay_alu instid0(VALU_DEP_2)
	v_cmp_lt_u32_e32 vcc_lo, 23, v82
	s_or_b32 s2, vcc_lo, s2
	s_wait_loadcnt_dscnt 0x0
	v_fmac_f32_e32 v79, v83, v84
	s_and_not1_b32 exec_lo, exec_lo, s2
	s_cbranch_execnz .LBB49_725
; %bb.726:
	s_or_b32 exec_lo, exec_lo, s2
.LBB49_727:
	s_delay_alu instid0(SALU_CYCLE_1)
	s_or_b32 exec_lo, exec_lo, s1
	v_mov_b32_e32 v80, 0
	ds_load_b32 v80, v80 offset:100
	s_wait_dscnt 0x0
	v_mul_f32_e32 v79, v79, v80
	scratch_store_b32 off, v79, off offset:100
.LBB49_728:
	s_wait_xcnt 0x0
	s_or_b32 exec_lo, exec_lo, s0
	scratch_load_b32 v79, off, off offset:104
	s_mov_b32 s0, exec_lo
	s_wait_loadcnt 0x0
	ds_store_b32 v1, v79
	s_wait_storecnt_dscnt 0x0
	s_barrier_signal -1
	s_barrier_wait -1
	s_wait_xcnt 0x0
	v_cmpx_gt_u32_e32 26, v0
	s_cbranch_execz .LBB49_738
; %bb.729:
	v_cmp_ne_u32_e32 vcc_lo, 1, v78
	s_cbranch_vccnz .LBB49_731
; %bb.730:
	scratch_load_b32 v79, v7, off
	ds_load_b32 v80, v1
	s_wait_loadcnt_dscnt 0x0
	v_mul_f32_e32 v79, v79, v80
	s_cbranch_execz .LBB49_732
	s_branch .LBB49_733
.LBB49_731:
                                        ; implicit-def: $vgpr79
.LBB49_732:
	ds_load_b32 v79, v1
.LBB49_733:
	s_mov_b32 s1, exec_lo
	v_cmpx_ne_u32_e32 25, v0
	s_cbranch_execz .LBB49_737
; %bb.734:
	v_add_nc_u32_e32 v80, 0xd4, v6
	v_add3_u32 v81, 0, v6, 4
	v_mov_b32_e32 v82, v0
	s_mov_b32 s2, 0
.LBB49_735:                             ; =>This Inner Loop Header: Depth=1
	scratch_load_b32 v83, v81, off
	ds_load_b32 v84, v80
	v_dual_add_nc_u32 v82, 1, v82 :: v_dual_add_nc_u32 v80, 4, v80
	s_wait_xcnt 0x0
	v_add_nc_u32_e32 v81, 4, v81
	s_delay_alu instid0(VALU_DEP_2)
	v_cmp_lt_u32_e32 vcc_lo, 24, v82
	s_or_b32 s2, vcc_lo, s2
	s_wait_loadcnt_dscnt 0x0
	v_fmac_f32_e32 v79, v83, v84
	s_and_not1_b32 exec_lo, exec_lo, s2
	s_cbranch_execnz .LBB49_735
; %bb.736:
	s_or_b32 exec_lo, exec_lo, s2
.LBB49_737:
	s_delay_alu instid0(SALU_CYCLE_1)
	s_or_b32 exec_lo, exec_lo, s1
	v_mov_b32_e32 v80, 0
	ds_load_b32 v80, v80 offset:104
	s_wait_dscnt 0x0
	v_mul_f32_e32 v79, v79, v80
	scratch_store_b32 off, v79, off offset:104
.LBB49_738:
	s_wait_xcnt 0x0
	s_or_b32 exec_lo, exec_lo, s0
	scratch_load_b32 v79, off, off offset:108
	s_mov_b32 s0, exec_lo
	s_wait_loadcnt 0x0
	ds_store_b32 v1, v79
	s_wait_storecnt_dscnt 0x0
	s_barrier_signal -1
	s_barrier_wait -1
	s_wait_xcnt 0x0
	v_cmpx_gt_u32_e32 27, v0
	s_cbranch_execz .LBB49_748
; %bb.739:
	v_cmp_ne_u32_e32 vcc_lo, 1, v78
	s_cbranch_vccnz .LBB49_741
; %bb.740:
	scratch_load_b32 v79, v7, off
	ds_load_b32 v80, v1
	s_wait_loadcnt_dscnt 0x0
	v_mul_f32_e32 v79, v79, v80
	s_cbranch_execz .LBB49_742
	s_branch .LBB49_743
.LBB49_741:
                                        ; implicit-def: $vgpr79
.LBB49_742:
	ds_load_b32 v79, v1
.LBB49_743:
	s_mov_b32 s1, exec_lo
	v_cmpx_ne_u32_e32 26, v0
	s_cbranch_execz .LBB49_747
; %bb.744:
	v_add_nc_u32_e32 v80, 0xd4, v6
	v_add3_u32 v81, 0, v6, 4
	v_mov_b32_e32 v82, v0
	s_mov_b32 s2, 0
.LBB49_745:                             ; =>This Inner Loop Header: Depth=1
	scratch_load_b32 v83, v81, off
	ds_load_b32 v84, v80
	v_dual_add_nc_u32 v82, 1, v82 :: v_dual_add_nc_u32 v80, 4, v80
	s_wait_xcnt 0x0
	v_add_nc_u32_e32 v81, 4, v81
	s_delay_alu instid0(VALU_DEP_2)
	v_cmp_lt_u32_e32 vcc_lo, 25, v82
	s_or_b32 s2, vcc_lo, s2
	s_wait_loadcnt_dscnt 0x0
	v_fmac_f32_e32 v79, v83, v84
	s_and_not1_b32 exec_lo, exec_lo, s2
	s_cbranch_execnz .LBB49_745
; %bb.746:
	s_or_b32 exec_lo, exec_lo, s2
.LBB49_747:
	s_delay_alu instid0(SALU_CYCLE_1)
	s_or_b32 exec_lo, exec_lo, s1
	v_mov_b32_e32 v80, 0
	ds_load_b32 v80, v80 offset:108
	s_wait_dscnt 0x0
	v_mul_f32_e32 v79, v79, v80
	scratch_store_b32 off, v79, off offset:108
.LBB49_748:
	s_wait_xcnt 0x0
	s_or_b32 exec_lo, exec_lo, s0
	scratch_load_b32 v79, off, off offset:112
	s_mov_b32 s0, exec_lo
	s_wait_loadcnt 0x0
	ds_store_b32 v1, v79
	s_wait_storecnt_dscnt 0x0
	s_barrier_signal -1
	s_barrier_wait -1
	s_wait_xcnt 0x0
	v_cmpx_gt_u32_e32 28, v0
	s_cbranch_execz .LBB49_758
; %bb.749:
	v_cmp_ne_u32_e32 vcc_lo, 1, v78
	s_cbranch_vccnz .LBB49_751
; %bb.750:
	scratch_load_b32 v79, v7, off
	ds_load_b32 v80, v1
	s_wait_loadcnt_dscnt 0x0
	v_mul_f32_e32 v79, v79, v80
	s_cbranch_execz .LBB49_752
	s_branch .LBB49_753
.LBB49_751:
                                        ; implicit-def: $vgpr79
.LBB49_752:
	ds_load_b32 v79, v1
.LBB49_753:
	s_mov_b32 s1, exec_lo
	v_cmpx_ne_u32_e32 27, v0
	s_cbranch_execz .LBB49_757
; %bb.754:
	v_add_nc_u32_e32 v80, 0xd4, v6
	v_add3_u32 v81, 0, v6, 4
	v_mov_b32_e32 v82, v0
	s_mov_b32 s2, 0
.LBB49_755:                             ; =>This Inner Loop Header: Depth=1
	scratch_load_b32 v83, v81, off
	ds_load_b32 v84, v80
	v_dual_add_nc_u32 v82, 1, v82 :: v_dual_add_nc_u32 v80, 4, v80
	s_wait_xcnt 0x0
	v_add_nc_u32_e32 v81, 4, v81
	s_delay_alu instid0(VALU_DEP_2)
	v_cmp_lt_u32_e32 vcc_lo, 26, v82
	s_or_b32 s2, vcc_lo, s2
	s_wait_loadcnt_dscnt 0x0
	v_fmac_f32_e32 v79, v83, v84
	s_and_not1_b32 exec_lo, exec_lo, s2
	s_cbranch_execnz .LBB49_755
; %bb.756:
	s_or_b32 exec_lo, exec_lo, s2
.LBB49_757:
	s_delay_alu instid0(SALU_CYCLE_1)
	s_or_b32 exec_lo, exec_lo, s1
	v_mov_b32_e32 v80, 0
	ds_load_b32 v80, v80 offset:112
	s_wait_dscnt 0x0
	v_mul_f32_e32 v79, v79, v80
	scratch_store_b32 off, v79, off offset:112
.LBB49_758:
	s_wait_xcnt 0x0
	s_or_b32 exec_lo, exec_lo, s0
	scratch_load_b32 v79, off, off offset:116
	s_mov_b32 s0, exec_lo
	s_wait_loadcnt 0x0
	ds_store_b32 v1, v79
	s_wait_storecnt_dscnt 0x0
	s_barrier_signal -1
	s_barrier_wait -1
	s_wait_xcnt 0x0
	v_cmpx_gt_u32_e32 29, v0
	s_cbranch_execz .LBB49_768
; %bb.759:
	v_cmp_ne_u32_e32 vcc_lo, 1, v78
	s_cbranch_vccnz .LBB49_761
; %bb.760:
	scratch_load_b32 v79, v7, off
	ds_load_b32 v80, v1
	s_wait_loadcnt_dscnt 0x0
	v_mul_f32_e32 v79, v79, v80
	s_cbranch_execz .LBB49_762
	s_branch .LBB49_763
.LBB49_761:
                                        ; implicit-def: $vgpr79
.LBB49_762:
	ds_load_b32 v79, v1
.LBB49_763:
	s_mov_b32 s1, exec_lo
	v_cmpx_ne_u32_e32 28, v0
	s_cbranch_execz .LBB49_767
; %bb.764:
	v_add_nc_u32_e32 v80, 0xd4, v6
	v_add3_u32 v81, 0, v6, 4
	v_mov_b32_e32 v82, v0
	s_mov_b32 s2, 0
.LBB49_765:                             ; =>This Inner Loop Header: Depth=1
	scratch_load_b32 v83, v81, off
	ds_load_b32 v84, v80
	v_dual_add_nc_u32 v82, 1, v82 :: v_dual_add_nc_u32 v80, 4, v80
	s_wait_xcnt 0x0
	v_add_nc_u32_e32 v81, 4, v81
	s_delay_alu instid0(VALU_DEP_2)
	v_cmp_lt_u32_e32 vcc_lo, 27, v82
	s_or_b32 s2, vcc_lo, s2
	s_wait_loadcnt_dscnt 0x0
	v_fmac_f32_e32 v79, v83, v84
	s_and_not1_b32 exec_lo, exec_lo, s2
	s_cbranch_execnz .LBB49_765
; %bb.766:
	s_or_b32 exec_lo, exec_lo, s2
.LBB49_767:
	s_delay_alu instid0(SALU_CYCLE_1)
	s_or_b32 exec_lo, exec_lo, s1
	v_mov_b32_e32 v80, 0
	ds_load_b32 v80, v80 offset:116
	s_wait_dscnt 0x0
	v_mul_f32_e32 v79, v79, v80
	scratch_store_b32 off, v79, off offset:116
.LBB49_768:
	s_wait_xcnt 0x0
	s_or_b32 exec_lo, exec_lo, s0
	scratch_load_b32 v79, off, off offset:120
	s_mov_b32 s0, exec_lo
	s_wait_loadcnt 0x0
	ds_store_b32 v1, v79
	s_wait_storecnt_dscnt 0x0
	s_barrier_signal -1
	s_barrier_wait -1
	s_wait_xcnt 0x0
	v_cmpx_gt_u32_e32 30, v0
	s_cbranch_execz .LBB49_778
; %bb.769:
	v_cmp_ne_u32_e32 vcc_lo, 1, v78
	s_cbranch_vccnz .LBB49_771
; %bb.770:
	scratch_load_b32 v79, v7, off
	ds_load_b32 v80, v1
	s_wait_loadcnt_dscnt 0x0
	v_mul_f32_e32 v79, v79, v80
	s_cbranch_execz .LBB49_772
	s_branch .LBB49_773
.LBB49_771:
                                        ; implicit-def: $vgpr79
.LBB49_772:
	ds_load_b32 v79, v1
.LBB49_773:
	s_mov_b32 s1, exec_lo
	v_cmpx_ne_u32_e32 29, v0
	s_cbranch_execz .LBB49_777
; %bb.774:
	v_add_nc_u32_e32 v80, 0xd4, v6
	v_add3_u32 v81, 0, v6, 4
	v_mov_b32_e32 v82, v0
	s_mov_b32 s2, 0
.LBB49_775:                             ; =>This Inner Loop Header: Depth=1
	scratch_load_b32 v83, v81, off
	ds_load_b32 v84, v80
	v_dual_add_nc_u32 v82, 1, v82 :: v_dual_add_nc_u32 v80, 4, v80
	s_wait_xcnt 0x0
	v_add_nc_u32_e32 v81, 4, v81
	s_delay_alu instid0(VALU_DEP_2)
	v_cmp_lt_u32_e32 vcc_lo, 28, v82
	s_or_b32 s2, vcc_lo, s2
	s_wait_loadcnt_dscnt 0x0
	v_fmac_f32_e32 v79, v83, v84
	s_and_not1_b32 exec_lo, exec_lo, s2
	s_cbranch_execnz .LBB49_775
; %bb.776:
	s_or_b32 exec_lo, exec_lo, s2
.LBB49_777:
	s_delay_alu instid0(SALU_CYCLE_1)
	s_or_b32 exec_lo, exec_lo, s1
	v_mov_b32_e32 v80, 0
	ds_load_b32 v80, v80 offset:120
	s_wait_dscnt 0x0
	v_mul_f32_e32 v79, v79, v80
	scratch_store_b32 off, v79, off offset:120
.LBB49_778:
	s_wait_xcnt 0x0
	s_or_b32 exec_lo, exec_lo, s0
	scratch_load_b32 v79, off, off offset:124
	s_mov_b32 s0, exec_lo
	s_wait_loadcnt 0x0
	ds_store_b32 v1, v79
	s_wait_storecnt_dscnt 0x0
	s_barrier_signal -1
	s_barrier_wait -1
	s_wait_xcnt 0x0
	v_cmpx_gt_u32_e32 31, v0
	s_cbranch_execz .LBB49_788
; %bb.779:
	v_cmp_ne_u32_e32 vcc_lo, 1, v78
	s_cbranch_vccnz .LBB49_781
; %bb.780:
	scratch_load_b32 v79, v7, off
	ds_load_b32 v80, v1
	s_wait_loadcnt_dscnt 0x0
	v_mul_f32_e32 v79, v79, v80
	s_cbranch_execz .LBB49_782
	s_branch .LBB49_783
.LBB49_781:
                                        ; implicit-def: $vgpr79
.LBB49_782:
	ds_load_b32 v79, v1
.LBB49_783:
	s_mov_b32 s1, exec_lo
	v_cmpx_ne_u32_e32 30, v0
	s_cbranch_execz .LBB49_787
; %bb.784:
	v_add_nc_u32_e32 v80, 0xd4, v6
	v_add3_u32 v81, 0, v6, 4
	v_mov_b32_e32 v82, v0
	s_mov_b32 s2, 0
.LBB49_785:                             ; =>This Inner Loop Header: Depth=1
	scratch_load_b32 v83, v81, off
	ds_load_b32 v84, v80
	v_dual_add_nc_u32 v82, 1, v82 :: v_dual_add_nc_u32 v80, 4, v80
	s_wait_xcnt 0x0
	v_add_nc_u32_e32 v81, 4, v81
	s_delay_alu instid0(VALU_DEP_2)
	v_cmp_lt_u32_e32 vcc_lo, 29, v82
	s_or_b32 s2, vcc_lo, s2
	s_wait_loadcnt_dscnt 0x0
	v_fmac_f32_e32 v79, v83, v84
	s_and_not1_b32 exec_lo, exec_lo, s2
	s_cbranch_execnz .LBB49_785
; %bb.786:
	s_or_b32 exec_lo, exec_lo, s2
.LBB49_787:
	s_delay_alu instid0(SALU_CYCLE_1)
	s_or_b32 exec_lo, exec_lo, s1
	v_mov_b32_e32 v80, 0
	ds_load_b32 v80, v80 offset:124
	s_wait_dscnt 0x0
	v_mul_f32_e32 v79, v79, v80
	scratch_store_b32 off, v79, off offset:124
.LBB49_788:
	s_wait_xcnt 0x0
	s_or_b32 exec_lo, exec_lo, s0
	scratch_load_b32 v79, off, off offset:128
	s_mov_b32 s0, exec_lo
	s_wait_loadcnt 0x0
	ds_store_b32 v1, v79
	s_wait_storecnt_dscnt 0x0
	s_barrier_signal -1
	s_barrier_wait -1
	s_wait_xcnt 0x0
	v_cmpx_gt_u32_e32 32, v0
	s_cbranch_execz .LBB49_798
; %bb.789:
	v_cmp_ne_u32_e32 vcc_lo, 1, v78
	s_cbranch_vccnz .LBB49_791
; %bb.790:
	scratch_load_b32 v79, v7, off
	ds_load_b32 v80, v1
	s_wait_loadcnt_dscnt 0x0
	v_mul_f32_e32 v79, v79, v80
	s_cbranch_execz .LBB49_792
	s_branch .LBB49_793
.LBB49_791:
                                        ; implicit-def: $vgpr79
.LBB49_792:
	ds_load_b32 v79, v1
.LBB49_793:
	s_mov_b32 s1, exec_lo
	v_cmpx_ne_u32_e32 31, v0
	s_cbranch_execz .LBB49_797
; %bb.794:
	v_add_nc_u32_e32 v80, 0xd4, v6
	v_add3_u32 v81, 0, v6, 4
	v_mov_b32_e32 v82, v0
	s_mov_b32 s2, 0
.LBB49_795:                             ; =>This Inner Loop Header: Depth=1
	scratch_load_b32 v83, v81, off
	ds_load_b32 v84, v80
	v_dual_add_nc_u32 v82, 1, v82 :: v_dual_add_nc_u32 v80, 4, v80
	s_wait_xcnt 0x0
	v_add_nc_u32_e32 v81, 4, v81
	s_delay_alu instid0(VALU_DEP_2)
	v_cmp_lt_u32_e32 vcc_lo, 30, v82
	s_or_b32 s2, vcc_lo, s2
	s_wait_loadcnt_dscnt 0x0
	v_fmac_f32_e32 v79, v83, v84
	s_and_not1_b32 exec_lo, exec_lo, s2
	s_cbranch_execnz .LBB49_795
; %bb.796:
	s_or_b32 exec_lo, exec_lo, s2
.LBB49_797:
	s_delay_alu instid0(SALU_CYCLE_1)
	s_or_b32 exec_lo, exec_lo, s1
	v_mov_b32_e32 v80, 0
	ds_load_b32 v80, v80 offset:128
	s_wait_dscnt 0x0
	v_mul_f32_e32 v79, v79, v80
	scratch_store_b32 off, v79, off offset:128
.LBB49_798:
	s_wait_xcnt 0x0
	s_or_b32 exec_lo, exec_lo, s0
	scratch_load_b32 v79, off, off offset:132
	s_mov_b32 s0, exec_lo
	s_wait_loadcnt 0x0
	ds_store_b32 v1, v79
	s_wait_storecnt_dscnt 0x0
	s_barrier_signal -1
	s_barrier_wait -1
	s_wait_xcnt 0x0
	v_cmpx_gt_u32_e32 33, v0
	s_cbranch_execz .LBB49_808
; %bb.799:
	v_cmp_ne_u32_e32 vcc_lo, 1, v78
	s_cbranch_vccnz .LBB49_801
; %bb.800:
	scratch_load_b32 v79, v7, off
	ds_load_b32 v80, v1
	s_wait_loadcnt_dscnt 0x0
	v_mul_f32_e32 v79, v79, v80
	s_cbranch_execz .LBB49_802
	s_branch .LBB49_803
.LBB49_801:
                                        ; implicit-def: $vgpr79
.LBB49_802:
	ds_load_b32 v79, v1
.LBB49_803:
	s_mov_b32 s1, exec_lo
	v_cmpx_ne_u32_e32 32, v0
	s_cbranch_execz .LBB49_807
; %bb.804:
	v_add_nc_u32_e32 v80, 0xd4, v6
	v_add3_u32 v81, 0, v6, 4
	v_mov_b32_e32 v82, v0
	s_mov_b32 s2, 0
.LBB49_805:                             ; =>This Inner Loop Header: Depth=1
	scratch_load_b32 v83, v81, off
	ds_load_b32 v84, v80
	v_dual_add_nc_u32 v82, 1, v82 :: v_dual_add_nc_u32 v80, 4, v80
	s_wait_xcnt 0x0
	v_add_nc_u32_e32 v81, 4, v81
	s_delay_alu instid0(VALU_DEP_2)
	v_cmp_lt_u32_e32 vcc_lo, 31, v82
	s_or_b32 s2, vcc_lo, s2
	s_wait_loadcnt_dscnt 0x0
	v_fmac_f32_e32 v79, v83, v84
	s_and_not1_b32 exec_lo, exec_lo, s2
	s_cbranch_execnz .LBB49_805
; %bb.806:
	s_or_b32 exec_lo, exec_lo, s2
.LBB49_807:
	s_delay_alu instid0(SALU_CYCLE_1)
	s_or_b32 exec_lo, exec_lo, s1
	v_mov_b32_e32 v80, 0
	ds_load_b32 v80, v80 offset:132
	s_wait_dscnt 0x0
	v_mul_f32_e32 v79, v79, v80
	scratch_store_b32 off, v79, off offset:132
.LBB49_808:
	s_wait_xcnt 0x0
	s_or_b32 exec_lo, exec_lo, s0
	scratch_load_b32 v79, off, off offset:136
	s_mov_b32 s0, exec_lo
	s_wait_loadcnt 0x0
	ds_store_b32 v1, v79
	s_wait_storecnt_dscnt 0x0
	s_barrier_signal -1
	s_barrier_wait -1
	s_wait_xcnt 0x0
	v_cmpx_gt_u32_e32 34, v0
	s_cbranch_execz .LBB49_818
; %bb.809:
	v_cmp_ne_u32_e32 vcc_lo, 1, v78
	s_cbranch_vccnz .LBB49_811
; %bb.810:
	scratch_load_b32 v79, v7, off
	ds_load_b32 v80, v1
	s_wait_loadcnt_dscnt 0x0
	v_mul_f32_e32 v79, v79, v80
	s_cbranch_execz .LBB49_812
	s_branch .LBB49_813
.LBB49_811:
                                        ; implicit-def: $vgpr79
.LBB49_812:
	ds_load_b32 v79, v1
.LBB49_813:
	s_mov_b32 s1, exec_lo
	v_cmpx_ne_u32_e32 33, v0
	s_cbranch_execz .LBB49_817
; %bb.814:
	v_add_nc_u32_e32 v80, 0xd4, v6
	v_add3_u32 v81, 0, v6, 4
	v_mov_b32_e32 v82, v0
	s_mov_b32 s2, 0
.LBB49_815:                             ; =>This Inner Loop Header: Depth=1
	scratch_load_b32 v83, v81, off
	ds_load_b32 v84, v80
	v_dual_add_nc_u32 v82, 1, v82 :: v_dual_add_nc_u32 v80, 4, v80
	s_wait_xcnt 0x0
	v_add_nc_u32_e32 v81, 4, v81
	s_delay_alu instid0(VALU_DEP_2)
	v_cmp_lt_u32_e32 vcc_lo, 32, v82
	s_or_b32 s2, vcc_lo, s2
	s_wait_loadcnt_dscnt 0x0
	v_fmac_f32_e32 v79, v83, v84
	s_and_not1_b32 exec_lo, exec_lo, s2
	s_cbranch_execnz .LBB49_815
; %bb.816:
	s_or_b32 exec_lo, exec_lo, s2
.LBB49_817:
	s_delay_alu instid0(SALU_CYCLE_1)
	s_or_b32 exec_lo, exec_lo, s1
	v_mov_b32_e32 v80, 0
	ds_load_b32 v80, v80 offset:136
	s_wait_dscnt 0x0
	v_mul_f32_e32 v79, v79, v80
	scratch_store_b32 off, v79, off offset:136
.LBB49_818:
	s_wait_xcnt 0x0
	s_or_b32 exec_lo, exec_lo, s0
	scratch_load_b32 v79, off, off offset:140
	s_mov_b32 s0, exec_lo
	s_wait_loadcnt 0x0
	ds_store_b32 v1, v79
	s_wait_storecnt_dscnt 0x0
	s_barrier_signal -1
	s_barrier_wait -1
	s_wait_xcnt 0x0
	v_cmpx_gt_u32_e32 35, v0
	s_cbranch_execz .LBB49_828
; %bb.819:
	v_cmp_ne_u32_e32 vcc_lo, 1, v78
	s_cbranch_vccnz .LBB49_821
; %bb.820:
	scratch_load_b32 v79, v7, off
	ds_load_b32 v80, v1
	s_wait_loadcnt_dscnt 0x0
	v_mul_f32_e32 v79, v79, v80
	s_cbranch_execz .LBB49_822
	s_branch .LBB49_823
.LBB49_821:
                                        ; implicit-def: $vgpr79
.LBB49_822:
	ds_load_b32 v79, v1
.LBB49_823:
	s_mov_b32 s1, exec_lo
	v_cmpx_ne_u32_e32 34, v0
	s_cbranch_execz .LBB49_827
; %bb.824:
	v_add_nc_u32_e32 v80, 0xd4, v6
	v_add3_u32 v81, 0, v6, 4
	v_mov_b32_e32 v82, v0
	s_mov_b32 s2, 0
.LBB49_825:                             ; =>This Inner Loop Header: Depth=1
	scratch_load_b32 v83, v81, off
	ds_load_b32 v84, v80
	v_dual_add_nc_u32 v82, 1, v82 :: v_dual_add_nc_u32 v80, 4, v80
	s_wait_xcnt 0x0
	v_add_nc_u32_e32 v81, 4, v81
	s_delay_alu instid0(VALU_DEP_2)
	v_cmp_lt_u32_e32 vcc_lo, 33, v82
	s_or_b32 s2, vcc_lo, s2
	s_wait_loadcnt_dscnt 0x0
	v_fmac_f32_e32 v79, v83, v84
	s_and_not1_b32 exec_lo, exec_lo, s2
	s_cbranch_execnz .LBB49_825
; %bb.826:
	s_or_b32 exec_lo, exec_lo, s2
.LBB49_827:
	s_delay_alu instid0(SALU_CYCLE_1)
	s_or_b32 exec_lo, exec_lo, s1
	v_mov_b32_e32 v80, 0
	ds_load_b32 v80, v80 offset:140
	s_wait_dscnt 0x0
	v_mul_f32_e32 v79, v79, v80
	scratch_store_b32 off, v79, off offset:140
.LBB49_828:
	s_wait_xcnt 0x0
	s_or_b32 exec_lo, exec_lo, s0
	scratch_load_b32 v79, off, off offset:144
	s_mov_b32 s0, exec_lo
	s_wait_loadcnt 0x0
	ds_store_b32 v1, v79
	s_wait_storecnt_dscnt 0x0
	s_barrier_signal -1
	s_barrier_wait -1
	s_wait_xcnt 0x0
	v_cmpx_gt_u32_e32 36, v0
	s_cbranch_execz .LBB49_838
; %bb.829:
	v_cmp_ne_u32_e32 vcc_lo, 1, v78
	s_cbranch_vccnz .LBB49_831
; %bb.830:
	scratch_load_b32 v79, v7, off
	ds_load_b32 v80, v1
	s_wait_loadcnt_dscnt 0x0
	v_mul_f32_e32 v79, v79, v80
	s_cbranch_execz .LBB49_832
	s_branch .LBB49_833
.LBB49_831:
                                        ; implicit-def: $vgpr79
.LBB49_832:
	ds_load_b32 v79, v1
.LBB49_833:
	s_mov_b32 s1, exec_lo
	v_cmpx_ne_u32_e32 35, v0
	s_cbranch_execz .LBB49_837
; %bb.834:
	v_add_nc_u32_e32 v80, 0xd4, v6
	v_add3_u32 v81, 0, v6, 4
	v_mov_b32_e32 v82, v0
	s_mov_b32 s2, 0
.LBB49_835:                             ; =>This Inner Loop Header: Depth=1
	scratch_load_b32 v83, v81, off
	ds_load_b32 v84, v80
	v_dual_add_nc_u32 v82, 1, v82 :: v_dual_add_nc_u32 v80, 4, v80
	s_wait_xcnt 0x0
	v_add_nc_u32_e32 v81, 4, v81
	s_delay_alu instid0(VALU_DEP_2)
	v_cmp_lt_u32_e32 vcc_lo, 34, v82
	s_or_b32 s2, vcc_lo, s2
	s_wait_loadcnt_dscnt 0x0
	v_fmac_f32_e32 v79, v83, v84
	s_and_not1_b32 exec_lo, exec_lo, s2
	s_cbranch_execnz .LBB49_835
; %bb.836:
	s_or_b32 exec_lo, exec_lo, s2
.LBB49_837:
	s_delay_alu instid0(SALU_CYCLE_1)
	s_or_b32 exec_lo, exec_lo, s1
	v_mov_b32_e32 v80, 0
	ds_load_b32 v80, v80 offset:144
	s_wait_dscnt 0x0
	v_mul_f32_e32 v79, v79, v80
	scratch_store_b32 off, v79, off offset:144
.LBB49_838:
	s_wait_xcnt 0x0
	s_or_b32 exec_lo, exec_lo, s0
	scratch_load_b32 v79, off, off offset:148
	s_mov_b32 s0, exec_lo
	s_wait_loadcnt 0x0
	ds_store_b32 v1, v79
	s_wait_storecnt_dscnt 0x0
	s_barrier_signal -1
	s_barrier_wait -1
	s_wait_xcnt 0x0
	v_cmpx_gt_u32_e32 37, v0
	s_cbranch_execz .LBB49_848
; %bb.839:
	v_cmp_ne_u32_e32 vcc_lo, 1, v78
	s_cbranch_vccnz .LBB49_841
; %bb.840:
	scratch_load_b32 v79, v7, off
	ds_load_b32 v80, v1
	s_wait_loadcnt_dscnt 0x0
	v_mul_f32_e32 v79, v79, v80
	s_cbranch_execz .LBB49_842
	s_branch .LBB49_843
.LBB49_841:
                                        ; implicit-def: $vgpr79
.LBB49_842:
	ds_load_b32 v79, v1
.LBB49_843:
	s_mov_b32 s1, exec_lo
	v_cmpx_ne_u32_e32 36, v0
	s_cbranch_execz .LBB49_847
; %bb.844:
	v_add_nc_u32_e32 v80, 0xd4, v6
	v_add3_u32 v81, 0, v6, 4
	v_mov_b32_e32 v82, v0
	s_mov_b32 s2, 0
.LBB49_845:                             ; =>This Inner Loop Header: Depth=1
	scratch_load_b32 v83, v81, off
	ds_load_b32 v84, v80
	v_dual_add_nc_u32 v82, 1, v82 :: v_dual_add_nc_u32 v80, 4, v80
	s_wait_xcnt 0x0
	v_add_nc_u32_e32 v81, 4, v81
	s_delay_alu instid0(VALU_DEP_2)
	v_cmp_lt_u32_e32 vcc_lo, 35, v82
	s_or_b32 s2, vcc_lo, s2
	s_wait_loadcnt_dscnt 0x0
	v_fmac_f32_e32 v79, v83, v84
	s_and_not1_b32 exec_lo, exec_lo, s2
	s_cbranch_execnz .LBB49_845
; %bb.846:
	s_or_b32 exec_lo, exec_lo, s2
.LBB49_847:
	s_delay_alu instid0(SALU_CYCLE_1)
	s_or_b32 exec_lo, exec_lo, s1
	v_mov_b32_e32 v80, 0
	ds_load_b32 v80, v80 offset:148
	s_wait_dscnt 0x0
	v_mul_f32_e32 v79, v79, v80
	scratch_store_b32 off, v79, off offset:148
.LBB49_848:
	s_wait_xcnt 0x0
	s_or_b32 exec_lo, exec_lo, s0
	scratch_load_b32 v79, off, off offset:152
	s_mov_b32 s0, exec_lo
	s_wait_loadcnt 0x0
	ds_store_b32 v1, v79
	s_wait_storecnt_dscnt 0x0
	s_barrier_signal -1
	s_barrier_wait -1
	s_wait_xcnt 0x0
	v_cmpx_gt_u32_e32 38, v0
	s_cbranch_execz .LBB49_858
; %bb.849:
	v_cmp_ne_u32_e32 vcc_lo, 1, v78
	s_cbranch_vccnz .LBB49_851
; %bb.850:
	scratch_load_b32 v79, v7, off
	ds_load_b32 v80, v1
	s_wait_loadcnt_dscnt 0x0
	v_mul_f32_e32 v79, v79, v80
	s_cbranch_execz .LBB49_852
	s_branch .LBB49_853
.LBB49_851:
                                        ; implicit-def: $vgpr79
.LBB49_852:
	ds_load_b32 v79, v1
.LBB49_853:
	s_mov_b32 s1, exec_lo
	v_cmpx_ne_u32_e32 37, v0
	s_cbranch_execz .LBB49_857
; %bb.854:
	v_add_nc_u32_e32 v80, 0xd4, v6
	v_add3_u32 v81, 0, v6, 4
	v_mov_b32_e32 v82, v0
	s_mov_b32 s2, 0
.LBB49_855:                             ; =>This Inner Loop Header: Depth=1
	scratch_load_b32 v83, v81, off
	ds_load_b32 v84, v80
	v_dual_add_nc_u32 v82, 1, v82 :: v_dual_add_nc_u32 v80, 4, v80
	s_wait_xcnt 0x0
	v_add_nc_u32_e32 v81, 4, v81
	s_delay_alu instid0(VALU_DEP_2)
	v_cmp_lt_u32_e32 vcc_lo, 36, v82
	s_or_b32 s2, vcc_lo, s2
	s_wait_loadcnt_dscnt 0x0
	v_fmac_f32_e32 v79, v83, v84
	s_and_not1_b32 exec_lo, exec_lo, s2
	s_cbranch_execnz .LBB49_855
; %bb.856:
	s_or_b32 exec_lo, exec_lo, s2
.LBB49_857:
	s_delay_alu instid0(SALU_CYCLE_1)
	s_or_b32 exec_lo, exec_lo, s1
	v_mov_b32_e32 v80, 0
	ds_load_b32 v80, v80 offset:152
	s_wait_dscnt 0x0
	v_mul_f32_e32 v79, v79, v80
	scratch_store_b32 off, v79, off offset:152
.LBB49_858:
	s_wait_xcnt 0x0
	s_or_b32 exec_lo, exec_lo, s0
	scratch_load_b32 v79, off, off offset:156
	s_mov_b32 s0, exec_lo
	s_wait_loadcnt 0x0
	ds_store_b32 v1, v79
	s_wait_storecnt_dscnt 0x0
	s_barrier_signal -1
	s_barrier_wait -1
	s_wait_xcnt 0x0
	v_cmpx_gt_u32_e32 39, v0
	s_cbranch_execz .LBB49_868
; %bb.859:
	v_cmp_ne_u32_e32 vcc_lo, 1, v78
	s_cbranch_vccnz .LBB49_861
; %bb.860:
	scratch_load_b32 v79, v7, off
	ds_load_b32 v80, v1
	s_wait_loadcnt_dscnt 0x0
	v_mul_f32_e32 v79, v79, v80
	s_cbranch_execz .LBB49_862
	s_branch .LBB49_863
.LBB49_861:
                                        ; implicit-def: $vgpr79
.LBB49_862:
	ds_load_b32 v79, v1
.LBB49_863:
	s_mov_b32 s1, exec_lo
	v_cmpx_ne_u32_e32 38, v0
	s_cbranch_execz .LBB49_867
; %bb.864:
	v_add_nc_u32_e32 v80, 0xd4, v6
	v_add3_u32 v81, 0, v6, 4
	v_mov_b32_e32 v82, v0
	s_mov_b32 s2, 0
.LBB49_865:                             ; =>This Inner Loop Header: Depth=1
	scratch_load_b32 v83, v81, off
	ds_load_b32 v84, v80
	v_dual_add_nc_u32 v82, 1, v82 :: v_dual_add_nc_u32 v80, 4, v80
	s_wait_xcnt 0x0
	v_add_nc_u32_e32 v81, 4, v81
	s_delay_alu instid0(VALU_DEP_2)
	v_cmp_lt_u32_e32 vcc_lo, 37, v82
	s_or_b32 s2, vcc_lo, s2
	s_wait_loadcnt_dscnt 0x0
	v_fmac_f32_e32 v79, v83, v84
	s_and_not1_b32 exec_lo, exec_lo, s2
	s_cbranch_execnz .LBB49_865
; %bb.866:
	s_or_b32 exec_lo, exec_lo, s2
.LBB49_867:
	s_delay_alu instid0(SALU_CYCLE_1)
	s_or_b32 exec_lo, exec_lo, s1
	v_mov_b32_e32 v80, 0
	ds_load_b32 v80, v80 offset:156
	s_wait_dscnt 0x0
	v_mul_f32_e32 v79, v79, v80
	scratch_store_b32 off, v79, off offset:156
.LBB49_868:
	s_wait_xcnt 0x0
	s_or_b32 exec_lo, exec_lo, s0
	scratch_load_b32 v79, off, off offset:160
	s_mov_b32 s0, exec_lo
	s_wait_loadcnt 0x0
	ds_store_b32 v1, v79
	s_wait_storecnt_dscnt 0x0
	s_barrier_signal -1
	s_barrier_wait -1
	s_wait_xcnt 0x0
	v_cmpx_gt_u32_e32 40, v0
	s_cbranch_execz .LBB49_878
; %bb.869:
	v_cmp_ne_u32_e32 vcc_lo, 1, v78
	s_cbranch_vccnz .LBB49_871
; %bb.870:
	scratch_load_b32 v79, v7, off
	ds_load_b32 v80, v1
	s_wait_loadcnt_dscnt 0x0
	v_mul_f32_e32 v79, v79, v80
	s_cbranch_execz .LBB49_872
	s_branch .LBB49_873
.LBB49_871:
                                        ; implicit-def: $vgpr79
.LBB49_872:
	ds_load_b32 v79, v1
.LBB49_873:
	s_mov_b32 s1, exec_lo
	v_cmpx_ne_u32_e32 39, v0
	s_cbranch_execz .LBB49_877
; %bb.874:
	v_add_nc_u32_e32 v80, 0xd4, v6
	v_add3_u32 v81, 0, v6, 4
	v_mov_b32_e32 v82, v0
	s_mov_b32 s2, 0
.LBB49_875:                             ; =>This Inner Loop Header: Depth=1
	scratch_load_b32 v83, v81, off
	ds_load_b32 v84, v80
	v_dual_add_nc_u32 v82, 1, v82 :: v_dual_add_nc_u32 v80, 4, v80
	s_wait_xcnt 0x0
	v_add_nc_u32_e32 v81, 4, v81
	s_delay_alu instid0(VALU_DEP_2)
	v_cmp_lt_u32_e32 vcc_lo, 38, v82
	s_or_b32 s2, vcc_lo, s2
	s_wait_loadcnt_dscnt 0x0
	v_fmac_f32_e32 v79, v83, v84
	s_and_not1_b32 exec_lo, exec_lo, s2
	s_cbranch_execnz .LBB49_875
; %bb.876:
	s_or_b32 exec_lo, exec_lo, s2
.LBB49_877:
	s_delay_alu instid0(SALU_CYCLE_1)
	s_or_b32 exec_lo, exec_lo, s1
	v_mov_b32_e32 v80, 0
	ds_load_b32 v80, v80 offset:160
	s_wait_dscnt 0x0
	v_mul_f32_e32 v79, v79, v80
	scratch_store_b32 off, v79, off offset:160
.LBB49_878:
	s_wait_xcnt 0x0
	s_or_b32 exec_lo, exec_lo, s0
	scratch_load_b32 v79, off, off offset:164
	s_mov_b32 s0, exec_lo
	s_wait_loadcnt 0x0
	ds_store_b32 v1, v79
	s_wait_storecnt_dscnt 0x0
	s_barrier_signal -1
	s_barrier_wait -1
	s_wait_xcnt 0x0
	v_cmpx_gt_u32_e32 41, v0
	s_cbranch_execz .LBB49_888
; %bb.879:
	v_cmp_ne_u32_e32 vcc_lo, 1, v78
	s_cbranch_vccnz .LBB49_881
; %bb.880:
	scratch_load_b32 v79, v7, off
	ds_load_b32 v80, v1
	s_wait_loadcnt_dscnt 0x0
	v_mul_f32_e32 v79, v79, v80
	s_cbranch_execz .LBB49_882
	s_branch .LBB49_883
.LBB49_881:
                                        ; implicit-def: $vgpr79
.LBB49_882:
	ds_load_b32 v79, v1
.LBB49_883:
	s_mov_b32 s1, exec_lo
	v_cmpx_ne_u32_e32 40, v0
	s_cbranch_execz .LBB49_887
; %bb.884:
	v_add_nc_u32_e32 v80, 0xd4, v6
	v_add3_u32 v81, 0, v6, 4
	v_mov_b32_e32 v82, v0
	s_mov_b32 s2, 0
.LBB49_885:                             ; =>This Inner Loop Header: Depth=1
	scratch_load_b32 v83, v81, off
	ds_load_b32 v84, v80
	v_dual_add_nc_u32 v82, 1, v82 :: v_dual_add_nc_u32 v80, 4, v80
	s_wait_xcnt 0x0
	v_add_nc_u32_e32 v81, 4, v81
	s_delay_alu instid0(VALU_DEP_2)
	v_cmp_lt_u32_e32 vcc_lo, 39, v82
	s_or_b32 s2, vcc_lo, s2
	s_wait_loadcnt_dscnt 0x0
	v_fmac_f32_e32 v79, v83, v84
	s_and_not1_b32 exec_lo, exec_lo, s2
	s_cbranch_execnz .LBB49_885
; %bb.886:
	s_or_b32 exec_lo, exec_lo, s2
.LBB49_887:
	s_delay_alu instid0(SALU_CYCLE_1)
	s_or_b32 exec_lo, exec_lo, s1
	v_mov_b32_e32 v80, 0
	ds_load_b32 v80, v80 offset:164
	s_wait_dscnt 0x0
	v_mul_f32_e32 v79, v79, v80
	scratch_store_b32 off, v79, off offset:164
.LBB49_888:
	s_wait_xcnt 0x0
	s_or_b32 exec_lo, exec_lo, s0
	scratch_load_b32 v79, off, off offset:168
	s_mov_b32 s0, exec_lo
	s_wait_loadcnt 0x0
	ds_store_b32 v1, v79
	s_wait_storecnt_dscnt 0x0
	s_barrier_signal -1
	s_barrier_wait -1
	s_wait_xcnt 0x0
	v_cmpx_gt_u32_e32 42, v0
	s_cbranch_execz .LBB49_898
; %bb.889:
	v_cmp_ne_u32_e32 vcc_lo, 1, v78
	s_cbranch_vccnz .LBB49_891
; %bb.890:
	scratch_load_b32 v79, v7, off
	ds_load_b32 v80, v1
	s_wait_loadcnt_dscnt 0x0
	v_mul_f32_e32 v79, v79, v80
	s_cbranch_execz .LBB49_892
	s_branch .LBB49_893
.LBB49_891:
                                        ; implicit-def: $vgpr79
.LBB49_892:
	ds_load_b32 v79, v1
.LBB49_893:
	s_mov_b32 s1, exec_lo
	v_cmpx_ne_u32_e32 41, v0
	s_cbranch_execz .LBB49_897
; %bb.894:
	v_add_nc_u32_e32 v80, 0xd4, v6
	v_add3_u32 v81, 0, v6, 4
	v_mov_b32_e32 v82, v0
	s_mov_b32 s2, 0
.LBB49_895:                             ; =>This Inner Loop Header: Depth=1
	scratch_load_b32 v83, v81, off
	ds_load_b32 v84, v80
	v_dual_add_nc_u32 v82, 1, v82 :: v_dual_add_nc_u32 v80, 4, v80
	s_wait_xcnt 0x0
	v_add_nc_u32_e32 v81, 4, v81
	s_delay_alu instid0(VALU_DEP_2)
	v_cmp_lt_u32_e32 vcc_lo, 40, v82
	s_or_b32 s2, vcc_lo, s2
	s_wait_loadcnt_dscnt 0x0
	v_fmac_f32_e32 v79, v83, v84
	s_and_not1_b32 exec_lo, exec_lo, s2
	s_cbranch_execnz .LBB49_895
; %bb.896:
	s_or_b32 exec_lo, exec_lo, s2
.LBB49_897:
	s_delay_alu instid0(SALU_CYCLE_1)
	s_or_b32 exec_lo, exec_lo, s1
	v_mov_b32_e32 v80, 0
	ds_load_b32 v80, v80 offset:168
	s_wait_dscnt 0x0
	v_mul_f32_e32 v79, v79, v80
	scratch_store_b32 off, v79, off offset:168
.LBB49_898:
	s_wait_xcnt 0x0
	s_or_b32 exec_lo, exec_lo, s0
	scratch_load_b32 v79, off, off offset:172
	s_mov_b32 s0, exec_lo
	s_wait_loadcnt 0x0
	ds_store_b32 v1, v79
	s_wait_storecnt_dscnt 0x0
	s_barrier_signal -1
	s_barrier_wait -1
	s_wait_xcnt 0x0
	v_cmpx_gt_u32_e32 43, v0
	s_cbranch_execz .LBB49_908
; %bb.899:
	v_cmp_ne_u32_e32 vcc_lo, 1, v78
	s_cbranch_vccnz .LBB49_901
; %bb.900:
	scratch_load_b32 v79, v7, off
	ds_load_b32 v80, v1
	s_wait_loadcnt_dscnt 0x0
	v_mul_f32_e32 v79, v79, v80
	s_cbranch_execz .LBB49_902
	s_branch .LBB49_903
.LBB49_901:
                                        ; implicit-def: $vgpr79
.LBB49_902:
	ds_load_b32 v79, v1
.LBB49_903:
	s_mov_b32 s1, exec_lo
	v_cmpx_ne_u32_e32 42, v0
	s_cbranch_execz .LBB49_907
; %bb.904:
	v_add_nc_u32_e32 v80, 0xd4, v6
	v_add3_u32 v81, 0, v6, 4
	v_mov_b32_e32 v82, v0
	s_mov_b32 s2, 0
.LBB49_905:                             ; =>This Inner Loop Header: Depth=1
	scratch_load_b32 v83, v81, off
	ds_load_b32 v84, v80
	v_dual_add_nc_u32 v82, 1, v82 :: v_dual_add_nc_u32 v80, 4, v80
	s_wait_xcnt 0x0
	v_add_nc_u32_e32 v81, 4, v81
	s_delay_alu instid0(VALU_DEP_2)
	v_cmp_lt_u32_e32 vcc_lo, 41, v82
	s_or_b32 s2, vcc_lo, s2
	s_wait_loadcnt_dscnt 0x0
	v_fmac_f32_e32 v79, v83, v84
	s_and_not1_b32 exec_lo, exec_lo, s2
	s_cbranch_execnz .LBB49_905
; %bb.906:
	s_or_b32 exec_lo, exec_lo, s2
.LBB49_907:
	s_delay_alu instid0(SALU_CYCLE_1)
	s_or_b32 exec_lo, exec_lo, s1
	v_mov_b32_e32 v80, 0
	ds_load_b32 v80, v80 offset:172
	s_wait_dscnt 0x0
	v_mul_f32_e32 v79, v79, v80
	scratch_store_b32 off, v79, off offset:172
.LBB49_908:
	s_wait_xcnt 0x0
	s_or_b32 exec_lo, exec_lo, s0
	scratch_load_b32 v79, off, off offset:176
	s_mov_b32 s0, exec_lo
	s_wait_loadcnt 0x0
	ds_store_b32 v1, v79
	s_wait_storecnt_dscnt 0x0
	s_barrier_signal -1
	s_barrier_wait -1
	s_wait_xcnt 0x0
	v_cmpx_gt_u32_e32 44, v0
	s_cbranch_execz .LBB49_918
; %bb.909:
	v_cmp_ne_u32_e32 vcc_lo, 1, v78
	s_cbranch_vccnz .LBB49_911
; %bb.910:
	scratch_load_b32 v79, v7, off
	ds_load_b32 v80, v1
	s_wait_loadcnt_dscnt 0x0
	v_mul_f32_e32 v79, v79, v80
	s_cbranch_execz .LBB49_912
	s_branch .LBB49_913
.LBB49_911:
                                        ; implicit-def: $vgpr79
.LBB49_912:
	ds_load_b32 v79, v1
.LBB49_913:
	s_mov_b32 s1, exec_lo
	v_cmpx_ne_u32_e32 43, v0
	s_cbranch_execz .LBB49_917
; %bb.914:
	v_add_nc_u32_e32 v80, 0xd4, v6
	v_add3_u32 v81, 0, v6, 4
	v_mov_b32_e32 v82, v0
	s_mov_b32 s2, 0
.LBB49_915:                             ; =>This Inner Loop Header: Depth=1
	scratch_load_b32 v83, v81, off
	ds_load_b32 v84, v80
	v_dual_add_nc_u32 v82, 1, v82 :: v_dual_add_nc_u32 v80, 4, v80
	s_wait_xcnt 0x0
	v_add_nc_u32_e32 v81, 4, v81
	s_delay_alu instid0(VALU_DEP_2)
	v_cmp_lt_u32_e32 vcc_lo, 42, v82
	s_or_b32 s2, vcc_lo, s2
	s_wait_loadcnt_dscnt 0x0
	v_fmac_f32_e32 v79, v83, v84
	s_and_not1_b32 exec_lo, exec_lo, s2
	s_cbranch_execnz .LBB49_915
; %bb.916:
	s_or_b32 exec_lo, exec_lo, s2
.LBB49_917:
	s_delay_alu instid0(SALU_CYCLE_1)
	s_or_b32 exec_lo, exec_lo, s1
	v_mov_b32_e32 v80, 0
	ds_load_b32 v80, v80 offset:176
	s_wait_dscnt 0x0
	v_mul_f32_e32 v79, v79, v80
	scratch_store_b32 off, v79, off offset:176
.LBB49_918:
	s_wait_xcnt 0x0
	s_or_b32 exec_lo, exec_lo, s0
	scratch_load_b32 v79, off, off offset:180
	s_mov_b32 s0, exec_lo
	s_wait_loadcnt 0x0
	ds_store_b32 v1, v79
	s_wait_storecnt_dscnt 0x0
	s_barrier_signal -1
	s_barrier_wait -1
	s_wait_xcnt 0x0
	v_cmpx_gt_u32_e32 45, v0
	s_cbranch_execz .LBB49_928
; %bb.919:
	v_cmp_ne_u32_e32 vcc_lo, 1, v78
	s_cbranch_vccnz .LBB49_921
; %bb.920:
	scratch_load_b32 v79, v7, off
	ds_load_b32 v80, v1
	s_wait_loadcnt_dscnt 0x0
	v_mul_f32_e32 v79, v79, v80
	s_cbranch_execz .LBB49_922
	s_branch .LBB49_923
.LBB49_921:
                                        ; implicit-def: $vgpr79
.LBB49_922:
	ds_load_b32 v79, v1
.LBB49_923:
	s_mov_b32 s1, exec_lo
	v_cmpx_ne_u32_e32 44, v0
	s_cbranch_execz .LBB49_927
; %bb.924:
	v_add_nc_u32_e32 v80, 0xd4, v6
	v_add3_u32 v81, 0, v6, 4
	v_mov_b32_e32 v82, v0
	s_mov_b32 s2, 0
.LBB49_925:                             ; =>This Inner Loop Header: Depth=1
	scratch_load_b32 v83, v81, off
	ds_load_b32 v84, v80
	v_dual_add_nc_u32 v82, 1, v82 :: v_dual_add_nc_u32 v80, 4, v80
	s_wait_xcnt 0x0
	v_add_nc_u32_e32 v81, 4, v81
	s_delay_alu instid0(VALU_DEP_2)
	v_cmp_lt_u32_e32 vcc_lo, 43, v82
	s_or_b32 s2, vcc_lo, s2
	s_wait_loadcnt_dscnt 0x0
	v_fmac_f32_e32 v79, v83, v84
	s_and_not1_b32 exec_lo, exec_lo, s2
	s_cbranch_execnz .LBB49_925
; %bb.926:
	s_or_b32 exec_lo, exec_lo, s2
.LBB49_927:
	s_delay_alu instid0(SALU_CYCLE_1)
	s_or_b32 exec_lo, exec_lo, s1
	v_mov_b32_e32 v80, 0
	ds_load_b32 v80, v80 offset:180
	s_wait_dscnt 0x0
	v_mul_f32_e32 v79, v79, v80
	scratch_store_b32 off, v79, off offset:180
.LBB49_928:
	s_wait_xcnt 0x0
	s_or_b32 exec_lo, exec_lo, s0
	scratch_load_b32 v79, off, off offset:184
	s_mov_b32 s0, exec_lo
	s_wait_loadcnt 0x0
	ds_store_b32 v1, v79
	s_wait_storecnt_dscnt 0x0
	s_barrier_signal -1
	s_barrier_wait -1
	s_wait_xcnt 0x0
	v_cmpx_gt_u32_e32 46, v0
	s_cbranch_execz .LBB49_938
; %bb.929:
	v_cmp_ne_u32_e32 vcc_lo, 1, v78
	s_cbranch_vccnz .LBB49_931
; %bb.930:
	scratch_load_b32 v79, v7, off
	ds_load_b32 v80, v1
	s_wait_loadcnt_dscnt 0x0
	v_mul_f32_e32 v79, v79, v80
	s_cbranch_execz .LBB49_932
	s_branch .LBB49_933
.LBB49_931:
                                        ; implicit-def: $vgpr79
.LBB49_932:
	ds_load_b32 v79, v1
.LBB49_933:
	s_mov_b32 s1, exec_lo
	v_cmpx_ne_u32_e32 45, v0
	s_cbranch_execz .LBB49_937
; %bb.934:
	v_add_nc_u32_e32 v80, 0xd4, v6
	v_add3_u32 v81, 0, v6, 4
	v_mov_b32_e32 v82, v0
	s_mov_b32 s2, 0
.LBB49_935:                             ; =>This Inner Loop Header: Depth=1
	scratch_load_b32 v83, v81, off
	ds_load_b32 v84, v80
	v_dual_add_nc_u32 v82, 1, v82 :: v_dual_add_nc_u32 v80, 4, v80
	s_wait_xcnt 0x0
	v_add_nc_u32_e32 v81, 4, v81
	s_delay_alu instid0(VALU_DEP_2)
	v_cmp_lt_u32_e32 vcc_lo, 44, v82
	s_or_b32 s2, vcc_lo, s2
	s_wait_loadcnt_dscnt 0x0
	v_fmac_f32_e32 v79, v83, v84
	s_and_not1_b32 exec_lo, exec_lo, s2
	s_cbranch_execnz .LBB49_935
; %bb.936:
	s_or_b32 exec_lo, exec_lo, s2
.LBB49_937:
	s_delay_alu instid0(SALU_CYCLE_1)
	s_or_b32 exec_lo, exec_lo, s1
	v_mov_b32_e32 v80, 0
	ds_load_b32 v80, v80 offset:184
	s_wait_dscnt 0x0
	v_mul_f32_e32 v79, v79, v80
	scratch_store_b32 off, v79, off offset:184
.LBB49_938:
	s_wait_xcnt 0x0
	s_or_b32 exec_lo, exec_lo, s0
	scratch_load_b32 v79, off, off offset:188
	s_mov_b32 s0, exec_lo
	s_wait_loadcnt 0x0
	ds_store_b32 v1, v79
	s_wait_storecnt_dscnt 0x0
	s_barrier_signal -1
	s_barrier_wait -1
	s_wait_xcnt 0x0
	v_cmpx_gt_u32_e32 47, v0
	s_cbranch_execz .LBB49_948
; %bb.939:
	v_cmp_ne_u32_e32 vcc_lo, 1, v78
	s_cbranch_vccnz .LBB49_941
; %bb.940:
	scratch_load_b32 v79, v7, off
	ds_load_b32 v80, v1
	s_wait_loadcnt_dscnt 0x0
	v_mul_f32_e32 v79, v79, v80
	s_cbranch_execz .LBB49_942
	s_branch .LBB49_943
.LBB49_941:
                                        ; implicit-def: $vgpr79
.LBB49_942:
	ds_load_b32 v79, v1
.LBB49_943:
	s_mov_b32 s1, exec_lo
	v_cmpx_ne_u32_e32 46, v0
	s_cbranch_execz .LBB49_947
; %bb.944:
	v_add_nc_u32_e32 v80, 0xd4, v6
	v_add3_u32 v81, 0, v6, 4
	v_mov_b32_e32 v82, v0
	s_mov_b32 s2, 0
.LBB49_945:                             ; =>This Inner Loop Header: Depth=1
	scratch_load_b32 v83, v81, off
	ds_load_b32 v84, v80
	v_dual_add_nc_u32 v82, 1, v82 :: v_dual_add_nc_u32 v80, 4, v80
	s_wait_xcnt 0x0
	v_add_nc_u32_e32 v81, 4, v81
	s_delay_alu instid0(VALU_DEP_2)
	v_cmp_lt_u32_e32 vcc_lo, 45, v82
	s_or_b32 s2, vcc_lo, s2
	s_wait_loadcnt_dscnt 0x0
	v_fmac_f32_e32 v79, v83, v84
	s_and_not1_b32 exec_lo, exec_lo, s2
	s_cbranch_execnz .LBB49_945
; %bb.946:
	s_or_b32 exec_lo, exec_lo, s2
.LBB49_947:
	s_delay_alu instid0(SALU_CYCLE_1)
	s_or_b32 exec_lo, exec_lo, s1
	v_mov_b32_e32 v80, 0
	ds_load_b32 v80, v80 offset:188
	s_wait_dscnt 0x0
	v_mul_f32_e32 v79, v79, v80
	scratch_store_b32 off, v79, off offset:188
.LBB49_948:
	s_wait_xcnt 0x0
	s_or_b32 exec_lo, exec_lo, s0
	scratch_load_b32 v79, off, off offset:192
	v_cmp_gt_u32_e64 s0, 48, v0
	s_wait_loadcnt 0x0
	ds_store_b32 v1, v79
	s_wait_storecnt_dscnt 0x0
	s_barrier_signal -1
	s_barrier_wait -1
	s_wait_xcnt 0x0
	s_and_saveexec_b32 s1, s0
	s_cbranch_execz .LBB49_958
; %bb.949:
	v_cmp_ne_u32_e32 vcc_lo, 1, v78
	s_cbranch_vccnz .LBB49_951
; %bb.950:
	scratch_load_b32 v79, v7, off
	ds_load_b32 v80, v1
	s_wait_loadcnt_dscnt 0x0
	v_mul_f32_e32 v79, v79, v80
	s_cbranch_execz .LBB49_952
	s_branch .LBB49_953
.LBB49_951:
                                        ; implicit-def: $vgpr79
.LBB49_952:
	ds_load_b32 v79, v1
.LBB49_953:
	s_mov_b32 s2, exec_lo
	v_cmpx_ne_u32_e32 47, v0
	s_cbranch_execz .LBB49_957
; %bb.954:
	v_add_nc_u32_e32 v80, 0xd4, v6
	v_add3_u32 v81, 0, v6, 4
	v_mov_b32_e32 v82, v0
	s_mov_b32 s3, 0
.LBB49_955:                             ; =>This Inner Loop Header: Depth=1
	scratch_load_b32 v83, v81, off
	ds_load_b32 v84, v80
	v_dual_add_nc_u32 v82, 1, v82 :: v_dual_add_nc_u32 v80, 4, v80
	s_wait_xcnt 0x0
	v_add_nc_u32_e32 v81, 4, v81
	s_delay_alu instid0(VALU_DEP_2)
	v_cmp_lt_u32_e32 vcc_lo, 46, v82
	s_or_b32 s3, vcc_lo, s3
	s_wait_loadcnt_dscnt 0x0
	v_fmac_f32_e32 v79, v83, v84
	s_and_not1_b32 exec_lo, exec_lo, s3
	s_cbranch_execnz .LBB49_955
; %bb.956:
	s_or_b32 exec_lo, exec_lo, s3
.LBB49_957:
	s_delay_alu instid0(SALU_CYCLE_1)
	s_or_b32 exec_lo, exec_lo, s2
	v_mov_b32_e32 v80, 0
	ds_load_b32 v80, v80 offset:192
	s_wait_dscnt 0x0
	v_mul_f32_e32 v79, v79, v80
	scratch_store_b32 off, v79, off offset:192
.LBB49_958:
	s_wait_xcnt 0x0
	s_or_b32 exec_lo, exec_lo, s1
	scratch_load_b32 v79, off, off offset:196
	s_mov_b32 s1, exec_lo
	s_wait_loadcnt 0x0
	ds_store_b32 v1, v79
	s_wait_storecnt_dscnt 0x0
	s_barrier_signal -1
	s_barrier_wait -1
	s_wait_xcnt 0x0
	v_cmpx_ne_u32_e32 49, v0
	s_cbranch_execz .LBB49_968
; %bb.959:
	v_cmp_ne_u32_e32 vcc_lo, 1, v78
	s_cbranch_vccnz .LBB49_961
; %bb.960:
	scratch_load_b32 v7, v7, off
	ds_load_b32 v78, v1
	s_wait_loadcnt_dscnt 0x0
	v_mul_f32_e32 v7, v7, v78
	s_cbranch_execz .LBB49_962
	s_branch .LBB49_963
.LBB49_961:
                                        ; implicit-def: $vgpr7
.LBB49_962:
	ds_load_b32 v7, v1
.LBB49_963:
	s_and_saveexec_b32 s2, s0
	s_cbranch_execz .LBB49_967
; %bb.964:
	v_add_nc_u32_e32 v1, 0xd4, v6
	v_add3_u32 v6, 0, v6, 4
	s_mov_b32 s0, 0
.LBB49_965:                             ; =>This Inner Loop Header: Depth=1
	scratch_load_b32 v78, v6, off
	ds_load_b32 v79, v1
	v_dual_add_nc_u32 v0, 1, v0 :: v_dual_add_nc_u32 v1, 4, v1
	s_wait_xcnt 0x0
	v_add_nc_u32_e32 v6, 4, v6
	s_delay_alu instid0(VALU_DEP_2)
	v_cmp_lt_u32_e32 vcc_lo, 47, v0
	s_or_b32 s0, vcc_lo, s0
	s_wait_loadcnt_dscnt 0x0
	v_fmac_f32_e32 v7, v78, v79
	s_and_not1_b32 exec_lo, exec_lo, s0
	s_cbranch_execnz .LBB49_965
; %bb.966:
	s_or_b32 exec_lo, exec_lo, s0
.LBB49_967:
	s_delay_alu instid0(SALU_CYCLE_1)
	s_or_b32 exec_lo, exec_lo, s2
	v_mov_b32_e32 v0, 0
	ds_load_b32 v0, v0 offset:196
	s_wait_dscnt 0x0
	v_mul_f32_e32 v0, v7, v0
	scratch_store_b32 off, v0, off offset:196
.LBB49_968:
	s_wait_xcnt 0x0
	s_or_b32 exec_lo, exec_lo, s1
.LBB49_969:
	s_clause 0x1
	scratch_load_b128 v[78:81], off, off
	scratch_load_b128 v[82:85], off, off offset:16
	s_wait_loadcnt 0x1
	s_clause 0x1
	global_store_b32 v[2:3], v78, off
	global_store_b32 v[4:5], v79, off
	scratch_load_b128 v[0:3], off, off offset:32
	s_clause 0x1
	global_store_b32 v[126:127], v80, off
	global_store_b32 v[128:129], v81, off
	s_clause 0x1
	scratch_load_b128 v[4:7], off, off offset:48
	scratch_load_b128 v[78:81], off, off offset:64
	s_wait_loadcnt 0x3
	s_clause 0x1
	global_store_b32 v[122:123], v82, off
	global_store_b32 v[124:125], v83, off
	scratch_load_b128 v[86:89], off, off offset:80
	s_clause 0x1
	global_store_b32 v[118:119], v84, off
	global_store_b32 v[120:121], v85, off
	s_clause 0x1
	scratch_load_b128 v[82:85], off, off offset:96
	;; [unrolled: 11-line block ×3, first 2 shown]
	scratch_load_b128 v[98:101], off, off offset:160
	s_wait_loadcnt 0x7
	s_clause 0x1
	global_store_b32 v[106:107], v4, off
	global_store_b32 v[108:109], v5, off
	s_clause 0x1
	scratch_load_b128 v[106:109], off, off offset:176
	scratch_load_b64 v[4:5], off, off offset:192
	s_clause 0x1
	global_store_b32 v[104:105], v6, off
	global_store_b32 v[8:9], v7, off
	s_wait_loadcnt 0x8
	s_clause 0x3
	global_store_b32 v[10:11], v78, off
	global_store_b32 v[12:13], v79, off
	global_store_b32 v[14:15], v80, off
	global_store_b32 v[16:17], v81, off
	s_wait_loadcnt 0x7
	s_clause 0x3
	global_store_b32 v[18:19], v86, off
	global_store_b32 v[20:21], v87, off
	;; [unrolled: 6-line block ×9, first 2 shown]
.LBB49_970:
	s_sendmsg sendmsg(MSG_DEALLOC_VGPRS)
	s_endpgm
	.section	.rodata,"a",@progbits
	.p2align	6, 0x0
	.amdhsa_kernel _ZN9rocsolver6v33100L18trti2_kernel_smallILi50EfPfEEv13rocblas_fill_17rocblas_diagonal_T1_iil
		.amdhsa_group_segment_fixed_size 408
		.amdhsa_private_segment_fixed_size 208
		.amdhsa_kernarg_size 32
		.amdhsa_user_sgpr_count 2
		.amdhsa_user_sgpr_dispatch_ptr 0
		.amdhsa_user_sgpr_queue_ptr 0
		.amdhsa_user_sgpr_kernarg_segment_ptr 1
		.amdhsa_user_sgpr_dispatch_id 0
		.amdhsa_user_sgpr_kernarg_preload_length 0
		.amdhsa_user_sgpr_kernarg_preload_offset 0
		.amdhsa_user_sgpr_private_segment_size 0
		.amdhsa_wavefront_size32 1
		.amdhsa_uses_dynamic_stack 0
		.amdhsa_enable_private_segment 1
		.amdhsa_system_sgpr_workgroup_id_x 1
		.amdhsa_system_sgpr_workgroup_id_y 0
		.amdhsa_system_sgpr_workgroup_id_z 0
		.amdhsa_system_sgpr_workgroup_info 0
		.amdhsa_system_vgpr_workitem_id 0
		.amdhsa_next_free_vgpr 130
		.amdhsa_next_free_sgpr 20
		.amdhsa_named_barrier_count 0
		.amdhsa_reserve_vcc 1
		.amdhsa_float_round_mode_32 0
		.amdhsa_float_round_mode_16_64 0
		.amdhsa_float_denorm_mode_32 3
		.amdhsa_float_denorm_mode_16_64 3
		.amdhsa_fp16_overflow 0
		.amdhsa_memory_ordered 1
		.amdhsa_forward_progress 1
		.amdhsa_inst_pref_size 218
		.amdhsa_round_robin_scheduling 0
		.amdhsa_exception_fp_ieee_invalid_op 0
		.amdhsa_exception_fp_denorm_src 0
		.amdhsa_exception_fp_ieee_div_zero 0
		.amdhsa_exception_fp_ieee_overflow 0
		.amdhsa_exception_fp_ieee_underflow 0
		.amdhsa_exception_fp_ieee_inexact 0
		.amdhsa_exception_int_div_zero 0
	.end_amdhsa_kernel
	.section	.text._ZN9rocsolver6v33100L18trti2_kernel_smallILi50EfPfEEv13rocblas_fill_17rocblas_diagonal_T1_iil,"axG",@progbits,_ZN9rocsolver6v33100L18trti2_kernel_smallILi50EfPfEEv13rocblas_fill_17rocblas_diagonal_T1_iil,comdat
.Lfunc_end49:
	.size	_ZN9rocsolver6v33100L18trti2_kernel_smallILi50EfPfEEv13rocblas_fill_17rocblas_diagonal_T1_iil, .Lfunc_end49-_ZN9rocsolver6v33100L18trti2_kernel_smallILi50EfPfEEv13rocblas_fill_17rocblas_diagonal_T1_iil
                                        ; -- End function
	.set _ZN9rocsolver6v33100L18trti2_kernel_smallILi50EfPfEEv13rocblas_fill_17rocblas_diagonal_T1_iil.num_vgpr, 130
	.set _ZN9rocsolver6v33100L18trti2_kernel_smallILi50EfPfEEv13rocblas_fill_17rocblas_diagonal_T1_iil.num_agpr, 0
	.set _ZN9rocsolver6v33100L18trti2_kernel_smallILi50EfPfEEv13rocblas_fill_17rocblas_diagonal_T1_iil.numbered_sgpr, 20
	.set _ZN9rocsolver6v33100L18trti2_kernel_smallILi50EfPfEEv13rocblas_fill_17rocblas_diagonal_T1_iil.num_named_barrier, 0
	.set _ZN9rocsolver6v33100L18trti2_kernel_smallILi50EfPfEEv13rocblas_fill_17rocblas_diagonal_T1_iil.private_seg_size, 208
	.set _ZN9rocsolver6v33100L18trti2_kernel_smallILi50EfPfEEv13rocblas_fill_17rocblas_diagonal_T1_iil.uses_vcc, 1
	.set _ZN9rocsolver6v33100L18trti2_kernel_smallILi50EfPfEEv13rocblas_fill_17rocblas_diagonal_T1_iil.uses_flat_scratch, 1
	.set _ZN9rocsolver6v33100L18trti2_kernel_smallILi50EfPfEEv13rocblas_fill_17rocblas_diagonal_T1_iil.has_dyn_sized_stack, 0
	.set _ZN9rocsolver6v33100L18trti2_kernel_smallILi50EfPfEEv13rocblas_fill_17rocblas_diagonal_T1_iil.has_recursion, 0
	.set _ZN9rocsolver6v33100L18trti2_kernel_smallILi50EfPfEEv13rocblas_fill_17rocblas_diagonal_T1_iil.has_indirect_call, 0
	.section	.AMDGPU.csdata,"",@progbits
; Kernel info:
; codeLenInByte = 27808
; TotalNumSgprs: 22
; NumVgprs: 130
; ScratchSize: 208
; MemoryBound: 0
; FloatMode: 240
; IeeeMode: 1
; LDSByteSize: 408 bytes/workgroup (compile time only)
; SGPRBlocks: 0
; VGPRBlocks: 8
; NumSGPRsForWavesPerEU: 22
; NumVGPRsForWavesPerEU: 130
; NamedBarCnt: 0
; Occupancy: 7
; WaveLimiterHint : 0
; COMPUTE_PGM_RSRC2:SCRATCH_EN: 1
; COMPUTE_PGM_RSRC2:USER_SGPR: 2
; COMPUTE_PGM_RSRC2:TRAP_HANDLER: 0
; COMPUTE_PGM_RSRC2:TGID_X_EN: 1
; COMPUTE_PGM_RSRC2:TGID_Y_EN: 0
; COMPUTE_PGM_RSRC2:TGID_Z_EN: 0
; COMPUTE_PGM_RSRC2:TIDIG_COMP_CNT: 0
	.section	.text._ZN9rocsolver6v33100L18trti2_kernel_smallILi51EfPfEEv13rocblas_fill_17rocblas_diagonal_T1_iil,"axG",@progbits,_ZN9rocsolver6v33100L18trti2_kernel_smallILi51EfPfEEv13rocblas_fill_17rocblas_diagonal_T1_iil,comdat
	.globl	_ZN9rocsolver6v33100L18trti2_kernel_smallILi51EfPfEEv13rocblas_fill_17rocblas_diagonal_T1_iil ; -- Begin function _ZN9rocsolver6v33100L18trti2_kernel_smallILi51EfPfEEv13rocblas_fill_17rocblas_diagonal_T1_iil
	.p2align	8
	.type	_ZN9rocsolver6v33100L18trti2_kernel_smallILi51EfPfEEv13rocblas_fill_17rocblas_diagonal_T1_iil,@function
_ZN9rocsolver6v33100L18trti2_kernel_smallILi51EfPfEEv13rocblas_fill_17rocblas_diagonal_T1_iil: ; @_ZN9rocsolver6v33100L18trti2_kernel_smallILi51EfPfEEv13rocblas_fill_17rocblas_diagonal_T1_iil
; %bb.0:
	s_mov_b32 s2, exec_lo
	v_cmpx_gt_u32_e32 51, v0
	s_cbranch_execz .LBB50_990
; %bb.1:
	s_load_b256 s[4:11], s[0:1], 0x0
	s_wait_xcnt 0x0
	s_bfe_u32 s0, ttmp6, 0x4000c
	s_and_b32 s1, ttmp6, 15
	s_add_co_i32 s0, s0, 1
	s_getreg_b32 s2, hwreg(HW_REG_IB_STS2, 6, 4)
	s_mul_i32 s0, ttmp9, s0
	v_mov_b32_e32 v7, 0
	s_add_co_i32 s0, s1, s0
	v_lshlrev_b32_e32 v6, 2, v0
	s_wait_kmcnt 0x0
	v_add3_u32 v8, s9, s9, v0
	s_ashr_i32 s1, s8, 31
	s_cmp_eq_u32 s2, 0
	s_cselect_b32 s2, ttmp9, s0
	s_delay_alu instid0(VALU_DEP_1)
	v_add_nc_u32_e32 v10, s9, v8
	s_ashr_i32 s3, s2, 31
	s_mov_b32 s0, s8
	s_mul_u64 s[2:3], s[10:11], s[2:3]
	s_lshl_b64 s[0:1], s[0:1], 2
	v_add_nc_u32_e32 v12, s9, v10
	s_lshl_b64 s[2:3], s[2:3], 2
	v_ashrrev_i32_e32 v9, 31, v8
	s_add_nc_u64 s[2:3], s[6:7], s[2:3]
	s_delay_alu instid0(VALU_DEP_2)
	v_add_nc_u32_e32 v14, s9, v12
	s_add_nc_u64 s[6:7], s[2:3], s[0:1]
	s_mov_b32 s0, s9
	v_add_nc_u64_e32 v[2:3], s[6:7], v[6:7]
	s_ashr_i32 s1, s9, 31
	v_add_nc_u32_e32 v16, s9, v14
	s_cmp_lg_u32 s5, 0x84
	v_ashrrev_i32_e32 v11, 31, v10
	s_cselect_b32 s3, -1, 0
	s_cmp_eq_u32 s5, 0x84
	v_add_nc_u32_e32 v18, s9, v16
	v_lshl_add_u64 v[4:5], s[0:1], 2, v[2:3]
	s_clause 0x3
	global_load_b32 v88, v0, s[6:7] scale_offset
	global_load_b32 v89, v[4:5], off
	global_load_b32 v90, v8, s[6:7] scale_offset
	global_load_b32 v91, v10, s[6:7] scale_offset
	v_add_nc_u32_e32 v20, s9, v18
	s_clause 0x3
	global_load_b32 v92, v12, s[6:7] scale_offset
	global_load_b32 v93, v14, s[6:7] scale_offset
	global_load_b32 v94, v16, s[6:7] scale_offset
	global_load_b32 v95, v18, s[6:7] scale_offset
	v_dual_ashrrev_i32 v13, 31, v12 :: v_dual_ashrrev_i32 v15, 31, v14
	v_dual_ashrrev_i32 v17, 31, v16 :: v_dual_ashrrev_i32 v19, 31, v18
	v_add_nc_u32_e32 v22, s9, v20
	s_delay_alu instid0(VALU_DEP_1) | instskip(NEXT) | instid1(VALU_DEP_1)
	v_add_nc_u32_e32 v24, s9, v22
	v_add_nc_u32_e32 v26, s9, v24
	s_delay_alu instid0(VALU_DEP_1) | instskip(NEXT) | instid1(VALU_DEP_1)
	v_dual_add_nc_u32 v28, s9, v26 :: v_dual_ashrrev_i32 v21, 31, v20
	v_dual_ashrrev_i32 v23, 31, v22 :: v_dual_add_nc_u32 v30, s9, v28
	s_delay_alu instid0(VALU_DEP_1)
	v_dual_ashrrev_i32 v29, 31, v28 :: v_dual_ashrrev_i32 v31, 31, v30
	v_add_nc_u32_e32 v32, s9, v30
	s_clause 0x3
	global_load_b32 v96, v20, s[6:7] scale_offset
	global_load_b32 v97, v22, s[6:7] scale_offset
	;; [unrolled: 1-line block ×4, first 2 shown]
	v_dual_ashrrev_i32 v25, 31, v24 :: v_dual_ashrrev_i32 v27, 31, v26
	v_add_nc_u32_e32 v34, s9, v32
	s_clause 0x3
	global_load_b32 v100, v28, s[6:7] scale_offset
	global_load_b32 v101, v30, s[6:7] scale_offset
	;; [unrolled: 1-line block ×4, first 2 shown]
	v_dual_ashrrev_i32 v33, 31, v32 :: v_dual_ashrrev_i32 v35, 31, v34
	v_add_nc_u32_e32 v36, s9, v34
	s_delay_alu instid0(VALU_DEP_1) | instskip(NEXT) | instid1(VALU_DEP_1)
	v_add_nc_u32_e32 v38, s9, v36
	v_add_nc_u32_e32 v40, s9, v38
	s_delay_alu instid0(VALU_DEP_1) | instskip(NEXT) | instid1(VALU_DEP_1)
	v_add_nc_u32_e32 v42, s9, v40
	v_dual_add_nc_u32 v44, s9, v42 :: v_dual_ashrrev_i32 v37, 31, v36
	s_delay_alu instid0(VALU_DEP_1) | instskip(NEXT) | instid1(VALU_DEP_1)
	v_dual_ashrrev_i32 v39, 31, v38 :: v_dual_add_nc_u32 v46, s9, v44
	v_dual_ashrrev_i32 v45, 31, v44 :: v_dual_ashrrev_i32 v47, 31, v46
	v_dual_add_nc_u32 v48, s9, v46 :: v_dual_ashrrev_i32 v41, 31, v40
	s_delay_alu instid0(VALU_DEP_1) | instskip(NEXT) | instid1(VALU_DEP_1)
	v_dual_ashrrev_i32 v43, 31, v42 :: v_dual_add_nc_u32 v50, s9, v48
	v_add_nc_u32_e32 v52, s9, v50
	s_delay_alu instid0(VALU_DEP_1) | instskip(NEXT) | instid1(VALU_DEP_1)
	v_add_nc_u32_e32 v54, s9, v52
	v_add_nc_u32_e32 v56, s9, v54
	s_clause 0x7
	global_load_b32 v104, v36, s[6:7] scale_offset
	global_load_b32 v105, v38, s[6:7] scale_offset
	;; [unrolled: 1-line block ×8, first 2 shown]
	v_dual_ashrrev_i32 v49, 31, v48 :: v_dual_ashrrev_i32 v51, 31, v50
	v_dual_add_nc_u32 v58, s9, v56 :: v_dual_ashrrev_i32 v57, 31, v56
	s_delay_alu instid0(VALU_DEP_1) | instskip(SKIP_1) | instid1(VALU_DEP_2)
	v_dual_ashrrev_i32 v59, 31, v58 :: v_dual_add_nc_u32 v60, s9, v58
	v_dual_ashrrev_i32 v53, 31, v52 :: v_dual_ashrrev_i32 v55, 31, v54
	v_add_nc_u32_e32 v62, s9, v60
	s_delay_alu instid0(VALU_DEP_1) | instskip(NEXT) | instid1(VALU_DEP_1)
	v_add_nc_u32_e32 v64, s9, v62
	v_add_nc_u32_e32 v66, s9, v64
	s_delay_alu instid0(VALU_DEP_1) | instskip(NEXT) | instid1(VALU_DEP_1)
	v_dual_add_nc_u32 v68, s9, v66 :: v_dual_ashrrev_i32 v61, 31, v60
	v_dual_ashrrev_i32 v63, 31, v62 :: v_dual_add_nc_u32 v70, s9, v68
	s_delay_alu instid0(VALU_DEP_1)
	v_dual_ashrrev_i32 v69, 31, v68 :: v_dual_ashrrev_i32 v71, 31, v70
	v_add_nc_u32_e32 v72, s9, v70
	s_clause 0x7
	global_load_b32 v112, v52, s[6:7] scale_offset
	global_load_b32 v113, v54, s[6:7] scale_offset
	;; [unrolled: 1-line block ×8, first 2 shown]
	v_dual_ashrrev_i32 v65, 31, v64 :: v_dual_ashrrev_i32 v67, 31, v66
	v_add_nc_u32_e32 v74, s9, v72
	s_delay_alu instid0(VALU_DEP_1) | instskip(NEXT) | instid1(VALU_DEP_1)
	v_add_nc_u32_e32 v76, s9, v74
	v_add_nc_u32_e32 v78, s9, v76
	s_delay_alu instid0(VALU_DEP_1) | instskip(NEXT) | instid1(VALU_DEP_1)
	v_dual_add_nc_u32 v80, s9, v78 :: v_dual_ashrrev_i32 v73, 31, v72
	v_dual_ashrrev_i32 v75, 31, v74 :: v_dual_add_nc_u32 v82, s9, v80
	s_delay_alu instid0(VALU_DEP_1) | instskip(SKIP_1) | instid1(VALU_DEP_1)
	v_dual_ashrrev_i32 v81, 31, v80 :: v_dual_ashrrev_i32 v83, 31, v82
	v_dual_add_nc_u32 v84, s9, v82 :: v_dual_ashrrev_i32 v77, 31, v76
	v_dual_ashrrev_i32 v79, 31, v78 :: v_dual_add_nc_u32 v86, s9, v84
	s_wait_loadcnt 0x1c
	scratch_store_b128 off, v[88:91], off
	s_wait_xcnt 0x0
	v_add_nc_u32_e32 v88, s9, v86
	s_clause 0x7
	global_load_b32 v120, v68, s[6:7] scale_offset
	global_load_b32 v121, v70, s[6:7] scale_offset
	;; [unrolled: 1-line block ×8, first 2 shown]
	s_wait_loadcnt 0x20
	scratch_store_b128 off, v[92:95], off offset:16
	v_add_nc_u32_e32 v90, s9, v88
	s_wait_xcnt 0x0
	s_delay_alu instid0(VALU_DEP_1) | instskip(NEXT) | instid1(VALU_DEP_1)
	v_dual_add_nc_u32 v92, s9, v90 :: v_dual_ashrrev_i32 v85, 31, v84
	v_dual_ashrrev_i32 v87, 31, v86 :: v_dual_add_nc_u32 v94, s9, v92
	s_delay_alu instid0(VALU_DEP_1) | instskip(SKIP_4) | instid1(VALU_DEP_1)
	v_dual_ashrrev_i32 v93, 31, v92 :: v_dual_ashrrev_i32 v95, 31, v94
	s_wait_loadcnt 0x1c
	scratch_store_b128 off, v[96:99], off offset:32
	s_wait_xcnt 0x0
	v_dual_add_nc_u32 v96, s9, v94 :: v_dual_ashrrev_i32 v89, 31, v88
	v_dual_ashrrev_i32 v91, 31, v90 :: v_dual_add_nc_u32 v98, s9, v96
	s_wait_loadcnt 0x18
	scratch_store_b128 off, v[100:103], off offset:48
	s_wait_xcnt 0x0
	v_add_nc_u32_e32 v100, s9, v98
	s_delay_alu instid0(VALU_DEP_1) | instskip(NEXT) | instid1(VALU_DEP_1)
	v_dual_add_nc_u32 v102, s9, v100 :: v_dual_ashrrev_i32 v101, 31, v100
	v_ashrrev_i32_e32 v103, 31, v102
	s_wait_loadcnt 0x14
	scratch_store_b128 off, v[104:107], off offset:64
	s_wait_xcnt 0x0
	v_dual_add_nc_u32 v104, s9, v102 :: v_dual_ashrrev_i32 v97, 31, v96
	v_ashrrev_i32_e32 v99, 31, v98
	s_wait_loadcnt 0x10
	scratch_store_b128 off, v[108:111], off offset:80
	v_dual_mov_b32 v106, -1.0 :: v_dual_ashrrev_i32 v105, 31, v104
	s_wait_loadcnt 0xc
	scratch_store_b128 off, v[112:115], off offset:96
	s_wait_loadcnt 0x8
	scratch_store_b128 off, v[116:119], off offset:112
	s_clause 0xa
	global_load_b32 v108, v84, s[6:7] scale_offset
	global_load_b32 v109, v86, s[6:7] scale_offset
	;; [unrolled: 1-line block ×11, first 2 shown]
	s_wait_loadcnt 0xf
	scratch_store_b128 off, v[120:123], off offset:128
	s_wait_loadcnt 0xb
	scratch_store_b128 off, v[124:127], off offset:144
	;; [unrolled: 2-line block ×4, first 2 shown]
	s_wait_loadcnt 0x0
	scratch_store_b96 off, v[116:118], off offset:192
	s_cbranch_scc1 .LBB50_3
; %bb.2:
	scratch_load_b32 v1, v0, off scale_offset
	s_wait_loadcnt 0x0
	v_div_scale_f32 v7, null, v1, v1, 1.0
	s_delay_alu instid0(VALU_DEP_1) | instskip(SKIP_1) | instid1(TRANS32_DEP_1)
	v_rcp_f32_e32 v106, v7
	v_nop
	v_fma_f32 v107, -v7, v106, 1.0
	s_delay_alu instid0(VALU_DEP_1) | instskip(SKIP_2) | instid1(VALU_DEP_1)
	v_fmac_f32_e32 v106, v107, v106
	v_div_scale_f32 v107, vcc_lo, 1.0, v1, 1.0
	s_wait_xcnt 0x3
	v_mul_f32_e32 v108, v107, v106
	s_delay_alu instid0(VALU_DEP_1) | instskip(NEXT) | instid1(VALU_DEP_1)
	v_fma_f32 v109, -v7, v108, v107
	v_fmac_f32_e32 v108, v109, v106
	s_delay_alu instid0(VALU_DEP_1) | instskip(NEXT) | instid1(VALU_DEP_1)
	v_fma_f32 v7, -v7, v108, v107
	v_div_fmas_f32 v7, v7, v106, v108
	s_delay_alu instid0(VALU_DEP_1) | instskip(NEXT) | instid1(VALU_DEP_1)
	v_div_fixup_f32 v1, v7, v1, 1.0
	v_xor_b32_e32 v106, 0x80000000, v1
	scratch_store_b32 v0, v1, off scale_offset
.LBB50_3:
	s_wait_xcnt 0x0
	v_add_nc_u32_e32 v1, 0xd0, v6
	v_mov_b32_e32 v7, v6
	s_cmp_eq_u32 s4, 0x79
	s_mov_b32 s1, -1
	ds_store_b32 v6, v106
	s_cbranch_scc1 .LBB50_497
; %bb.4:
	scratch_load_b32 v106, off, off offset:196
	v_cmp_eq_u32_e64 s0, 50, v0
	s_movk_i32 s1, 0x50
	s_movk_i32 s2, 0x60
	;; [unrolled: 1-line block ×8, first 2 shown]
	s_wait_loadcnt 0x0
	ds_store_b32 v1, v106
	s_wait_storecnt_dscnt 0x0
	s_barrier_signal -1
	s_barrier_wait -1
	s_wait_xcnt 0x0
	s_and_saveexec_b32 s4, s0
	s_cbranch_execz .LBB50_10
; %bb.5:
	s_and_b32 vcc_lo, exec_lo, s3
	s_cbranch_vccz .LBB50_7
; %bb.6:
	scratch_load_b32 v106, v7, off
	ds_load_b32 v107, v1
	s_wait_loadcnt_dscnt 0x0
	v_mul_f32_e32 v106, v106, v107
	s_cbranch_execz .LBB50_8
	s_branch .LBB50_9
.LBB50_7:
                                        ; implicit-def: $vgpr106
.LBB50_8:
	ds_load_b32 v106, v1
.LBB50_9:
	v_mov_b32_e32 v107, 0
	ds_load_b32 v107, v107 offset:196
	s_wait_dscnt 0x0
	v_mul_f32_e32 v106, v106, v107
	scratch_store_b32 off, v106, off offset:196
.LBB50_10:
	s_wait_xcnt 0x0
	s_or_b32 exec_lo, exec_lo, s4
	scratch_load_b32 v106, off, off offset:192
	s_mov_b32 s11, s2
	v_cmp_lt_u32_e64 s2, 48, v0
	s_mov_b32 s4, 16
	s_mov_b32 s5, 32
	;; [unrolled: 1-line block ×5, first 2 shown]
	s_wait_loadcnt 0x0
	ds_store_b32 v1, v106
	s_wait_storecnt_dscnt 0x0
	s_barrier_signal -1
	s_barrier_wait -1
	s_wait_xcnt 0x0
	s_and_saveexec_b32 s1, s2
	s_cbranch_execz .LBB50_16
; %bb.11:
	s_and_not1_b32 vcc_lo, exec_lo, s3
	s_cbranch_vccnz .LBB50_13
; %bb.12:
	scratch_load_b32 v106, v7, off
	ds_load_b32 v107, v1
	s_wait_loadcnt_dscnt 0x0
	v_mul_f32_e32 v106, v106, v107
	s_cbranch_execz .LBB50_14
	s_branch .LBB50_15
.LBB50_13:
                                        ; implicit-def: $vgpr106
.LBB50_14:
	ds_load_b32 v106, v1
.LBB50_15:
	scratch_load_b32 v107, off, off offset:196
	v_mov_b32_e32 v108, 0
	ds_load_2addr_b32 v[108:109], v108 offset0:48 offset1:101
	s_wait_loadcnt_dscnt 0x0
	v_fma_f32 v107, v107, v109, v106
	s_delay_alu instid0(VALU_DEP_1) | instskip(NEXT) | instid1(VALU_DEP_1)
	v_cndmask_b32_e64 v106, v106, v107, s0
	v_mul_f32_e32 v106, v106, v108
	scratch_store_b32 off, v106, off offset:192
.LBB50_16:
	s_wait_xcnt 0x0
	s_or_b32 exec_lo, exec_lo, s1
	scratch_load_b32 v106, off, off offset:188
	v_cmp_lt_u32_e64 s1, 47, v0
	s_wait_loadcnt 0x0
	ds_store_b32 v1, v106
	s_wait_storecnt_dscnt 0x0
	s_barrier_signal -1
	s_barrier_wait -1
	s_wait_xcnt 0x0
	s_and_saveexec_b32 s0, s1
	s_cbranch_execz .LBB50_26
; %bb.17:
	s_and_not1_b32 vcc_lo, exec_lo, s3
	s_cbranch_vccnz .LBB50_19
; %bb.18:
	scratch_load_b32 v106, v7, off
	ds_load_b32 v107, v1
	s_wait_loadcnt_dscnt 0x0
	v_mul_f32_e32 v106, v106, v107
	s_cbranch_execz .LBB50_20
	s_branch .LBB50_21
.LBB50_19:
                                        ; implicit-def: $vgpr106
.LBB50_20:
	ds_load_b32 v106, v1
.LBB50_21:
	s_and_saveexec_b32 s18, s2
	s_cbranch_execz .LBB50_25
; %bb.22:
	v_subrev_nc_u32_e32 v107, 48, v0
	s_movk_i32 s19, 0x190
	s_mov_b32 s2, 0
.LBB50_23:                              ; =>This Inner Loop Header: Depth=1
	scratch_load_b32 v108, off, s17
	v_dual_mov_b32 v109, s19 :: v_dual_add_nc_u32 v107, -1, v107
	s_add_co_i32 s19, s19, 4
	s_wait_xcnt 0x0
	s_add_co_i32 s17, s17, 4
	ds_load_b32 v109, v109
	v_cmp_eq_u32_e32 vcc_lo, 0, v107
	s_or_b32 s2, vcc_lo, s2
	s_wait_loadcnt_dscnt 0x0
	v_fmac_f32_e32 v106, v108, v109
	s_and_not1_b32 exec_lo, exec_lo, s2
	s_cbranch_execnz .LBB50_23
; %bb.24:
	s_or_b32 exec_lo, exec_lo, s2
.LBB50_25:
	s_delay_alu instid0(SALU_CYCLE_1)
	s_or_b32 exec_lo, exec_lo, s18
	v_mov_b32_e32 v107, 0
	ds_load_b32 v107, v107 offset:188
	s_wait_dscnt 0x0
	v_mul_f32_e32 v106, v106, v107
	scratch_store_b32 off, v106, off offset:188
.LBB50_26:
	s_wait_xcnt 0x0
	s_or_b32 exec_lo, exec_lo, s0
	scratch_load_b32 v106, off, off offset:184
	v_cmp_lt_u32_e64 s0, 46, v0
	s_wait_loadcnt 0x0
	ds_store_b32 v1, v106
	s_wait_storecnt_dscnt 0x0
	s_barrier_signal -1
	s_barrier_wait -1
	s_wait_xcnt 0x0
	s_and_saveexec_b32 s2, s0
	s_cbranch_execz .LBB50_36
; %bb.27:
	s_and_not1_b32 vcc_lo, exec_lo, s3
	s_cbranch_vccnz .LBB50_29
; %bb.28:
	scratch_load_b32 v106, v7, off
	ds_load_b32 v107, v1
	s_wait_loadcnt_dscnt 0x0
	v_mul_f32_e32 v106, v106, v107
	s_cbranch_execz .LBB50_30
	s_branch .LBB50_31
.LBB50_29:
                                        ; implicit-def: $vgpr106
.LBB50_30:
	ds_load_b32 v106, v1
.LBB50_31:
	s_and_saveexec_b32 s17, s1
	s_cbranch_execz .LBB50_35
; %bb.32:
	v_subrev_nc_u32_e32 v107, 47, v0
	s_movk_i32 s1, 0xbc
	s_movk_i32 s19, 0x18c
	s_mov_b32 s18, 0
.LBB50_33:                              ; =>This Inner Loop Header: Depth=1
	scratch_load_b32 v108, off, s1
	v_dual_mov_b32 v109, s19 :: v_dual_add_nc_u32 v107, -1, v107
	s_add_co_i32 s19, s19, 4
	s_wait_xcnt 0x0
	s_add_co_i32 s1, s1, 4
	ds_load_b32 v109, v109
	v_cmp_eq_u32_e32 vcc_lo, 0, v107
	s_or_b32 s18, vcc_lo, s18
	s_wait_loadcnt_dscnt 0x0
	v_fmac_f32_e32 v106, v108, v109
	s_and_not1_b32 exec_lo, exec_lo, s18
	s_cbranch_execnz .LBB50_33
; %bb.34:
	s_or_b32 exec_lo, exec_lo, s18
.LBB50_35:
	s_delay_alu instid0(SALU_CYCLE_1)
	s_or_b32 exec_lo, exec_lo, s17
	v_mov_b32_e32 v107, 0
	ds_load_b32 v107, v107 offset:184
	s_wait_dscnt 0x0
	v_mul_f32_e32 v106, v106, v107
	scratch_store_b32 off, v106, off offset:184
.LBB50_36:
	s_wait_xcnt 0x0
	s_or_b32 exec_lo, exec_lo, s2
	scratch_load_b32 v106, off, off offset:180
	v_cmp_lt_u32_e64 s1, 45, v0
	s_wait_loadcnt 0x0
	ds_store_b32 v1, v106
	s_wait_storecnt_dscnt 0x0
	s_barrier_signal -1
	s_barrier_wait -1
	s_wait_xcnt 0x0
	s_and_saveexec_b32 s2, s1
	s_cbranch_execz .LBB50_46
; %bb.37:
	s_and_not1_b32 vcc_lo, exec_lo, s3
	s_cbranch_vccnz .LBB50_39
; %bb.38:
	scratch_load_b32 v106, v7, off
	ds_load_b32 v107, v1
	s_wait_loadcnt_dscnt 0x0
	v_mul_f32_e32 v106, v106, v107
	s_cbranch_execz .LBB50_40
	s_branch .LBB50_41
.LBB50_39:
                                        ; implicit-def: $vgpr106
.LBB50_40:
	ds_load_b32 v106, v1
.LBB50_41:
	s_and_saveexec_b32 s17, s0
	s_cbranch_execz .LBB50_45
; %bb.42:
	v_subrev_nc_u32_e32 v107, 46, v0
	s_movk_i32 s0, 0xb8
	s_movk_i32 s19, 0x188
	s_mov_b32 s18, 0
.LBB50_43:                              ; =>This Inner Loop Header: Depth=1
	scratch_load_b32 v108, off, s0
	v_dual_mov_b32 v109, s19 :: v_dual_add_nc_u32 v107, -1, v107
	s_add_co_i32 s19, s19, 4
	s_wait_xcnt 0x0
	s_add_co_i32 s0, s0, 4
	ds_load_b32 v109, v109
	v_cmp_eq_u32_e32 vcc_lo, 0, v107
	s_or_b32 s18, vcc_lo, s18
	s_wait_loadcnt_dscnt 0x0
	v_fmac_f32_e32 v106, v108, v109
	s_and_not1_b32 exec_lo, exec_lo, s18
	s_cbranch_execnz .LBB50_43
; %bb.44:
	s_or_b32 exec_lo, exec_lo, s18
.LBB50_45:
	s_delay_alu instid0(SALU_CYCLE_1)
	s_or_b32 exec_lo, exec_lo, s17
	v_mov_b32_e32 v107, 0
	ds_load_b32 v107, v107 offset:180
	s_wait_dscnt 0x0
	v_mul_f32_e32 v106, v106, v107
	scratch_store_b32 off, v106, off offset:180
.LBB50_46:
	;; [unrolled: 58-line block ×3, first 2 shown]
	s_wait_xcnt 0x0
	s_or_b32 exec_lo, exec_lo, s2
	scratch_load_b32 v106, off, off offset:172
	v_cmp_lt_u32_e64 s1, 43, v0
	s_wait_loadcnt 0x0
	ds_store_b32 v1, v106
	s_wait_storecnt_dscnt 0x0
	s_barrier_signal -1
	s_barrier_wait -1
	s_wait_xcnt 0x0
	s_and_saveexec_b32 s2, s1
	s_cbranch_execz .LBB50_66
; %bb.57:
	s_and_not1_b32 vcc_lo, exec_lo, s3
	s_cbranch_vccnz .LBB50_59
; %bb.58:
	scratch_load_b32 v106, v7, off
	ds_load_b32 v107, v1
	s_wait_loadcnt_dscnt 0x0
	v_mul_f32_e32 v106, v106, v107
	s_cbranch_execz .LBB50_60
	s_branch .LBB50_61
.LBB50_59:
                                        ; implicit-def: $vgpr106
.LBB50_60:
	ds_load_b32 v106, v1
.LBB50_61:
	s_and_saveexec_b32 s17, s0
	s_cbranch_execz .LBB50_65
; %bb.62:
	v_subrev_nc_u32_e32 v107, 44, v0
	s_movk_i32 s18, 0x180
	s_mov_b32 s0, 0
.LBB50_63:                              ; =>This Inner Loop Header: Depth=1
	scratch_load_b32 v108, off, s16
	v_dual_mov_b32 v109, s18 :: v_dual_add_nc_u32 v107, -1, v107
	s_add_co_i32 s18, s18, 4
	s_wait_xcnt 0x0
	s_add_co_i32 s16, s16, 4
	ds_load_b32 v109, v109
	v_cmp_eq_u32_e32 vcc_lo, 0, v107
	s_or_b32 s0, vcc_lo, s0
	s_wait_loadcnt_dscnt 0x0
	v_fmac_f32_e32 v106, v108, v109
	s_and_not1_b32 exec_lo, exec_lo, s0
	s_cbranch_execnz .LBB50_63
; %bb.64:
	s_or_b32 exec_lo, exec_lo, s0
.LBB50_65:
	s_delay_alu instid0(SALU_CYCLE_1)
	s_or_b32 exec_lo, exec_lo, s17
	v_mov_b32_e32 v107, 0
	ds_load_b32 v107, v107 offset:172
	s_wait_dscnt 0x0
	v_mul_f32_e32 v106, v106, v107
	scratch_store_b32 off, v106, off offset:172
.LBB50_66:
	s_wait_xcnt 0x0
	s_or_b32 exec_lo, exec_lo, s2
	scratch_load_b32 v106, off, off offset:168
	v_cmp_lt_u32_e64 s0, 42, v0
	s_wait_loadcnt 0x0
	ds_store_b32 v1, v106
	s_wait_storecnt_dscnt 0x0
	s_barrier_signal -1
	s_barrier_wait -1
	s_wait_xcnt 0x0
	s_and_saveexec_b32 s2, s0
	s_cbranch_execz .LBB50_76
; %bb.67:
	s_and_not1_b32 vcc_lo, exec_lo, s3
	s_cbranch_vccnz .LBB50_69
; %bb.68:
	scratch_load_b32 v106, v7, off
	ds_load_b32 v107, v1
	s_wait_loadcnt_dscnt 0x0
	v_mul_f32_e32 v106, v106, v107
	s_cbranch_execz .LBB50_70
	s_branch .LBB50_71
.LBB50_69:
                                        ; implicit-def: $vgpr106
.LBB50_70:
	ds_load_b32 v106, v1
.LBB50_71:
	s_and_saveexec_b32 s16, s1
	s_cbranch_execz .LBB50_75
; %bb.72:
	v_subrev_nc_u32_e32 v107, 43, v0
	s_movk_i32 s1, 0xac
	s_movk_i32 s18, 0x17c
	s_mov_b32 s17, 0
.LBB50_73:                              ; =>This Inner Loop Header: Depth=1
	scratch_load_b32 v108, off, s1
	v_dual_mov_b32 v109, s18 :: v_dual_add_nc_u32 v107, -1, v107
	s_add_co_i32 s18, s18, 4
	s_wait_xcnt 0x0
	s_add_co_i32 s1, s1, 4
	ds_load_b32 v109, v109
	v_cmp_eq_u32_e32 vcc_lo, 0, v107
	s_or_b32 s17, vcc_lo, s17
	s_wait_loadcnt_dscnt 0x0
	v_fmac_f32_e32 v106, v108, v109
	s_and_not1_b32 exec_lo, exec_lo, s17
	s_cbranch_execnz .LBB50_73
; %bb.74:
	s_or_b32 exec_lo, exec_lo, s17
.LBB50_75:
	s_delay_alu instid0(SALU_CYCLE_1)
	s_or_b32 exec_lo, exec_lo, s16
	v_mov_b32_e32 v107, 0
	ds_load_b32 v107, v107 offset:168
	s_wait_dscnt 0x0
	v_mul_f32_e32 v106, v106, v107
	scratch_store_b32 off, v106, off offset:168
.LBB50_76:
	s_wait_xcnt 0x0
	s_or_b32 exec_lo, exec_lo, s2
	scratch_load_b32 v106, off, off offset:164
	v_cmp_lt_u32_e64 s1, 41, v0
	s_wait_loadcnt 0x0
	ds_store_b32 v1, v106
	s_wait_storecnt_dscnt 0x0
	s_barrier_signal -1
	s_barrier_wait -1
	s_wait_xcnt 0x0
	s_and_saveexec_b32 s2, s1
	s_cbranch_execz .LBB50_86
; %bb.77:
	s_and_not1_b32 vcc_lo, exec_lo, s3
	s_cbranch_vccnz .LBB50_79
; %bb.78:
	scratch_load_b32 v106, v7, off
	ds_load_b32 v107, v1
	s_wait_loadcnt_dscnt 0x0
	v_mul_f32_e32 v106, v106, v107
	s_cbranch_execz .LBB50_80
	s_branch .LBB50_81
.LBB50_79:
                                        ; implicit-def: $vgpr106
.LBB50_80:
	ds_load_b32 v106, v1
.LBB50_81:
	s_and_saveexec_b32 s16, s0
	s_cbranch_execz .LBB50_85
; %bb.82:
	v_subrev_nc_u32_e32 v107, 42, v0
	s_movk_i32 s0, 0xa8
	s_movk_i32 s18, 0x178
	s_mov_b32 s17, 0
.LBB50_83:                              ; =>This Inner Loop Header: Depth=1
	scratch_load_b32 v108, off, s0
	v_dual_mov_b32 v109, s18 :: v_dual_add_nc_u32 v107, -1, v107
	s_add_co_i32 s18, s18, 4
	s_wait_xcnt 0x0
	s_add_co_i32 s0, s0, 4
	ds_load_b32 v109, v109
	v_cmp_eq_u32_e32 vcc_lo, 0, v107
	s_or_b32 s17, vcc_lo, s17
	s_wait_loadcnt_dscnt 0x0
	v_fmac_f32_e32 v106, v108, v109
	s_and_not1_b32 exec_lo, exec_lo, s17
	s_cbranch_execnz .LBB50_83
; %bb.84:
	s_or_b32 exec_lo, exec_lo, s17
.LBB50_85:
	s_delay_alu instid0(SALU_CYCLE_1)
	s_or_b32 exec_lo, exec_lo, s16
	v_mov_b32_e32 v107, 0
	ds_load_b32 v107, v107 offset:164
	s_wait_dscnt 0x0
	v_mul_f32_e32 v106, v106, v107
	scratch_store_b32 off, v106, off offset:164
.LBB50_86:
	;; [unrolled: 58-line block ×3, first 2 shown]
	s_wait_xcnt 0x0
	s_or_b32 exec_lo, exec_lo, s2
	scratch_load_b32 v106, off, off offset:156
	v_cmp_lt_u32_e64 s1, 39, v0
	s_wait_loadcnt 0x0
	ds_store_b32 v1, v106
	s_wait_storecnt_dscnt 0x0
	s_barrier_signal -1
	s_barrier_wait -1
	s_wait_xcnt 0x0
	s_and_saveexec_b32 s2, s1
	s_cbranch_execz .LBB50_106
; %bb.97:
	s_and_not1_b32 vcc_lo, exec_lo, s3
	s_cbranch_vccnz .LBB50_99
; %bb.98:
	scratch_load_b32 v106, v7, off
	ds_load_b32 v107, v1
	s_wait_loadcnt_dscnt 0x0
	v_mul_f32_e32 v106, v106, v107
	s_cbranch_execz .LBB50_100
	s_branch .LBB50_101
.LBB50_99:
                                        ; implicit-def: $vgpr106
.LBB50_100:
	ds_load_b32 v106, v1
.LBB50_101:
	s_and_saveexec_b32 s16, s0
	s_cbranch_execz .LBB50_105
; %bb.102:
	v_subrev_nc_u32_e32 v107, 40, v0
	s_movk_i32 s17, 0x170
	s_mov_b32 s0, 0
.LBB50_103:                             ; =>This Inner Loop Header: Depth=1
	scratch_load_b32 v108, off, s15
	v_dual_mov_b32 v109, s17 :: v_dual_add_nc_u32 v107, -1, v107
	s_add_co_i32 s17, s17, 4
	s_wait_xcnt 0x0
	s_add_co_i32 s15, s15, 4
	ds_load_b32 v109, v109
	v_cmp_eq_u32_e32 vcc_lo, 0, v107
	s_or_b32 s0, vcc_lo, s0
	s_wait_loadcnt_dscnt 0x0
	v_fmac_f32_e32 v106, v108, v109
	s_and_not1_b32 exec_lo, exec_lo, s0
	s_cbranch_execnz .LBB50_103
; %bb.104:
	s_or_b32 exec_lo, exec_lo, s0
.LBB50_105:
	s_delay_alu instid0(SALU_CYCLE_1)
	s_or_b32 exec_lo, exec_lo, s16
	v_mov_b32_e32 v107, 0
	ds_load_b32 v107, v107 offset:156
	s_wait_dscnt 0x0
	v_mul_f32_e32 v106, v106, v107
	scratch_store_b32 off, v106, off offset:156
.LBB50_106:
	s_wait_xcnt 0x0
	s_or_b32 exec_lo, exec_lo, s2
	scratch_load_b32 v106, off, off offset:152
	v_cmp_lt_u32_e64 s0, 38, v0
	s_wait_loadcnt 0x0
	ds_store_b32 v1, v106
	s_wait_storecnt_dscnt 0x0
	s_barrier_signal -1
	s_barrier_wait -1
	s_wait_xcnt 0x0
	s_and_saveexec_b32 s2, s0
	s_cbranch_execz .LBB50_116
; %bb.107:
	s_and_not1_b32 vcc_lo, exec_lo, s3
	s_cbranch_vccnz .LBB50_109
; %bb.108:
	scratch_load_b32 v106, v7, off
	ds_load_b32 v107, v1
	s_wait_loadcnt_dscnt 0x0
	v_mul_f32_e32 v106, v106, v107
	s_cbranch_execz .LBB50_110
	s_branch .LBB50_111
.LBB50_109:
                                        ; implicit-def: $vgpr106
.LBB50_110:
	ds_load_b32 v106, v1
.LBB50_111:
	s_and_saveexec_b32 s15, s1
	s_cbranch_execz .LBB50_115
; %bb.112:
	v_subrev_nc_u32_e32 v107, 39, v0
	s_movk_i32 s1, 0x9c
	s_movk_i32 s17, 0x16c
	s_mov_b32 s16, 0
.LBB50_113:                             ; =>This Inner Loop Header: Depth=1
	scratch_load_b32 v108, off, s1
	v_dual_mov_b32 v109, s17 :: v_dual_add_nc_u32 v107, -1, v107
	s_add_co_i32 s17, s17, 4
	s_wait_xcnt 0x0
	s_add_co_i32 s1, s1, 4
	ds_load_b32 v109, v109
	v_cmp_eq_u32_e32 vcc_lo, 0, v107
	s_or_b32 s16, vcc_lo, s16
	s_wait_loadcnt_dscnt 0x0
	v_fmac_f32_e32 v106, v108, v109
	s_and_not1_b32 exec_lo, exec_lo, s16
	s_cbranch_execnz .LBB50_113
; %bb.114:
	s_or_b32 exec_lo, exec_lo, s16
.LBB50_115:
	s_delay_alu instid0(SALU_CYCLE_1)
	s_or_b32 exec_lo, exec_lo, s15
	v_mov_b32_e32 v107, 0
	ds_load_b32 v107, v107 offset:152
	s_wait_dscnt 0x0
	v_mul_f32_e32 v106, v106, v107
	scratch_store_b32 off, v106, off offset:152
.LBB50_116:
	s_wait_xcnt 0x0
	s_or_b32 exec_lo, exec_lo, s2
	scratch_load_b32 v106, off, off offset:148
	v_cmp_lt_u32_e64 s1, 37, v0
	s_wait_loadcnt 0x0
	ds_store_b32 v1, v106
	s_wait_storecnt_dscnt 0x0
	s_barrier_signal -1
	s_barrier_wait -1
	s_wait_xcnt 0x0
	s_and_saveexec_b32 s2, s1
	s_cbranch_execz .LBB50_126
; %bb.117:
	s_and_not1_b32 vcc_lo, exec_lo, s3
	s_cbranch_vccnz .LBB50_119
; %bb.118:
	scratch_load_b32 v106, v7, off
	ds_load_b32 v107, v1
	s_wait_loadcnt_dscnt 0x0
	v_mul_f32_e32 v106, v106, v107
	s_cbranch_execz .LBB50_120
	s_branch .LBB50_121
.LBB50_119:
                                        ; implicit-def: $vgpr106
.LBB50_120:
	ds_load_b32 v106, v1
.LBB50_121:
	s_and_saveexec_b32 s15, s0
	s_cbranch_execz .LBB50_125
; %bb.122:
	v_subrev_nc_u32_e32 v107, 38, v0
	s_movk_i32 s0, 0x98
	s_movk_i32 s17, 0x168
	s_mov_b32 s16, 0
.LBB50_123:                             ; =>This Inner Loop Header: Depth=1
	scratch_load_b32 v108, off, s0
	v_dual_mov_b32 v109, s17 :: v_dual_add_nc_u32 v107, -1, v107
	s_add_co_i32 s17, s17, 4
	s_wait_xcnt 0x0
	s_add_co_i32 s0, s0, 4
	ds_load_b32 v109, v109
	v_cmp_eq_u32_e32 vcc_lo, 0, v107
	s_or_b32 s16, vcc_lo, s16
	s_wait_loadcnt_dscnt 0x0
	v_fmac_f32_e32 v106, v108, v109
	s_and_not1_b32 exec_lo, exec_lo, s16
	s_cbranch_execnz .LBB50_123
; %bb.124:
	s_or_b32 exec_lo, exec_lo, s16
.LBB50_125:
	s_delay_alu instid0(SALU_CYCLE_1)
	s_or_b32 exec_lo, exec_lo, s15
	v_mov_b32_e32 v107, 0
	ds_load_b32 v107, v107 offset:148
	s_wait_dscnt 0x0
	v_mul_f32_e32 v106, v106, v107
	scratch_store_b32 off, v106, off offset:148
.LBB50_126:
	;; [unrolled: 58-line block ×3, first 2 shown]
	s_wait_xcnt 0x0
	s_or_b32 exec_lo, exec_lo, s2
	scratch_load_b32 v106, off, off offset:140
	v_cmp_lt_u32_e64 s1, 35, v0
	s_wait_loadcnt 0x0
	ds_store_b32 v1, v106
	s_wait_storecnt_dscnt 0x0
	s_barrier_signal -1
	s_barrier_wait -1
	s_wait_xcnt 0x0
	s_and_saveexec_b32 s2, s1
	s_cbranch_execz .LBB50_146
; %bb.137:
	s_and_not1_b32 vcc_lo, exec_lo, s3
	s_cbranch_vccnz .LBB50_139
; %bb.138:
	scratch_load_b32 v106, v7, off
	ds_load_b32 v107, v1
	s_wait_loadcnt_dscnt 0x0
	v_mul_f32_e32 v106, v106, v107
	s_cbranch_execz .LBB50_140
	s_branch .LBB50_141
.LBB50_139:
                                        ; implicit-def: $vgpr106
.LBB50_140:
	ds_load_b32 v106, v1
.LBB50_141:
	s_and_saveexec_b32 s15, s0
	s_cbranch_execz .LBB50_145
; %bb.142:
	v_subrev_nc_u32_e32 v107, 36, v0
	s_movk_i32 s16, 0x160
	s_mov_b32 s0, 0
.LBB50_143:                             ; =>This Inner Loop Header: Depth=1
	scratch_load_b32 v108, off, s14
	v_dual_mov_b32 v109, s16 :: v_dual_add_nc_u32 v107, -1, v107
	s_add_co_i32 s16, s16, 4
	s_wait_xcnt 0x0
	s_add_co_i32 s14, s14, 4
	ds_load_b32 v109, v109
	v_cmp_eq_u32_e32 vcc_lo, 0, v107
	s_or_b32 s0, vcc_lo, s0
	s_wait_loadcnt_dscnt 0x0
	v_fmac_f32_e32 v106, v108, v109
	s_and_not1_b32 exec_lo, exec_lo, s0
	s_cbranch_execnz .LBB50_143
; %bb.144:
	s_or_b32 exec_lo, exec_lo, s0
.LBB50_145:
	s_delay_alu instid0(SALU_CYCLE_1)
	s_or_b32 exec_lo, exec_lo, s15
	v_mov_b32_e32 v107, 0
	ds_load_b32 v107, v107 offset:140
	s_wait_dscnt 0x0
	v_mul_f32_e32 v106, v106, v107
	scratch_store_b32 off, v106, off offset:140
.LBB50_146:
	s_wait_xcnt 0x0
	s_or_b32 exec_lo, exec_lo, s2
	scratch_load_b32 v106, off, off offset:136
	v_cmp_lt_u32_e64 s0, 34, v0
	s_wait_loadcnt 0x0
	ds_store_b32 v1, v106
	s_wait_storecnt_dscnt 0x0
	s_barrier_signal -1
	s_barrier_wait -1
	s_wait_xcnt 0x0
	s_and_saveexec_b32 s2, s0
	s_cbranch_execz .LBB50_156
; %bb.147:
	s_and_not1_b32 vcc_lo, exec_lo, s3
	s_cbranch_vccnz .LBB50_149
; %bb.148:
	scratch_load_b32 v106, v7, off
	ds_load_b32 v107, v1
	s_wait_loadcnt_dscnt 0x0
	v_mul_f32_e32 v106, v106, v107
	s_cbranch_execz .LBB50_150
	s_branch .LBB50_151
.LBB50_149:
                                        ; implicit-def: $vgpr106
.LBB50_150:
	ds_load_b32 v106, v1
.LBB50_151:
	s_and_saveexec_b32 s14, s1
	s_cbranch_execz .LBB50_155
; %bb.152:
	v_subrev_nc_u32_e32 v107, 35, v0
	s_movk_i32 s1, 0x8c
	s_movk_i32 s16, 0x15c
	s_mov_b32 s15, 0
.LBB50_153:                             ; =>This Inner Loop Header: Depth=1
	scratch_load_b32 v108, off, s1
	v_dual_mov_b32 v109, s16 :: v_dual_add_nc_u32 v107, -1, v107
	s_add_co_i32 s16, s16, 4
	s_wait_xcnt 0x0
	s_add_co_i32 s1, s1, 4
	ds_load_b32 v109, v109
	v_cmp_eq_u32_e32 vcc_lo, 0, v107
	s_or_b32 s15, vcc_lo, s15
	s_wait_loadcnt_dscnt 0x0
	v_fmac_f32_e32 v106, v108, v109
	s_and_not1_b32 exec_lo, exec_lo, s15
	s_cbranch_execnz .LBB50_153
; %bb.154:
	s_or_b32 exec_lo, exec_lo, s15
.LBB50_155:
	s_delay_alu instid0(SALU_CYCLE_1)
	s_or_b32 exec_lo, exec_lo, s14
	v_mov_b32_e32 v107, 0
	ds_load_b32 v107, v107 offset:136
	s_wait_dscnt 0x0
	v_mul_f32_e32 v106, v106, v107
	scratch_store_b32 off, v106, off offset:136
.LBB50_156:
	s_wait_xcnt 0x0
	s_or_b32 exec_lo, exec_lo, s2
	scratch_load_b32 v106, off, off offset:132
	v_cmp_lt_u32_e64 s1, 33, v0
	s_wait_loadcnt 0x0
	ds_store_b32 v1, v106
	s_wait_storecnt_dscnt 0x0
	s_barrier_signal -1
	s_barrier_wait -1
	s_wait_xcnt 0x0
	s_and_saveexec_b32 s2, s1
	s_cbranch_execz .LBB50_166
; %bb.157:
	s_and_not1_b32 vcc_lo, exec_lo, s3
	s_cbranch_vccnz .LBB50_159
; %bb.158:
	scratch_load_b32 v106, v7, off
	ds_load_b32 v107, v1
	s_wait_loadcnt_dscnt 0x0
	v_mul_f32_e32 v106, v106, v107
	s_cbranch_execz .LBB50_160
	s_branch .LBB50_161
.LBB50_159:
                                        ; implicit-def: $vgpr106
.LBB50_160:
	ds_load_b32 v106, v1
.LBB50_161:
	s_and_saveexec_b32 s14, s0
	s_cbranch_execz .LBB50_165
; %bb.162:
	v_subrev_nc_u32_e32 v107, 34, v0
	s_movk_i32 s0, 0x88
	s_movk_i32 s16, 0x158
	s_mov_b32 s15, 0
.LBB50_163:                             ; =>This Inner Loop Header: Depth=1
	scratch_load_b32 v108, off, s0
	v_dual_mov_b32 v109, s16 :: v_dual_add_nc_u32 v107, -1, v107
	s_add_co_i32 s16, s16, 4
	s_wait_xcnt 0x0
	s_add_co_i32 s0, s0, 4
	ds_load_b32 v109, v109
	v_cmp_eq_u32_e32 vcc_lo, 0, v107
	s_or_b32 s15, vcc_lo, s15
	s_wait_loadcnt_dscnt 0x0
	v_fmac_f32_e32 v106, v108, v109
	s_and_not1_b32 exec_lo, exec_lo, s15
	s_cbranch_execnz .LBB50_163
; %bb.164:
	s_or_b32 exec_lo, exec_lo, s15
.LBB50_165:
	s_delay_alu instid0(SALU_CYCLE_1)
	s_or_b32 exec_lo, exec_lo, s14
	v_mov_b32_e32 v107, 0
	ds_load_b32 v107, v107 offset:132
	s_wait_dscnt 0x0
	v_mul_f32_e32 v106, v106, v107
	scratch_store_b32 off, v106, off offset:132
.LBB50_166:
	;; [unrolled: 58-line block ×3, first 2 shown]
	s_wait_xcnt 0x0
	s_or_b32 exec_lo, exec_lo, s2
	scratch_load_b32 v106, off, off offset:124
	v_cmp_lt_u32_e64 s1, 31, v0
	s_wait_loadcnt 0x0
	ds_store_b32 v1, v106
	s_wait_storecnt_dscnt 0x0
	s_barrier_signal -1
	s_barrier_wait -1
	s_wait_xcnt 0x0
	s_and_saveexec_b32 s2, s1
	s_cbranch_execz .LBB50_186
; %bb.177:
	s_and_not1_b32 vcc_lo, exec_lo, s3
	s_cbranch_vccnz .LBB50_179
; %bb.178:
	scratch_load_b32 v106, v7, off
	ds_load_b32 v107, v1
	s_wait_loadcnt_dscnt 0x0
	v_mul_f32_e32 v106, v106, v107
	s_cbranch_execz .LBB50_180
	s_branch .LBB50_181
.LBB50_179:
                                        ; implicit-def: $vgpr106
.LBB50_180:
	ds_load_b32 v106, v1
.LBB50_181:
	s_and_saveexec_b32 s14, s0
	s_cbranch_execz .LBB50_185
; %bb.182:
	v_subrev_nc_u32_e32 v107, 32, v0
	s_movk_i32 s15, 0x150
	s_mov_b32 s0, 0
.LBB50_183:                             ; =>This Inner Loop Header: Depth=1
	scratch_load_b32 v108, off, s13
	v_dual_mov_b32 v109, s15 :: v_dual_add_nc_u32 v107, -1, v107
	s_add_co_i32 s15, s15, 4
	s_wait_xcnt 0x0
	s_add_co_i32 s13, s13, 4
	ds_load_b32 v109, v109
	v_cmp_eq_u32_e32 vcc_lo, 0, v107
	s_or_b32 s0, vcc_lo, s0
	s_wait_loadcnt_dscnt 0x0
	v_fmac_f32_e32 v106, v108, v109
	s_and_not1_b32 exec_lo, exec_lo, s0
	s_cbranch_execnz .LBB50_183
; %bb.184:
	s_or_b32 exec_lo, exec_lo, s0
.LBB50_185:
	s_delay_alu instid0(SALU_CYCLE_1)
	s_or_b32 exec_lo, exec_lo, s14
	v_mov_b32_e32 v107, 0
	ds_load_b32 v107, v107 offset:124
	s_wait_dscnt 0x0
	v_mul_f32_e32 v106, v106, v107
	scratch_store_b32 off, v106, off offset:124
.LBB50_186:
	s_wait_xcnt 0x0
	s_or_b32 exec_lo, exec_lo, s2
	scratch_load_b32 v106, off, off offset:120
	v_cmp_lt_u32_e64 s0, 30, v0
	s_wait_loadcnt 0x0
	ds_store_b32 v1, v106
	s_wait_storecnt_dscnt 0x0
	s_barrier_signal -1
	s_barrier_wait -1
	s_wait_xcnt 0x0
	s_and_saveexec_b32 s2, s0
	s_cbranch_execz .LBB50_196
; %bb.187:
	s_and_not1_b32 vcc_lo, exec_lo, s3
	s_cbranch_vccnz .LBB50_189
; %bb.188:
	scratch_load_b32 v106, v7, off
	ds_load_b32 v107, v1
	s_wait_loadcnt_dscnt 0x0
	v_mul_f32_e32 v106, v106, v107
	s_cbranch_execz .LBB50_190
	s_branch .LBB50_191
.LBB50_189:
                                        ; implicit-def: $vgpr106
.LBB50_190:
	ds_load_b32 v106, v1
.LBB50_191:
	s_and_saveexec_b32 s13, s1
	s_cbranch_execz .LBB50_195
; %bb.192:
	v_subrev_nc_u32_e32 v107, 31, v0
	s_movk_i32 s1, 0x7c
	s_movk_i32 s15, 0x14c
	s_mov_b32 s14, 0
.LBB50_193:                             ; =>This Inner Loop Header: Depth=1
	scratch_load_b32 v108, off, s1
	v_dual_mov_b32 v109, s15 :: v_dual_add_nc_u32 v107, -1, v107
	s_add_co_i32 s15, s15, 4
	s_wait_xcnt 0x0
	s_add_co_i32 s1, s1, 4
	ds_load_b32 v109, v109
	v_cmp_eq_u32_e32 vcc_lo, 0, v107
	s_or_b32 s14, vcc_lo, s14
	s_wait_loadcnt_dscnt 0x0
	v_fmac_f32_e32 v106, v108, v109
	s_and_not1_b32 exec_lo, exec_lo, s14
	s_cbranch_execnz .LBB50_193
; %bb.194:
	s_or_b32 exec_lo, exec_lo, s14
.LBB50_195:
	s_delay_alu instid0(SALU_CYCLE_1)
	s_or_b32 exec_lo, exec_lo, s13
	v_mov_b32_e32 v107, 0
	ds_load_b32 v107, v107 offset:120
	s_wait_dscnt 0x0
	v_mul_f32_e32 v106, v106, v107
	scratch_store_b32 off, v106, off offset:120
.LBB50_196:
	s_wait_xcnt 0x0
	s_or_b32 exec_lo, exec_lo, s2
	scratch_load_b32 v106, off, off offset:116
	v_cmp_lt_u32_e64 s1, 29, v0
	s_wait_loadcnt 0x0
	ds_store_b32 v1, v106
	s_wait_storecnt_dscnt 0x0
	s_barrier_signal -1
	s_barrier_wait -1
	s_wait_xcnt 0x0
	s_and_saveexec_b32 s2, s1
	s_cbranch_execz .LBB50_206
; %bb.197:
	s_and_not1_b32 vcc_lo, exec_lo, s3
	s_cbranch_vccnz .LBB50_199
; %bb.198:
	scratch_load_b32 v106, v7, off
	ds_load_b32 v107, v1
	s_wait_loadcnt_dscnt 0x0
	v_mul_f32_e32 v106, v106, v107
	s_cbranch_execz .LBB50_200
	s_branch .LBB50_201
.LBB50_199:
                                        ; implicit-def: $vgpr106
.LBB50_200:
	ds_load_b32 v106, v1
.LBB50_201:
	s_and_saveexec_b32 s13, s0
	s_cbranch_execz .LBB50_205
; %bb.202:
	v_subrev_nc_u32_e32 v107, 30, v0
	s_movk_i32 s0, 0x78
	s_movk_i32 s15, 0x148
	s_mov_b32 s14, 0
.LBB50_203:                             ; =>This Inner Loop Header: Depth=1
	scratch_load_b32 v108, off, s0
	v_dual_mov_b32 v109, s15 :: v_dual_add_nc_u32 v107, -1, v107
	s_add_co_i32 s15, s15, 4
	s_wait_xcnt 0x0
	s_add_co_i32 s0, s0, 4
	ds_load_b32 v109, v109
	v_cmp_eq_u32_e32 vcc_lo, 0, v107
	s_or_b32 s14, vcc_lo, s14
	s_wait_loadcnt_dscnt 0x0
	v_fmac_f32_e32 v106, v108, v109
	s_and_not1_b32 exec_lo, exec_lo, s14
	s_cbranch_execnz .LBB50_203
; %bb.204:
	s_or_b32 exec_lo, exec_lo, s14
.LBB50_205:
	s_delay_alu instid0(SALU_CYCLE_1)
	s_or_b32 exec_lo, exec_lo, s13
	v_mov_b32_e32 v107, 0
	ds_load_b32 v107, v107 offset:116
	s_wait_dscnt 0x0
	v_mul_f32_e32 v106, v106, v107
	scratch_store_b32 off, v106, off offset:116
.LBB50_206:
	;; [unrolled: 58-line block ×3, first 2 shown]
	s_wait_xcnt 0x0
	s_or_b32 exec_lo, exec_lo, s2
	scratch_load_b32 v106, off, off offset:108
	v_cmp_lt_u32_e64 s1, 27, v0
	s_wait_loadcnt 0x0
	ds_store_b32 v1, v106
	s_wait_storecnt_dscnt 0x0
	s_barrier_signal -1
	s_barrier_wait -1
	s_wait_xcnt 0x0
	s_and_saveexec_b32 s2, s1
	s_cbranch_execz .LBB50_226
; %bb.217:
	s_and_not1_b32 vcc_lo, exec_lo, s3
	s_cbranch_vccnz .LBB50_219
; %bb.218:
	scratch_load_b32 v106, v7, off
	ds_load_b32 v107, v1
	s_wait_loadcnt_dscnt 0x0
	v_mul_f32_e32 v106, v106, v107
	s_cbranch_execz .LBB50_220
	s_branch .LBB50_221
.LBB50_219:
                                        ; implicit-def: $vgpr106
.LBB50_220:
	ds_load_b32 v106, v1
.LBB50_221:
	s_and_saveexec_b32 s13, s0
	s_cbranch_execz .LBB50_225
; %bb.222:
	v_subrev_nc_u32_e32 v107, 28, v0
	s_movk_i32 s14, 0x140
	s_mov_b32 s0, 0
.LBB50_223:                             ; =>This Inner Loop Header: Depth=1
	scratch_load_b32 v108, off, s12
	v_dual_mov_b32 v109, s14 :: v_dual_add_nc_u32 v107, -1, v107
	s_add_co_i32 s14, s14, 4
	s_wait_xcnt 0x0
	s_add_co_i32 s12, s12, 4
	ds_load_b32 v109, v109
	v_cmp_eq_u32_e32 vcc_lo, 0, v107
	s_or_b32 s0, vcc_lo, s0
	s_wait_loadcnt_dscnt 0x0
	v_fmac_f32_e32 v106, v108, v109
	s_and_not1_b32 exec_lo, exec_lo, s0
	s_cbranch_execnz .LBB50_223
; %bb.224:
	s_or_b32 exec_lo, exec_lo, s0
.LBB50_225:
	s_delay_alu instid0(SALU_CYCLE_1)
	s_or_b32 exec_lo, exec_lo, s13
	v_mov_b32_e32 v107, 0
	ds_load_b32 v107, v107 offset:108
	s_wait_dscnt 0x0
	v_mul_f32_e32 v106, v106, v107
	scratch_store_b32 off, v106, off offset:108
.LBB50_226:
	s_wait_xcnt 0x0
	s_or_b32 exec_lo, exec_lo, s2
	scratch_load_b32 v106, off, off offset:104
	v_cmp_lt_u32_e64 s0, 26, v0
	s_wait_loadcnt 0x0
	ds_store_b32 v1, v106
	s_wait_storecnt_dscnt 0x0
	s_barrier_signal -1
	s_barrier_wait -1
	s_wait_xcnt 0x0
	s_and_saveexec_b32 s2, s0
	s_cbranch_execz .LBB50_236
; %bb.227:
	s_and_not1_b32 vcc_lo, exec_lo, s3
	s_cbranch_vccnz .LBB50_229
; %bb.228:
	scratch_load_b32 v106, v7, off
	ds_load_b32 v107, v1
	s_wait_loadcnt_dscnt 0x0
	v_mul_f32_e32 v106, v106, v107
	s_cbranch_execz .LBB50_230
	s_branch .LBB50_231
.LBB50_229:
                                        ; implicit-def: $vgpr106
.LBB50_230:
	ds_load_b32 v106, v1
.LBB50_231:
	s_and_saveexec_b32 s12, s1
	s_cbranch_execz .LBB50_235
; %bb.232:
	v_subrev_nc_u32_e32 v107, 27, v0
	s_movk_i32 s1, 0x6c
	s_movk_i32 s14, 0x13c
	s_mov_b32 s13, 0
.LBB50_233:                             ; =>This Inner Loop Header: Depth=1
	scratch_load_b32 v108, off, s1
	v_dual_mov_b32 v109, s14 :: v_dual_add_nc_u32 v107, -1, v107
	s_add_co_i32 s14, s14, 4
	s_wait_xcnt 0x0
	s_add_co_i32 s1, s1, 4
	ds_load_b32 v109, v109
	v_cmp_eq_u32_e32 vcc_lo, 0, v107
	s_or_b32 s13, vcc_lo, s13
	s_wait_loadcnt_dscnt 0x0
	v_fmac_f32_e32 v106, v108, v109
	s_and_not1_b32 exec_lo, exec_lo, s13
	s_cbranch_execnz .LBB50_233
; %bb.234:
	s_or_b32 exec_lo, exec_lo, s13
.LBB50_235:
	s_delay_alu instid0(SALU_CYCLE_1)
	s_or_b32 exec_lo, exec_lo, s12
	v_mov_b32_e32 v107, 0
	ds_load_b32 v107, v107 offset:104
	s_wait_dscnt 0x0
	v_mul_f32_e32 v106, v106, v107
	scratch_store_b32 off, v106, off offset:104
.LBB50_236:
	s_wait_xcnt 0x0
	s_or_b32 exec_lo, exec_lo, s2
	scratch_load_b32 v106, off, off offset:100
	v_cmp_lt_u32_e64 s1, 25, v0
	s_wait_loadcnt 0x0
	ds_store_b32 v1, v106
	s_wait_storecnt_dscnt 0x0
	s_barrier_signal -1
	s_barrier_wait -1
	s_wait_xcnt 0x0
	s_and_saveexec_b32 s2, s1
	s_cbranch_execz .LBB50_246
; %bb.237:
	s_and_not1_b32 vcc_lo, exec_lo, s3
	s_cbranch_vccnz .LBB50_239
; %bb.238:
	scratch_load_b32 v106, v7, off
	ds_load_b32 v107, v1
	s_wait_loadcnt_dscnt 0x0
	v_mul_f32_e32 v106, v106, v107
	s_cbranch_execz .LBB50_240
	s_branch .LBB50_241
.LBB50_239:
                                        ; implicit-def: $vgpr106
.LBB50_240:
	ds_load_b32 v106, v1
.LBB50_241:
	s_and_saveexec_b32 s12, s0
	s_cbranch_execz .LBB50_245
; %bb.242:
	v_subrev_nc_u32_e32 v107, 26, v0
	s_movk_i32 s0, 0x68
	s_movk_i32 s14, 0x138
	s_mov_b32 s13, 0
.LBB50_243:                             ; =>This Inner Loop Header: Depth=1
	scratch_load_b32 v108, off, s0
	v_dual_mov_b32 v109, s14 :: v_dual_add_nc_u32 v107, -1, v107
	s_add_co_i32 s14, s14, 4
	s_wait_xcnt 0x0
	s_add_co_i32 s0, s0, 4
	ds_load_b32 v109, v109
	v_cmp_eq_u32_e32 vcc_lo, 0, v107
	s_or_b32 s13, vcc_lo, s13
	s_wait_loadcnt_dscnt 0x0
	v_fmac_f32_e32 v106, v108, v109
	s_and_not1_b32 exec_lo, exec_lo, s13
	s_cbranch_execnz .LBB50_243
; %bb.244:
	s_or_b32 exec_lo, exec_lo, s13
.LBB50_245:
	s_delay_alu instid0(SALU_CYCLE_1)
	s_or_b32 exec_lo, exec_lo, s12
	v_mov_b32_e32 v107, 0
	ds_load_b32 v107, v107 offset:100
	s_wait_dscnt 0x0
	v_mul_f32_e32 v106, v106, v107
	scratch_store_b32 off, v106, off offset:100
.LBB50_246:
	s_wait_xcnt 0x0
	s_or_b32 exec_lo, exec_lo, s2
	scratch_load_b32 v106, off, off offset:96
	v_cmp_lt_u32_e64 s0, 24, v0
	s_wait_loadcnt 0x0
	ds_store_b32 v1, v106
	s_wait_storecnt_dscnt 0x0
	s_barrier_signal -1
	s_barrier_wait -1
	s_wait_xcnt 0x0
	s_and_saveexec_b32 s2, s0
	s_cbranch_execz .LBB50_256
; %bb.247:
	s_and_not1_b32 vcc_lo, exec_lo, s3
	s_cbranch_vccnz .LBB50_249
; %bb.248:
	scratch_load_b32 v106, v7, off
	ds_load_b32 v107, v1
	s_wait_loadcnt_dscnt 0x0
	v_mul_f32_e32 v106, v106, v107
	s_cbranch_execz .LBB50_250
	s_branch .LBB50_251
.LBB50_249:
                                        ; implicit-def: $vgpr106
.LBB50_250:
	ds_load_b32 v106, v1
.LBB50_251:
	s_and_saveexec_b32 s12, s1
	s_cbranch_execz .LBB50_255
; %bb.252:
	v_subrev_nc_u32_e32 v107, 25, v0
	s_movk_i32 s1, 0x64
	s_movk_i32 s14, 0x134
	s_mov_b32 s13, 0
.LBB50_253:                             ; =>This Inner Loop Header: Depth=1
	scratch_load_b32 v108, off, s1
	v_dual_mov_b32 v109, s14 :: v_dual_add_nc_u32 v107, -1, v107
	s_add_co_i32 s14, s14, 4
	s_wait_xcnt 0x0
	s_add_co_i32 s1, s1, 4
	ds_load_b32 v109, v109
	v_cmp_eq_u32_e32 vcc_lo, 0, v107
	s_or_b32 s13, vcc_lo, s13
	s_wait_loadcnt_dscnt 0x0
	v_fmac_f32_e32 v106, v108, v109
	s_and_not1_b32 exec_lo, exec_lo, s13
	s_cbranch_execnz .LBB50_253
; %bb.254:
	s_or_b32 exec_lo, exec_lo, s13
.LBB50_255:
	s_delay_alu instid0(SALU_CYCLE_1)
	s_or_b32 exec_lo, exec_lo, s12
	v_mov_b32_e32 v107, 0
	ds_load_b32 v107, v107 offset:96
	s_wait_dscnt 0x0
	v_mul_f32_e32 v106, v106, v107
	scratch_store_b32 off, v106, off offset:96
.LBB50_256:
	s_wait_xcnt 0x0
	s_or_b32 exec_lo, exec_lo, s2
	scratch_load_b32 v106, off, off offset:92
	v_cmp_lt_u32_e64 s1, 23, v0
	s_wait_loadcnt 0x0
	ds_store_b32 v1, v106
	s_wait_storecnt_dscnt 0x0
	s_barrier_signal -1
	s_barrier_wait -1
	s_wait_xcnt 0x0
	s_and_saveexec_b32 s2, s1
	s_cbranch_execz .LBB50_266
; %bb.257:
	s_and_not1_b32 vcc_lo, exec_lo, s3
	s_cbranch_vccnz .LBB50_259
; %bb.258:
	scratch_load_b32 v106, v7, off
	ds_load_b32 v107, v1
	s_wait_loadcnt_dscnt 0x0
	v_mul_f32_e32 v106, v106, v107
	s_cbranch_execz .LBB50_260
	s_branch .LBB50_261
.LBB50_259:
                                        ; implicit-def: $vgpr106
.LBB50_260:
	ds_load_b32 v106, v1
.LBB50_261:
	s_and_saveexec_b32 s12, s0
	s_cbranch_execz .LBB50_265
; %bb.262:
	v_subrev_nc_u32_e32 v107, 24, v0
	s_movk_i32 s13, 0x130
	s_mov_b32 s0, 0
.LBB50_263:                             ; =>This Inner Loop Header: Depth=1
	scratch_load_b32 v108, off, s11
	v_dual_mov_b32 v109, s13 :: v_dual_add_nc_u32 v107, -1, v107
	s_add_co_i32 s13, s13, 4
	s_wait_xcnt 0x0
	s_add_co_i32 s11, s11, 4
	ds_load_b32 v109, v109
	v_cmp_eq_u32_e32 vcc_lo, 0, v107
	s_or_b32 s0, vcc_lo, s0
	s_wait_loadcnt_dscnt 0x0
	v_fmac_f32_e32 v106, v108, v109
	s_and_not1_b32 exec_lo, exec_lo, s0
	s_cbranch_execnz .LBB50_263
; %bb.264:
	s_or_b32 exec_lo, exec_lo, s0
.LBB50_265:
	s_delay_alu instid0(SALU_CYCLE_1)
	s_or_b32 exec_lo, exec_lo, s12
	v_mov_b32_e32 v107, 0
	ds_load_b32 v107, v107 offset:92
	s_wait_dscnt 0x0
	v_mul_f32_e32 v106, v106, v107
	scratch_store_b32 off, v106, off offset:92
.LBB50_266:
	s_wait_xcnt 0x0
	s_or_b32 exec_lo, exec_lo, s2
	scratch_load_b32 v106, off, off offset:88
	v_cmp_lt_u32_e64 s0, 22, v0
	s_wait_loadcnt 0x0
	ds_store_b32 v1, v106
	s_wait_storecnt_dscnt 0x0
	s_barrier_signal -1
	s_barrier_wait -1
	s_wait_xcnt 0x0
	s_and_saveexec_b32 s2, s0
	s_cbranch_execz .LBB50_276
; %bb.267:
	s_and_not1_b32 vcc_lo, exec_lo, s3
	s_cbranch_vccnz .LBB50_269
; %bb.268:
	scratch_load_b32 v106, v7, off
	ds_load_b32 v107, v1
	s_wait_loadcnt_dscnt 0x0
	v_mul_f32_e32 v106, v106, v107
	s_cbranch_execz .LBB50_270
	s_branch .LBB50_271
.LBB50_269:
                                        ; implicit-def: $vgpr106
.LBB50_270:
	ds_load_b32 v106, v1
.LBB50_271:
	s_and_saveexec_b32 s11, s1
	s_cbranch_execz .LBB50_275
; %bb.272:
	v_subrev_nc_u32_e32 v107, 23, v0
	s_movk_i32 s1, 0x5c
	s_movk_i32 s13, 0x12c
	s_mov_b32 s12, 0
.LBB50_273:                             ; =>This Inner Loop Header: Depth=1
	scratch_load_b32 v108, off, s1
	v_dual_mov_b32 v109, s13 :: v_dual_add_nc_u32 v107, -1, v107
	s_add_co_i32 s13, s13, 4
	s_wait_xcnt 0x0
	s_add_co_i32 s1, s1, 4
	ds_load_b32 v109, v109
	v_cmp_eq_u32_e32 vcc_lo, 0, v107
	s_or_b32 s12, vcc_lo, s12
	s_wait_loadcnt_dscnt 0x0
	v_fmac_f32_e32 v106, v108, v109
	s_and_not1_b32 exec_lo, exec_lo, s12
	s_cbranch_execnz .LBB50_273
; %bb.274:
	s_or_b32 exec_lo, exec_lo, s12
.LBB50_275:
	s_delay_alu instid0(SALU_CYCLE_1)
	s_or_b32 exec_lo, exec_lo, s11
	v_mov_b32_e32 v107, 0
	ds_load_b32 v107, v107 offset:88
	s_wait_dscnt 0x0
	v_mul_f32_e32 v106, v106, v107
	scratch_store_b32 off, v106, off offset:88
.LBB50_276:
	s_wait_xcnt 0x0
	s_or_b32 exec_lo, exec_lo, s2
	scratch_load_b32 v106, off, off offset:84
	v_cmp_lt_u32_e64 s1, 21, v0
	s_wait_loadcnt 0x0
	ds_store_b32 v1, v106
	s_wait_storecnt_dscnt 0x0
	s_barrier_signal -1
	s_barrier_wait -1
	s_wait_xcnt 0x0
	s_and_saveexec_b32 s2, s1
	s_cbranch_execz .LBB50_286
; %bb.277:
	s_and_not1_b32 vcc_lo, exec_lo, s3
	s_cbranch_vccnz .LBB50_279
; %bb.278:
	scratch_load_b32 v106, v7, off
	ds_load_b32 v107, v1
	s_wait_loadcnt_dscnt 0x0
	v_mul_f32_e32 v106, v106, v107
	s_cbranch_execz .LBB50_280
	s_branch .LBB50_281
.LBB50_279:
                                        ; implicit-def: $vgpr106
.LBB50_280:
	ds_load_b32 v106, v1
.LBB50_281:
	s_and_saveexec_b32 s11, s0
	s_cbranch_execz .LBB50_285
; %bb.282:
	v_subrev_nc_u32_e32 v107, 22, v0
	s_movk_i32 s0, 0x58
	s_movk_i32 s13, 0x128
	s_mov_b32 s12, 0
.LBB50_283:                             ; =>This Inner Loop Header: Depth=1
	scratch_load_b32 v108, off, s0
	v_dual_mov_b32 v109, s13 :: v_dual_add_nc_u32 v107, -1, v107
	s_add_co_i32 s13, s13, 4
	s_wait_xcnt 0x0
	s_add_co_i32 s0, s0, 4
	ds_load_b32 v109, v109
	v_cmp_eq_u32_e32 vcc_lo, 0, v107
	s_or_b32 s12, vcc_lo, s12
	s_wait_loadcnt_dscnt 0x0
	v_fmac_f32_e32 v106, v108, v109
	s_and_not1_b32 exec_lo, exec_lo, s12
	s_cbranch_execnz .LBB50_283
; %bb.284:
	s_or_b32 exec_lo, exec_lo, s12
.LBB50_285:
	s_delay_alu instid0(SALU_CYCLE_1)
	s_or_b32 exec_lo, exec_lo, s11
	v_mov_b32_e32 v107, 0
	ds_load_b32 v107, v107 offset:84
	s_wait_dscnt 0x0
	v_mul_f32_e32 v106, v106, v107
	scratch_store_b32 off, v106, off offset:84
.LBB50_286:
	;; [unrolled: 58-line block ×3, first 2 shown]
	s_wait_xcnt 0x0
	s_or_b32 exec_lo, exec_lo, s2
	scratch_load_b32 v106, off, off offset:76
	v_cmp_lt_u32_e64 s1, 19, v0
	s_wait_loadcnt 0x0
	ds_store_b32 v1, v106
	s_wait_storecnt_dscnt 0x0
	s_barrier_signal -1
	s_barrier_wait -1
	s_wait_xcnt 0x0
	s_and_saveexec_b32 s2, s1
	s_cbranch_execz .LBB50_306
; %bb.297:
	s_and_not1_b32 vcc_lo, exec_lo, s3
	s_cbranch_vccnz .LBB50_299
; %bb.298:
	scratch_load_b32 v106, v7, off
	ds_load_b32 v107, v1
	s_wait_loadcnt_dscnt 0x0
	v_mul_f32_e32 v106, v106, v107
	s_cbranch_execz .LBB50_300
	s_branch .LBB50_301
.LBB50_299:
                                        ; implicit-def: $vgpr106
.LBB50_300:
	ds_load_b32 v106, v1
.LBB50_301:
	s_and_saveexec_b32 s11, s0
	s_cbranch_execz .LBB50_305
; %bb.302:
	v_subrev_nc_u32_e32 v107, 20, v0
	s_movk_i32 s12, 0x120
	s_mov_b32 s0, 0
.LBB50_303:                             ; =>This Inner Loop Header: Depth=1
	scratch_load_b32 v108, off, s10
	v_dual_mov_b32 v109, s12 :: v_dual_add_nc_u32 v107, -1, v107
	s_add_co_i32 s12, s12, 4
	s_wait_xcnt 0x0
	s_add_co_i32 s10, s10, 4
	ds_load_b32 v109, v109
	v_cmp_eq_u32_e32 vcc_lo, 0, v107
	s_or_b32 s0, vcc_lo, s0
	s_wait_loadcnt_dscnt 0x0
	v_fmac_f32_e32 v106, v108, v109
	s_and_not1_b32 exec_lo, exec_lo, s0
	s_cbranch_execnz .LBB50_303
; %bb.304:
	s_or_b32 exec_lo, exec_lo, s0
.LBB50_305:
	s_delay_alu instid0(SALU_CYCLE_1)
	s_or_b32 exec_lo, exec_lo, s11
	v_mov_b32_e32 v107, 0
	ds_load_b32 v107, v107 offset:76
	s_wait_dscnt 0x0
	v_mul_f32_e32 v106, v106, v107
	scratch_store_b32 off, v106, off offset:76
.LBB50_306:
	s_wait_xcnt 0x0
	s_or_b32 exec_lo, exec_lo, s2
	scratch_load_b32 v106, off, off offset:72
	v_cmp_lt_u32_e64 s0, 18, v0
	s_wait_loadcnt 0x0
	ds_store_b32 v1, v106
	s_wait_storecnt_dscnt 0x0
	s_barrier_signal -1
	s_barrier_wait -1
	s_wait_xcnt 0x0
	s_and_saveexec_b32 s2, s0
	s_cbranch_execz .LBB50_316
; %bb.307:
	s_and_not1_b32 vcc_lo, exec_lo, s3
	s_cbranch_vccnz .LBB50_309
; %bb.308:
	scratch_load_b32 v106, v7, off
	ds_load_b32 v107, v1
	s_wait_loadcnt_dscnt 0x0
	v_mul_f32_e32 v106, v106, v107
	s_cbranch_execz .LBB50_310
	s_branch .LBB50_311
.LBB50_309:
                                        ; implicit-def: $vgpr106
.LBB50_310:
	ds_load_b32 v106, v1
.LBB50_311:
	s_and_saveexec_b32 s10, s1
	s_cbranch_execz .LBB50_315
; %bb.312:
	v_subrev_nc_u32_e32 v107, 19, v0
	s_movk_i32 s1, 0x4c
	s_movk_i32 s12, 0x11c
	s_mov_b32 s11, 0
.LBB50_313:                             ; =>This Inner Loop Header: Depth=1
	scratch_load_b32 v108, off, s1
	v_dual_mov_b32 v109, s12 :: v_dual_add_nc_u32 v107, -1, v107
	s_add_co_i32 s12, s12, 4
	s_wait_xcnt 0x0
	s_add_co_i32 s1, s1, 4
	ds_load_b32 v109, v109
	v_cmp_eq_u32_e32 vcc_lo, 0, v107
	s_or_b32 s11, vcc_lo, s11
	s_wait_loadcnt_dscnt 0x0
	v_fmac_f32_e32 v106, v108, v109
	s_and_not1_b32 exec_lo, exec_lo, s11
	s_cbranch_execnz .LBB50_313
; %bb.314:
	s_or_b32 exec_lo, exec_lo, s11
.LBB50_315:
	s_delay_alu instid0(SALU_CYCLE_1)
	s_or_b32 exec_lo, exec_lo, s10
	v_mov_b32_e32 v107, 0
	ds_load_b32 v107, v107 offset:72
	s_wait_dscnt 0x0
	v_mul_f32_e32 v106, v106, v107
	scratch_store_b32 off, v106, off offset:72
.LBB50_316:
	s_wait_xcnt 0x0
	s_or_b32 exec_lo, exec_lo, s2
	scratch_load_b32 v106, off, off offset:68
	v_cmp_lt_u32_e64 s1, 17, v0
	s_wait_loadcnt 0x0
	ds_store_b32 v1, v106
	s_wait_storecnt_dscnt 0x0
	s_barrier_signal -1
	s_barrier_wait -1
	s_wait_xcnt 0x0
	s_and_saveexec_b32 s2, s1
	s_cbranch_execz .LBB50_326
; %bb.317:
	s_and_not1_b32 vcc_lo, exec_lo, s3
	s_cbranch_vccnz .LBB50_319
; %bb.318:
	scratch_load_b32 v106, v7, off
	ds_load_b32 v107, v1
	s_wait_loadcnt_dscnt 0x0
	v_mul_f32_e32 v106, v106, v107
	s_cbranch_execz .LBB50_320
	s_branch .LBB50_321
.LBB50_319:
                                        ; implicit-def: $vgpr106
.LBB50_320:
	ds_load_b32 v106, v1
.LBB50_321:
	s_and_saveexec_b32 s10, s0
	s_cbranch_execz .LBB50_325
; %bb.322:
	v_subrev_nc_u32_e32 v107, 18, v0
	s_movk_i32 s0, 0x48
	s_movk_i32 s12, 0x118
	s_mov_b32 s11, 0
.LBB50_323:                             ; =>This Inner Loop Header: Depth=1
	scratch_load_b32 v108, off, s0
	v_dual_mov_b32 v109, s12 :: v_dual_add_nc_u32 v107, -1, v107
	s_add_co_i32 s12, s12, 4
	s_wait_xcnt 0x0
	s_add_co_i32 s0, s0, 4
	ds_load_b32 v109, v109
	v_cmp_eq_u32_e32 vcc_lo, 0, v107
	s_or_b32 s11, vcc_lo, s11
	s_wait_loadcnt_dscnt 0x0
	v_fmac_f32_e32 v106, v108, v109
	s_and_not1_b32 exec_lo, exec_lo, s11
	s_cbranch_execnz .LBB50_323
; %bb.324:
	s_or_b32 exec_lo, exec_lo, s11
.LBB50_325:
	s_delay_alu instid0(SALU_CYCLE_1)
	s_or_b32 exec_lo, exec_lo, s10
	v_mov_b32_e32 v107, 0
	ds_load_b32 v107, v107 offset:68
	s_wait_dscnt 0x0
	v_mul_f32_e32 v106, v106, v107
	scratch_store_b32 off, v106, off offset:68
.LBB50_326:
	;; [unrolled: 58-line block ×3, first 2 shown]
	s_wait_xcnt 0x0
	s_or_b32 exec_lo, exec_lo, s2
	scratch_load_b32 v106, off, off offset:60
	v_cmp_lt_u32_e64 s1, 15, v0
	s_wait_loadcnt 0x0
	ds_store_b32 v1, v106
	s_wait_storecnt_dscnt 0x0
	s_barrier_signal -1
	s_barrier_wait -1
	s_wait_xcnt 0x0
	s_and_saveexec_b32 s2, s1
	s_cbranch_execz .LBB50_346
; %bb.337:
	s_and_not1_b32 vcc_lo, exec_lo, s3
	s_cbranch_vccnz .LBB50_339
; %bb.338:
	scratch_load_b32 v106, v7, off
	ds_load_b32 v107, v1
	s_wait_loadcnt_dscnt 0x0
	v_mul_f32_e32 v106, v106, v107
	s_cbranch_execz .LBB50_340
	s_branch .LBB50_341
.LBB50_339:
                                        ; implicit-def: $vgpr106
.LBB50_340:
	ds_load_b32 v106, v1
.LBB50_341:
	s_and_saveexec_b32 s10, s0
	s_cbranch_execz .LBB50_345
; %bb.342:
	v_add_nc_u32_e32 v107, -16, v0
	s_movk_i32 s11, 0x110
	s_mov_b32 s0, 0
.LBB50_343:                             ; =>This Inner Loop Header: Depth=1
	scratch_load_b32 v108, off, s9
	v_dual_mov_b32 v109, s11 :: v_dual_add_nc_u32 v107, -1, v107
	s_add_co_i32 s11, s11, 4
	s_wait_xcnt 0x0
	s_add_co_i32 s9, s9, 4
	ds_load_b32 v109, v109
	v_cmp_eq_u32_e32 vcc_lo, 0, v107
	s_or_b32 s0, vcc_lo, s0
	s_wait_loadcnt_dscnt 0x0
	v_fmac_f32_e32 v106, v108, v109
	s_and_not1_b32 exec_lo, exec_lo, s0
	s_cbranch_execnz .LBB50_343
; %bb.344:
	s_or_b32 exec_lo, exec_lo, s0
.LBB50_345:
	s_delay_alu instid0(SALU_CYCLE_1)
	s_or_b32 exec_lo, exec_lo, s10
	v_mov_b32_e32 v107, 0
	ds_load_b32 v107, v107 offset:60
	s_wait_dscnt 0x0
	v_mul_f32_e32 v106, v106, v107
	scratch_store_b32 off, v106, off offset:60
.LBB50_346:
	s_wait_xcnt 0x0
	s_or_b32 exec_lo, exec_lo, s2
	scratch_load_b32 v106, off, off offset:56
	v_cmp_lt_u32_e64 s0, 14, v0
	s_wait_loadcnt 0x0
	ds_store_b32 v1, v106
	s_wait_storecnt_dscnt 0x0
	s_barrier_signal -1
	s_barrier_wait -1
	s_wait_xcnt 0x0
	s_and_saveexec_b32 s2, s0
	s_cbranch_execz .LBB50_356
; %bb.347:
	s_and_not1_b32 vcc_lo, exec_lo, s3
	s_cbranch_vccnz .LBB50_349
; %bb.348:
	scratch_load_b32 v106, v7, off
	ds_load_b32 v107, v1
	s_wait_loadcnt_dscnt 0x0
	v_mul_f32_e32 v106, v106, v107
	s_cbranch_execz .LBB50_350
	s_branch .LBB50_351
.LBB50_349:
                                        ; implicit-def: $vgpr106
.LBB50_350:
	ds_load_b32 v106, v1
.LBB50_351:
	s_and_saveexec_b32 s9, s1
	s_cbranch_execz .LBB50_355
; %bb.352:
	v_add_nc_u32_e32 v107, -15, v0
	s_mov_b32 s1, 60
	s_movk_i32 s11, 0x10c
	s_mov_b32 s10, 0
.LBB50_353:                             ; =>This Inner Loop Header: Depth=1
	scratch_load_b32 v108, off, s1
	v_dual_mov_b32 v109, s11 :: v_dual_add_nc_u32 v107, -1, v107
	s_add_co_i32 s11, s11, 4
	s_wait_xcnt 0x0
	s_add_co_i32 s1, s1, 4
	ds_load_b32 v109, v109
	v_cmp_eq_u32_e32 vcc_lo, 0, v107
	s_or_b32 s10, vcc_lo, s10
	s_wait_loadcnt_dscnt 0x0
	v_fmac_f32_e32 v106, v108, v109
	s_and_not1_b32 exec_lo, exec_lo, s10
	s_cbranch_execnz .LBB50_353
; %bb.354:
	s_or_b32 exec_lo, exec_lo, s10
.LBB50_355:
	s_delay_alu instid0(SALU_CYCLE_1)
	s_or_b32 exec_lo, exec_lo, s9
	v_mov_b32_e32 v107, 0
	ds_load_b32 v107, v107 offset:56
	s_wait_dscnt 0x0
	v_mul_f32_e32 v106, v106, v107
	scratch_store_b32 off, v106, off offset:56
.LBB50_356:
	s_wait_xcnt 0x0
	s_or_b32 exec_lo, exec_lo, s2
	scratch_load_b32 v106, off, off offset:52
	v_cmp_lt_u32_e64 s1, 13, v0
	s_wait_loadcnt 0x0
	ds_store_b32 v1, v106
	s_wait_storecnt_dscnt 0x0
	s_barrier_signal -1
	s_barrier_wait -1
	s_wait_xcnt 0x0
	s_and_saveexec_b32 s2, s1
	s_cbranch_execz .LBB50_366
; %bb.357:
	s_and_not1_b32 vcc_lo, exec_lo, s3
	s_cbranch_vccnz .LBB50_359
; %bb.358:
	scratch_load_b32 v106, v7, off
	ds_load_b32 v107, v1
	s_wait_loadcnt_dscnt 0x0
	v_mul_f32_e32 v106, v106, v107
	s_cbranch_execz .LBB50_360
	s_branch .LBB50_361
.LBB50_359:
                                        ; implicit-def: $vgpr106
.LBB50_360:
	ds_load_b32 v106, v1
.LBB50_361:
	s_and_saveexec_b32 s9, s0
	s_cbranch_execz .LBB50_365
; %bb.362:
	v_add_nc_u32_e32 v107, -14, v0
	s_mov_b32 s0, 56
	s_movk_i32 s11, 0x108
	s_mov_b32 s10, 0
.LBB50_363:                             ; =>This Inner Loop Header: Depth=1
	scratch_load_b32 v108, off, s0
	v_dual_mov_b32 v109, s11 :: v_dual_add_nc_u32 v107, -1, v107
	s_add_co_i32 s11, s11, 4
	s_wait_xcnt 0x0
	s_add_co_i32 s0, s0, 4
	ds_load_b32 v109, v109
	v_cmp_eq_u32_e32 vcc_lo, 0, v107
	s_or_b32 s10, vcc_lo, s10
	s_wait_loadcnt_dscnt 0x0
	v_fmac_f32_e32 v106, v108, v109
	s_and_not1_b32 exec_lo, exec_lo, s10
	s_cbranch_execnz .LBB50_363
; %bb.364:
	s_or_b32 exec_lo, exec_lo, s10
.LBB50_365:
	s_delay_alu instid0(SALU_CYCLE_1)
	s_or_b32 exec_lo, exec_lo, s9
	v_mov_b32_e32 v107, 0
	ds_load_b32 v107, v107 offset:52
	s_wait_dscnt 0x0
	v_mul_f32_e32 v106, v106, v107
	scratch_store_b32 off, v106, off offset:52
.LBB50_366:
	;; [unrolled: 58-line block ×3, first 2 shown]
	s_wait_xcnt 0x0
	s_or_b32 exec_lo, exec_lo, s2
	scratch_load_b32 v106, off, off offset:44
	v_cmp_lt_u32_e64 s1, 11, v0
	s_wait_loadcnt 0x0
	ds_store_b32 v1, v106
	s_wait_storecnt_dscnt 0x0
	s_barrier_signal -1
	s_barrier_wait -1
	s_wait_xcnt 0x0
	s_and_saveexec_b32 s2, s1
	s_cbranch_execz .LBB50_386
; %bb.377:
	s_and_not1_b32 vcc_lo, exec_lo, s3
	s_cbranch_vccnz .LBB50_379
; %bb.378:
	scratch_load_b32 v106, v7, off
	ds_load_b32 v107, v1
	s_wait_loadcnt_dscnt 0x0
	v_mul_f32_e32 v106, v106, v107
	s_cbranch_execz .LBB50_380
	s_branch .LBB50_381
.LBB50_379:
                                        ; implicit-def: $vgpr106
.LBB50_380:
	ds_load_b32 v106, v1
.LBB50_381:
	s_and_saveexec_b32 s9, s0
	s_cbranch_execz .LBB50_385
; %bb.382:
	v_add_nc_u32_e32 v107, -12, v0
	s_movk_i32 s10, 0x100
	s_mov_b32 s0, 0
.LBB50_383:                             ; =>This Inner Loop Header: Depth=1
	scratch_load_b32 v108, off, s8
	v_dual_mov_b32 v109, s10 :: v_dual_add_nc_u32 v107, -1, v107
	s_add_co_i32 s10, s10, 4
	s_wait_xcnt 0x0
	s_add_co_i32 s8, s8, 4
	ds_load_b32 v109, v109
	v_cmp_eq_u32_e32 vcc_lo, 0, v107
	s_or_b32 s0, vcc_lo, s0
	s_wait_loadcnt_dscnt 0x0
	v_fmac_f32_e32 v106, v108, v109
	s_and_not1_b32 exec_lo, exec_lo, s0
	s_cbranch_execnz .LBB50_383
; %bb.384:
	s_or_b32 exec_lo, exec_lo, s0
.LBB50_385:
	s_delay_alu instid0(SALU_CYCLE_1)
	s_or_b32 exec_lo, exec_lo, s9
	v_mov_b32_e32 v107, 0
	ds_load_b32 v107, v107 offset:44
	s_wait_dscnt 0x0
	v_mul_f32_e32 v106, v106, v107
	scratch_store_b32 off, v106, off offset:44
.LBB50_386:
	s_wait_xcnt 0x0
	s_or_b32 exec_lo, exec_lo, s2
	scratch_load_b32 v106, off, off offset:40
	v_cmp_lt_u32_e64 s0, 10, v0
	s_wait_loadcnt 0x0
	ds_store_b32 v1, v106
	s_wait_storecnt_dscnt 0x0
	s_barrier_signal -1
	s_barrier_wait -1
	s_wait_xcnt 0x0
	s_and_saveexec_b32 s2, s0
	s_cbranch_execz .LBB50_396
; %bb.387:
	s_and_not1_b32 vcc_lo, exec_lo, s3
	s_cbranch_vccnz .LBB50_389
; %bb.388:
	scratch_load_b32 v106, v7, off
	ds_load_b32 v107, v1
	s_wait_loadcnt_dscnt 0x0
	v_mul_f32_e32 v106, v106, v107
	s_cbranch_execz .LBB50_390
	s_branch .LBB50_391
.LBB50_389:
                                        ; implicit-def: $vgpr106
.LBB50_390:
	ds_load_b32 v106, v1
.LBB50_391:
	s_and_saveexec_b32 s8, s1
	s_cbranch_execz .LBB50_395
; %bb.392:
	v_add_nc_u32_e32 v107, -11, v0
	s_mov_b32 s1, 44
	s_movk_i32 s10, 0xfc
	s_mov_b32 s9, 0
.LBB50_393:                             ; =>This Inner Loop Header: Depth=1
	scratch_load_b32 v108, off, s1
	v_dual_mov_b32 v109, s10 :: v_dual_add_nc_u32 v107, -1, v107
	s_add_co_i32 s10, s10, 4
	s_wait_xcnt 0x0
	s_add_co_i32 s1, s1, 4
	ds_load_b32 v109, v109
	v_cmp_eq_u32_e32 vcc_lo, 0, v107
	s_or_b32 s9, vcc_lo, s9
	s_wait_loadcnt_dscnt 0x0
	v_fmac_f32_e32 v106, v108, v109
	s_and_not1_b32 exec_lo, exec_lo, s9
	s_cbranch_execnz .LBB50_393
; %bb.394:
	s_or_b32 exec_lo, exec_lo, s9
.LBB50_395:
	s_delay_alu instid0(SALU_CYCLE_1)
	s_or_b32 exec_lo, exec_lo, s8
	v_mov_b32_e32 v107, 0
	ds_load_b32 v107, v107 offset:40
	s_wait_dscnt 0x0
	v_mul_f32_e32 v106, v106, v107
	scratch_store_b32 off, v106, off offset:40
.LBB50_396:
	s_wait_xcnt 0x0
	s_or_b32 exec_lo, exec_lo, s2
	scratch_load_b32 v106, off, off offset:36
	v_cmp_lt_u32_e64 s1, 9, v0
	s_wait_loadcnt 0x0
	ds_store_b32 v1, v106
	s_wait_storecnt_dscnt 0x0
	s_barrier_signal -1
	s_barrier_wait -1
	s_wait_xcnt 0x0
	s_and_saveexec_b32 s2, s1
	s_cbranch_execz .LBB50_406
; %bb.397:
	s_and_not1_b32 vcc_lo, exec_lo, s3
	s_cbranch_vccnz .LBB50_399
; %bb.398:
	scratch_load_b32 v106, v7, off
	ds_load_b32 v107, v1
	s_wait_loadcnt_dscnt 0x0
	v_mul_f32_e32 v106, v106, v107
	s_cbranch_execz .LBB50_400
	s_branch .LBB50_401
.LBB50_399:
                                        ; implicit-def: $vgpr106
.LBB50_400:
	ds_load_b32 v106, v1
.LBB50_401:
	s_and_saveexec_b32 s8, s0
	s_cbranch_execz .LBB50_405
; %bb.402:
	v_add_nc_u32_e32 v107, -10, v0
	s_mov_b32 s0, 40
	s_movk_i32 s10, 0xf8
	s_mov_b32 s9, 0
.LBB50_403:                             ; =>This Inner Loop Header: Depth=1
	scratch_load_b32 v108, off, s0
	v_dual_mov_b32 v109, s10 :: v_dual_add_nc_u32 v107, -1, v107
	s_add_co_i32 s10, s10, 4
	s_wait_xcnt 0x0
	s_add_co_i32 s0, s0, 4
	ds_load_b32 v109, v109
	v_cmp_eq_u32_e32 vcc_lo, 0, v107
	s_or_b32 s9, vcc_lo, s9
	s_wait_loadcnt_dscnt 0x0
	v_fmac_f32_e32 v106, v108, v109
	s_and_not1_b32 exec_lo, exec_lo, s9
	s_cbranch_execnz .LBB50_403
; %bb.404:
	s_or_b32 exec_lo, exec_lo, s9
.LBB50_405:
	s_delay_alu instid0(SALU_CYCLE_1)
	s_or_b32 exec_lo, exec_lo, s8
	v_mov_b32_e32 v107, 0
	ds_load_b32 v107, v107 offset:36
	s_wait_dscnt 0x0
	v_mul_f32_e32 v106, v106, v107
	scratch_store_b32 off, v106, off offset:36
.LBB50_406:
	;; [unrolled: 58-line block ×3, first 2 shown]
	s_wait_xcnt 0x0
	s_or_b32 exec_lo, exec_lo, s2
	scratch_load_b32 v106, off, off offset:28
	v_cmp_lt_u32_e64 s1, 7, v0
	s_wait_loadcnt 0x0
	ds_store_b32 v1, v106
	s_wait_storecnt_dscnt 0x0
	s_barrier_signal -1
	s_barrier_wait -1
	s_wait_xcnt 0x0
	s_and_saveexec_b32 s2, s1
	s_cbranch_execz .LBB50_426
; %bb.417:
	s_and_not1_b32 vcc_lo, exec_lo, s3
	s_cbranch_vccnz .LBB50_419
; %bb.418:
	scratch_load_b32 v106, v7, off
	ds_load_b32 v107, v1
	s_wait_loadcnt_dscnt 0x0
	v_mul_f32_e32 v106, v106, v107
	s_cbranch_execz .LBB50_420
	s_branch .LBB50_421
.LBB50_419:
                                        ; implicit-def: $vgpr106
.LBB50_420:
	ds_load_b32 v106, v1
.LBB50_421:
	s_and_saveexec_b32 s8, s0
	s_cbranch_execz .LBB50_425
; %bb.422:
	v_add_nc_u32_e32 v107, -8, v0
	s_movk_i32 s9, 0xf0
	s_mov_b32 s0, 0
.LBB50_423:                             ; =>This Inner Loop Header: Depth=1
	scratch_load_b32 v108, off, s5
	v_dual_mov_b32 v109, s9 :: v_dual_add_nc_u32 v107, -1, v107
	s_add_co_i32 s9, s9, 4
	s_wait_xcnt 0x0
	s_add_co_i32 s5, s5, 4
	ds_load_b32 v109, v109
	v_cmp_eq_u32_e32 vcc_lo, 0, v107
	s_or_b32 s0, vcc_lo, s0
	s_wait_loadcnt_dscnt 0x0
	v_fmac_f32_e32 v106, v108, v109
	s_and_not1_b32 exec_lo, exec_lo, s0
	s_cbranch_execnz .LBB50_423
; %bb.424:
	s_or_b32 exec_lo, exec_lo, s0
.LBB50_425:
	s_delay_alu instid0(SALU_CYCLE_1)
	s_or_b32 exec_lo, exec_lo, s8
	v_mov_b32_e32 v107, 0
	ds_load_b32 v107, v107 offset:28
	s_wait_dscnt 0x0
	v_mul_f32_e32 v106, v106, v107
	scratch_store_b32 off, v106, off offset:28
.LBB50_426:
	s_wait_xcnt 0x0
	s_or_b32 exec_lo, exec_lo, s2
	scratch_load_b32 v106, off, off offset:24
	v_cmp_lt_u32_e64 s0, 6, v0
	s_wait_loadcnt 0x0
	ds_store_b32 v1, v106
	s_wait_storecnt_dscnt 0x0
	s_barrier_signal -1
	s_barrier_wait -1
	s_wait_xcnt 0x0
	s_and_saveexec_b32 s2, s0
	s_cbranch_execz .LBB50_436
; %bb.427:
	s_and_not1_b32 vcc_lo, exec_lo, s3
	s_cbranch_vccnz .LBB50_429
; %bb.428:
	scratch_load_b32 v106, v7, off
	ds_load_b32 v107, v1
	s_wait_loadcnt_dscnt 0x0
	v_mul_f32_e32 v106, v106, v107
	s_cbranch_execz .LBB50_430
	s_branch .LBB50_431
.LBB50_429:
                                        ; implicit-def: $vgpr106
.LBB50_430:
	ds_load_b32 v106, v1
.LBB50_431:
	s_and_saveexec_b32 s5, s1
	s_cbranch_execz .LBB50_435
; %bb.432:
	v_add_nc_u32_e32 v107, -7, v0
	s_mov_b32 s1, 28
	s_movk_i32 s9, 0xec
	s_mov_b32 s8, 0
.LBB50_433:                             ; =>This Inner Loop Header: Depth=1
	scratch_load_b32 v108, off, s1
	v_dual_mov_b32 v109, s9 :: v_dual_add_nc_u32 v107, -1, v107
	s_add_co_i32 s9, s9, 4
	s_wait_xcnt 0x0
	s_add_co_i32 s1, s1, 4
	ds_load_b32 v109, v109
	v_cmp_eq_u32_e32 vcc_lo, 0, v107
	s_or_b32 s8, vcc_lo, s8
	s_wait_loadcnt_dscnt 0x0
	v_fmac_f32_e32 v106, v108, v109
	s_and_not1_b32 exec_lo, exec_lo, s8
	s_cbranch_execnz .LBB50_433
; %bb.434:
	s_or_b32 exec_lo, exec_lo, s8
.LBB50_435:
	s_delay_alu instid0(SALU_CYCLE_1)
	s_or_b32 exec_lo, exec_lo, s5
	v_mov_b32_e32 v107, 0
	ds_load_b32 v107, v107 offset:24
	s_wait_dscnt 0x0
	v_mul_f32_e32 v106, v106, v107
	scratch_store_b32 off, v106, off offset:24
.LBB50_436:
	s_wait_xcnt 0x0
	s_or_b32 exec_lo, exec_lo, s2
	scratch_load_b32 v106, off, off offset:20
	v_cmp_lt_u32_e64 s1, 5, v0
	s_wait_loadcnt 0x0
	ds_store_b32 v1, v106
	s_wait_storecnt_dscnt 0x0
	s_barrier_signal -1
	s_barrier_wait -1
	s_wait_xcnt 0x0
	s_and_saveexec_b32 s2, s1
	s_cbranch_execz .LBB50_446
; %bb.437:
	s_and_not1_b32 vcc_lo, exec_lo, s3
	s_cbranch_vccnz .LBB50_439
; %bb.438:
	scratch_load_b32 v106, v7, off
	ds_load_b32 v107, v1
	s_wait_loadcnt_dscnt 0x0
	v_mul_f32_e32 v106, v106, v107
	s_cbranch_execz .LBB50_440
	s_branch .LBB50_441
.LBB50_439:
                                        ; implicit-def: $vgpr106
.LBB50_440:
	ds_load_b32 v106, v1
.LBB50_441:
	s_and_saveexec_b32 s5, s0
	s_cbranch_execz .LBB50_445
; %bb.442:
	v_add_nc_u32_e32 v107, -6, v0
	s_mov_b32 s0, 24
	s_movk_i32 s9, 0xe8
	s_mov_b32 s8, 0
.LBB50_443:                             ; =>This Inner Loop Header: Depth=1
	scratch_load_b32 v108, off, s0
	v_dual_mov_b32 v109, s9 :: v_dual_add_nc_u32 v107, -1, v107
	s_add_co_i32 s9, s9, 4
	s_wait_xcnt 0x0
	s_add_co_i32 s0, s0, 4
	ds_load_b32 v109, v109
	v_cmp_eq_u32_e32 vcc_lo, 0, v107
	s_or_b32 s8, vcc_lo, s8
	s_wait_loadcnt_dscnt 0x0
	v_fmac_f32_e32 v106, v108, v109
	s_and_not1_b32 exec_lo, exec_lo, s8
	s_cbranch_execnz .LBB50_443
; %bb.444:
	s_or_b32 exec_lo, exec_lo, s8
.LBB50_445:
	s_delay_alu instid0(SALU_CYCLE_1)
	s_or_b32 exec_lo, exec_lo, s5
	v_mov_b32_e32 v107, 0
	ds_load_b32 v107, v107 offset:20
	s_wait_dscnt 0x0
	v_mul_f32_e32 v106, v106, v107
	scratch_store_b32 off, v106, off offset:20
.LBB50_446:
	;; [unrolled: 58-line block ×3, first 2 shown]
	s_wait_xcnt 0x0
	s_or_b32 exec_lo, exec_lo, s2
	scratch_load_b32 v106, off, off offset:12
	v_cmp_lt_u32_e64 s2, 3, v0
	s_wait_loadcnt 0x0
	ds_store_b32 v1, v106
	s_wait_storecnt_dscnt 0x0
	s_barrier_signal -1
	s_barrier_wait -1
	s_wait_xcnt 0x0
	s_and_saveexec_b32 s1, s2
	s_cbranch_execz .LBB50_466
; %bb.457:
	s_and_not1_b32 vcc_lo, exec_lo, s3
	s_cbranch_vccnz .LBB50_459
; %bb.458:
	scratch_load_b32 v106, v7, off
	ds_load_b32 v107, v1
	s_wait_loadcnt_dscnt 0x0
	v_mul_f32_e32 v106, v106, v107
	s_cbranch_execz .LBB50_460
	s_branch .LBB50_461
.LBB50_459:
                                        ; implicit-def: $vgpr106
.LBB50_460:
	ds_load_b32 v106, v1
.LBB50_461:
	s_and_saveexec_b32 s5, s0
	s_cbranch_execz .LBB50_465
; %bb.462:
	v_add_nc_u32_e32 v107, -4, v0
	s_movk_i32 s8, 0xe0
	s_mov_b32 s0, 0
.LBB50_463:                             ; =>This Inner Loop Header: Depth=1
	scratch_load_b32 v108, off, s4
	v_dual_mov_b32 v109, s8 :: v_dual_add_nc_u32 v107, -1, v107
	s_add_co_i32 s8, s8, 4
	s_wait_xcnt 0x0
	s_add_co_i32 s4, s4, 4
	ds_load_b32 v109, v109
	v_cmp_eq_u32_e32 vcc_lo, 0, v107
	s_or_b32 s0, vcc_lo, s0
	s_wait_loadcnt_dscnt 0x0
	v_fmac_f32_e32 v106, v108, v109
	s_and_not1_b32 exec_lo, exec_lo, s0
	s_cbranch_execnz .LBB50_463
; %bb.464:
	s_or_b32 exec_lo, exec_lo, s0
.LBB50_465:
	s_delay_alu instid0(SALU_CYCLE_1)
	s_or_b32 exec_lo, exec_lo, s5
	v_mov_b32_e32 v107, 0
	ds_load_b32 v107, v107 offset:12
	s_wait_dscnt 0x0
	v_mul_f32_e32 v106, v106, v107
	scratch_store_b32 off, v106, off offset:12
.LBB50_466:
	s_wait_xcnt 0x0
	s_or_b32 exec_lo, exec_lo, s1
	scratch_load_b32 v106, off, off offset:8
	v_cmp_lt_u32_e64 s1, 2, v0
	s_wait_loadcnt 0x0
	ds_store_b32 v1, v106
	s_wait_storecnt_dscnt 0x0
	s_barrier_signal -1
	s_barrier_wait -1
	s_wait_xcnt 0x0
	s_and_saveexec_b32 s0, s1
	s_cbranch_execz .LBB50_476
; %bb.467:
	s_and_not1_b32 vcc_lo, exec_lo, s3
	s_cbranch_vccnz .LBB50_469
; %bb.468:
	scratch_load_b32 v106, v7, off
	ds_load_b32 v107, v1
	s_wait_loadcnt_dscnt 0x0
	v_mul_f32_e32 v106, v106, v107
	s_cbranch_execz .LBB50_470
	s_branch .LBB50_471
.LBB50_469:
                                        ; implicit-def: $vgpr106
.LBB50_470:
	ds_load_b32 v106, v1
.LBB50_471:
	s_and_saveexec_b32 s4, s2
	s_cbranch_execz .LBB50_475
; %bb.472:
	v_add_nc_u32_e32 v107, -3, v0
	s_or_b32 s2, 0, 12
	s_movk_i32 s8, 0xdc
	s_mov_b32 s5, 0
.LBB50_473:                             ; =>This Inner Loop Header: Depth=1
	scratch_load_b32 v108, off, s2
	v_dual_mov_b32 v109, s8 :: v_dual_add_nc_u32 v107, -1, v107
	s_add_co_i32 s8, s8, 4
	s_wait_xcnt 0x0
	s_add_co_i32 s2, s2, 4
	ds_load_b32 v109, v109
	v_cmp_eq_u32_e32 vcc_lo, 0, v107
	s_or_b32 s5, vcc_lo, s5
	s_wait_loadcnt_dscnt 0x0
	v_fmac_f32_e32 v106, v108, v109
	s_and_not1_b32 exec_lo, exec_lo, s5
	s_cbranch_execnz .LBB50_473
; %bb.474:
	s_or_b32 exec_lo, exec_lo, s5
.LBB50_475:
	s_delay_alu instid0(SALU_CYCLE_1)
	s_or_b32 exec_lo, exec_lo, s4
	v_mov_b32_e32 v107, 0
	ds_load_b32 v107, v107 offset:8
	s_wait_dscnt 0x0
	v_mul_f32_e32 v106, v106, v107
	scratch_store_b32 off, v106, off offset:8
.LBB50_476:
	s_wait_xcnt 0x0
	s_or_b32 exec_lo, exec_lo, s0
	scratch_load_b32 v106, off, off offset:4
	v_cmp_lt_u32_e64 s0, 1, v0
	s_wait_loadcnt 0x0
	ds_store_b32 v1, v106
	s_wait_storecnt_dscnt 0x0
	s_barrier_signal -1
	s_barrier_wait -1
	s_wait_xcnt 0x0
	s_and_saveexec_b32 s2, s0
	s_cbranch_execz .LBB50_486
; %bb.477:
	s_and_not1_b32 vcc_lo, exec_lo, s3
	s_cbranch_vccnz .LBB50_479
; %bb.478:
	scratch_load_b32 v106, v7, off
	ds_load_b32 v107, v1
	s_wait_loadcnt_dscnt 0x0
	v_mul_f32_e32 v106, v106, v107
	s_cbranch_execz .LBB50_480
	s_branch .LBB50_481
.LBB50_479:
                                        ; implicit-def: $vgpr106
.LBB50_480:
	ds_load_b32 v106, v1
.LBB50_481:
	s_and_saveexec_b32 s4, s1
	s_cbranch_execz .LBB50_485
; %bb.482:
	v_add_nc_u32_e32 v107, -2, v0
	s_or_b32 s1, 0, 8
	s_movk_i32 s8, 0xd8
	s_mov_b32 s5, 0
.LBB50_483:                             ; =>This Inner Loop Header: Depth=1
	scratch_load_b32 v108, off, s1
	v_dual_mov_b32 v109, s8 :: v_dual_add_nc_u32 v107, -1, v107
	s_add_co_i32 s8, s8, 4
	s_wait_xcnt 0x0
	s_add_co_i32 s1, s1, 4
	ds_load_b32 v109, v109
	v_cmp_eq_u32_e32 vcc_lo, 0, v107
	s_or_b32 s5, vcc_lo, s5
	s_wait_loadcnt_dscnt 0x0
	v_fmac_f32_e32 v106, v108, v109
	s_and_not1_b32 exec_lo, exec_lo, s5
	s_cbranch_execnz .LBB50_483
; %bb.484:
	s_or_b32 exec_lo, exec_lo, s5
.LBB50_485:
	s_delay_alu instid0(SALU_CYCLE_1)
	s_or_b32 exec_lo, exec_lo, s4
	v_mov_b32_e32 v107, 0
	ds_load_b32 v107, v107 offset:4
	s_wait_dscnt 0x0
	v_mul_f32_e32 v106, v106, v107
	scratch_store_b32 off, v106, off offset:4
.LBB50_486:
	s_wait_xcnt 0x0
	s_or_b32 exec_lo, exec_lo, s2
	scratch_load_b32 v106, off, off
	s_mov_b32 s1, 0
	s_mov_b32 s2, exec_lo
	s_wait_loadcnt 0x0
	ds_store_b32 v1, v106
	s_wait_storecnt_dscnt 0x0
	s_barrier_signal -1
	s_barrier_wait -1
	s_wait_xcnt 0x0
	v_cmpx_ne_u32_e32 0, v0
	s_cbranch_execz .LBB50_496
; %bb.487:
	s_and_not1_b32 vcc_lo, exec_lo, s3
	s_cbranch_vccnz .LBB50_489
; %bb.488:
	scratch_load_b32 v106, v7, off
	ds_load_b32 v107, v1
	s_wait_loadcnt_dscnt 0x0
	v_mul_f32_e32 v106, v106, v107
	s_cbranch_execz .LBB50_490
	s_branch .LBB50_491
.LBB50_489:
                                        ; implicit-def: $vgpr106
.LBB50_490:
	ds_load_b32 v106, v1
.LBB50_491:
	s_and_saveexec_b32 s4, s0
	s_cbranch_execz .LBB50_495
; %bb.492:
	v_add_nc_u32_e32 v107, -1, v0
	s_or_b32 s0, 0, 4
	s_movk_i32 s8, 0xd4
	s_mov_b32 s5, 0
.LBB50_493:                             ; =>This Inner Loop Header: Depth=1
	scratch_load_b32 v108, off, s0
	v_dual_mov_b32 v109, s8 :: v_dual_add_nc_u32 v107, -1, v107
	s_add_co_i32 s8, s8, 4
	s_wait_xcnt 0x0
	s_add_co_i32 s0, s0, 4
	ds_load_b32 v109, v109
	v_cmp_eq_u32_e32 vcc_lo, 0, v107
	s_or_b32 s5, vcc_lo, s5
	s_wait_loadcnt_dscnt 0x0
	v_fmac_f32_e32 v106, v108, v109
	s_and_not1_b32 exec_lo, exec_lo, s5
	s_cbranch_execnz .LBB50_493
; %bb.494:
	s_or_b32 exec_lo, exec_lo, s5
.LBB50_495:
	s_delay_alu instid0(SALU_CYCLE_1)
	s_or_b32 exec_lo, exec_lo, s4
	v_mov_b32_e32 v107, 0
	ds_load_b32 v107, v107
	s_wait_dscnt 0x0
	v_mul_f32_e32 v106, v106, v107
	scratch_store_b32 off, v106, off
.LBB50_496:
	s_wait_xcnt 0x0
	s_or_b32 exec_lo, exec_lo, s2
.LBB50_497:
	v_lshl_add_u64 v[122:123], v[8:9], 2, s[6:7]
	v_lshl_add_u64 v[120:121], v[10:11], 2, s[6:7]
	;; [unrolled: 1-line block ×49, first 2 shown]
	s_and_b32 vcc_lo, exec_lo, s1
	s_cbranch_vccz .LBB50_989
; %bb.498:
	scratch_load_b32 v88, off, off offset:4
	v_cmp_eq_u32_e64 s0, 0, v0
	s_wait_loadcnt 0x0
	ds_store_b32 v1, v88
	s_wait_storecnt_dscnt 0x0
	s_barrier_signal -1
	s_barrier_wait -1
	s_wait_xcnt 0x0
	s_and_saveexec_b32 s1, s0
	s_cbranch_execz .LBB50_504
; %bb.499:
	s_and_b32 vcc_lo, exec_lo, s3
	s_cbranch_vccz .LBB50_501
; %bb.500:
	scratch_load_b32 v88, v7, off
	ds_load_b32 v89, v1
	s_wait_loadcnt_dscnt 0x0
	v_mul_f32_e32 v88, v88, v89
	s_cbranch_execz .LBB50_502
	s_branch .LBB50_503
.LBB50_501:
                                        ; implicit-def: $vgpr88
.LBB50_502:
	ds_load_b32 v88, v1
.LBB50_503:
	v_mov_b32_e32 v89, 0
	ds_load_b32 v89, v89 offset:4
	s_wait_dscnt 0x0
	v_mul_f32_e32 v88, v88, v89
	scratch_store_b32 off, v88, off offset:4
.LBB50_504:
	s_wait_xcnt 0x0
	s_or_b32 exec_lo, exec_lo, s1
	scratch_load_b32 v89, off, off offset:8
	v_cndmask_b32_e64 v88, 0, 1, s3
	s_mov_b32 s1, exec_lo
	s_wait_loadcnt 0x0
	ds_store_b32 v1, v89
	s_wait_storecnt_dscnt 0x0
	s_barrier_signal -1
	s_barrier_wait -1
	s_wait_xcnt 0x0
	v_cmpx_gt_u32_e32 2, v0
	s_cbranch_execz .LBB50_510
; %bb.505:
	s_and_not1_b32 vcc_lo, exec_lo, s3
	s_cbranch_vccnz .LBB50_507
; %bb.506:
	scratch_load_b32 v89, v7, off
	ds_load_b32 v90, v1
	s_wait_loadcnt_dscnt 0x0
	v_mul_f32_e32 v89, v89, v90
	s_cbranch_execz .LBB50_508
	s_branch .LBB50_509
.LBB50_507:
                                        ; implicit-def: $vgpr89
.LBB50_508:
	ds_load_b32 v89, v1
.LBB50_509:
	scratch_load_b32 v92, off, off offset:4
	v_mov_b32_e32 v90, 0
	ds_load_2addr_b32 v[90:91], v90 offset0:2 offset1:53
	s_wait_loadcnt_dscnt 0x0
	v_fma_f32 v91, v92, v91, v89
	s_delay_alu instid0(VALU_DEP_1) | instskip(NEXT) | instid1(VALU_DEP_1)
	v_cndmask_b32_e64 v89, v89, v91, s0
	v_mul_f32_e32 v89, v89, v90
	scratch_store_b32 off, v89, off offset:8
.LBB50_510:
	s_wait_xcnt 0x0
	s_or_b32 exec_lo, exec_lo, s1
	scratch_load_b32 v89, off, off offset:12
	s_mov_b32 s1, exec_lo
	s_wait_loadcnt 0x0
	ds_store_b32 v1, v89
	s_wait_storecnt_dscnt 0x0
	s_barrier_signal -1
	s_barrier_wait -1
	s_wait_xcnt 0x0
	v_cmpx_gt_u32_e32 3, v0
	s_cbranch_execz .LBB50_518
; %bb.511:
	v_cmp_ne_u32_e32 vcc_lo, 1, v88
	s_cbranch_vccnz .LBB50_513
; %bb.512:
	scratch_load_b32 v89, v7, off
	ds_load_b32 v90, v1
	s_wait_loadcnt_dscnt 0x0
	v_mul_f32_e32 v89, v89, v90
	s_cbranch_execz .LBB50_514
	s_branch .LBB50_515
.LBB50_513:
                                        ; implicit-def: $vgpr89
.LBB50_514:
	ds_load_b32 v89, v1
.LBB50_515:
	s_mov_b32 s2, exec_lo
	v_cmpx_ne_u32_e32 2, v0
	s_cbranch_execz .LBB50_517
; %bb.516:
	scratch_load_b32 v90, v7, off offset:4
	ds_load_b32 v91, v1 offset:4
	s_wait_loadcnt_dscnt 0x0
	v_dual_fmac_f32 v89, v90, v91 :: v_dual_mov_b32 v91, 0
	scratch_load_b32 v90, off, off offset:8
	ds_load_b32 v91, v91 offset:216
	s_wait_loadcnt_dscnt 0x0
	v_fma_f32 v90, v90, v91, v89
	s_delay_alu instid0(VALU_DEP_1)
	v_cndmask_b32_e64 v89, v89, v90, s0
.LBB50_517:
	s_or_b32 exec_lo, exec_lo, s2
	v_mov_b32_e32 v90, 0
	ds_load_b32 v90, v90 offset:12
	s_wait_dscnt 0x0
	v_mul_f32_e32 v89, v89, v90
	scratch_store_b32 off, v89, off offset:12
.LBB50_518:
	s_wait_xcnt 0x0
	s_or_b32 exec_lo, exec_lo, s1
	scratch_load_b32 v89, off, off offset:16
	s_mov_b32 s0, exec_lo
	s_wait_loadcnt 0x0
	ds_store_b32 v1, v89
	s_wait_storecnt_dscnt 0x0
	s_barrier_signal -1
	s_barrier_wait -1
	s_wait_xcnt 0x0
	v_cmpx_gt_u32_e32 4, v0
	s_cbranch_execz .LBB50_528
; %bb.519:
	v_cmp_ne_u32_e32 vcc_lo, 1, v88
	s_cbranch_vccnz .LBB50_521
; %bb.520:
	scratch_load_b32 v89, v7, off
	ds_load_b32 v90, v1
	s_wait_loadcnt_dscnt 0x0
	v_mul_f32_e32 v89, v89, v90
	s_cbranch_execz .LBB50_522
	s_branch .LBB50_523
.LBB50_521:
                                        ; implicit-def: $vgpr89
.LBB50_522:
	ds_load_b32 v89, v1
.LBB50_523:
	s_mov_b32 s1, exec_lo
	v_cmpx_ne_u32_e32 3, v0
	s_cbranch_execz .LBB50_527
; %bb.524:
	v_add_nc_u32_e32 v90, 0xd4, v6
	v_add3_u32 v91, 0, v6, 4
	v_mov_b32_e32 v92, v0
	s_mov_b32 s2, 0
.LBB50_525:                             ; =>This Inner Loop Header: Depth=1
	scratch_load_b32 v93, v91, off
	ds_load_b32 v94, v90
	v_dual_add_nc_u32 v92, 1, v92 :: v_dual_add_nc_u32 v90, 4, v90
	s_wait_xcnt 0x0
	v_add_nc_u32_e32 v91, 4, v91
	s_delay_alu instid0(VALU_DEP_2)
	v_cmp_lt_u32_e32 vcc_lo, 2, v92
	s_or_b32 s2, vcc_lo, s2
	s_wait_loadcnt_dscnt 0x0
	v_fmac_f32_e32 v89, v93, v94
	s_and_not1_b32 exec_lo, exec_lo, s2
	s_cbranch_execnz .LBB50_525
; %bb.526:
	s_or_b32 exec_lo, exec_lo, s2
.LBB50_527:
	s_delay_alu instid0(SALU_CYCLE_1)
	s_or_b32 exec_lo, exec_lo, s1
	v_mov_b32_e32 v90, 0
	ds_load_b32 v90, v90 offset:16
	s_wait_dscnt 0x0
	v_mul_f32_e32 v89, v89, v90
	scratch_store_b32 off, v89, off offset:16
.LBB50_528:
	s_wait_xcnt 0x0
	s_or_b32 exec_lo, exec_lo, s0
	scratch_load_b32 v89, off, off offset:20
	s_mov_b32 s0, exec_lo
	s_wait_loadcnt 0x0
	ds_store_b32 v1, v89
	s_wait_storecnt_dscnt 0x0
	s_barrier_signal -1
	s_barrier_wait -1
	s_wait_xcnt 0x0
	v_cmpx_gt_u32_e32 5, v0
	s_cbranch_execz .LBB50_538
; %bb.529:
	v_cmp_ne_u32_e32 vcc_lo, 1, v88
	s_cbranch_vccnz .LBB50_531
; %bb.530:
	scratch_load_b32 v89, v7, off
	ds_load_b32 v90, v1
	s_wait_loadcnt_dscnt 0x0
	v_mul_f32_e32 v89, v89, v90
	s_cbranch_execz .LBB50_532
	s_branch .LBB50_533
.LBB50_531:
                                        ; implicit-def: $vgpr89
.LBB50_532:
	ds_load_b32 v89, v1
.LBB50_533:
	s_mov_b32 s1, exec_lo
	v_cmpx_ne_u32_e32 4, v0
	s_cbranch_execz .LBB50_537
; %bb.534:
	v_add_nc_u32_e32 v90, 0xd4, v6
	v_add3_u32 v91, 0, v6, 4
	v_mov_b32_e32 v92, v0
	s_mov_b32 s2, 0
.LBB50_535:                             ; =>This Inner Loop Header: Depth=1
	scratch_load_b32 v93, v91, off
	ds_load_b32 v94, v90
	v_dual_add_nc_u32 v92, 1, v92 :: v_dual_add_nc_u32 v90, 4, v90
	s_wait_xcnt 0x0
	v_add_nc_u32_e32 v91, 4, v91
	s_delay_alu instid0(VALU_DEP_2)
	v_cmp_lt_u32_e32 vcc_lo, 3, v92
	s_or_b32 s2, vcc_lo, s2
	s_wait_loadcnt_dscnt 0x0
	v_fmac_f32_e32 v89, v93, v94
	s_and_not1_b32 exec_lo, exec_lo, s2
	s_cbranch_execnz .LBB50_535
; %bb.536:
	s_or_b32 exec_lo, exec_lo, s2
.LBB50_537:
	s_delay_alu instid0(SALU_CYCLE_1)
	s_or_b32 exec_lo, exec_lo, s1
	v_mov_b32_e32 v90, 0
	ds_load_b32 v90, v90 offset:20
	s_wait_dscnt 0x0
	v_mul_f32_e32 v89, v89, v90
	scratch_store_b32 off, v89, off offset:20
.LBB50_538:
	;; [unrolled: 59-line block ×45, first 2 shown]
	s_wait_xcnt 0x0
	s_or_b32 exec_lo, exec_lo, s0
	scratch_load_b32 v89, off, off offset:196
	v_cmp_gt_u32_e64 s0, 49, v0
	s_wait_loadcnt 0x0
	ds_store_b32 v1, v89
	s_wait_storecnt_dscnt 0x0
	s_barrier_signal -1
	s_barrier_wait -1
	s_wait_xcnt 0x0
	s_and_saveexec_b32 s1, s0
	s_cbranch_execz .LBB50_978
; %bb.969:
	v_cmp_ne_u32_e32 vcc_lo, 1, v88
	s_cbranch_vccnz .LBB50_971
; %bb.970:
	scratch_load_b32 v89, v7, off
	ds_load_b32 v90, v1
	s_wait_loadcnt_dscnt 0x0
	v_mul_f32_e32 v89, v89, v90
	s_cbranch_execz .LBB50_972
	s_branch .LBB50_973
.LBB50_971:
                                        ; implicit-def: $vgpr89
.LBB50_972:
	ds_load_b32 v89, v1
.LBB50_973:
	s_mov_b32 s2, exec_lo
	v_cmpx_ne_u32_e32 48, v0
	s_cbranch_execz .LBB50_977
; %bb.974:
	v_add_nc_u32_e32 v90, 0xd4, v6
	v_add3_u32 v91, 0, v6, 4
	v_mov_b32_e32 v92, v0
	s_mov_b32 s3, 0
.LBB50_975:                             ; =>This Inner Loop Header: Depth=1
	scratch_load_b32 v93, v91, off
	ds_load_b32 v94, v90
	v_dual_add_nc_u32 v92, 1, v92 :: v_dual_add_nc_u32 v90, 4, v90
	s_wait_xcnt 0x0
	v_add_nc_u32_e32 v91, 4, v91
	s_delay_alu instid0(VALU_DEP_2)
	v_cmp_lt_u32_e32 vcc_lo, 47, v92
	s_or_b32 s3, vcc_lo, s3
	s_wait_loadcnt_dscnt 0x0
	v_fmac_f32_e32 v89, v93, v94
	s_and_not1_b32 exec_lo, exec_lo, s3
	s_cbranch_execnz .LBB50_975
; %bb.976:
	s_or_b32 exec_lo, exec_lo, s3
.LBB50_977:
	s_delay_alu instid0(SALU_CYCLE_1)
	s_or_b32 exec_lo, exec_lo, s2
	v_mov_b32_e32 v90, 0
	ds_load_b32 v90, v90 offset:196
	s_wait_dscnt 0x0
	v_mul_f32_e32 v89, v89, v90
	scratch_store_b32 off, v89, off offset:196
.LBB50_978:
	s_wait_xcnt 0x0
	s_or_b32 exec_lo, exec_lo, s1
	scratch_load_b32 v89, off, off offset:200
	s_mov_b32 s1, exec_lo
	s_wait_loadcnt 0x0
	ds_store_b32 v1, v89
	s_wait_storecnt_dscnt 0x0
	s_barrier_signal -1
	s_barrier_wait -1
	s_wait_xcnt 0x0
	v_cmpx_ne_u32_e32 50, v0
	s_cbranch_execz .LBB50_988
; %bb.979:
	v_cmp_ne_u32_e32 vcc_lo, 1, v88
	s_cbranch_vccnz .LBB50_981
; %bb.980:
	scratch_load_b32 v7, v7, off
	ds_load_b32 v88, v1
	s_wait_loadcnt_dscnt 0x0
	v_mul_f32_e32 v7, v7, v88
	s_cbranch_execz .LBB50_982
	s_branch .LBB50_983
.LBB50_981:
                                        ; implicit-def: $vgpr7
.LBB50_982:
	ds_load_b32 v7, v1
.LBB50_983:
	s_and_saveexec_b32 s2, s0
	s_cbranch_execz .LBB50_987
; %bb.984:
	v_add_nc_u32_e32 v1, 0xd4, v6
	v_add3_u32 v6, 0, v6, 4
	s_mov_b32 s0, 0
.LBB50_985:                             ; =>This Inner Loop Header: Depth=1
	scratch_load_b32 v88, v6, off
	ds_load_b32 v89, v1
	v_dual_add_nc_u32 v0, 1, v0 :: v_dual_add_nc_u32 v1, 4, v1
	s_wait_xcnt 0x0
	v_add_nc_u32_e32 v6, 4, v6
	s_delay_alu instid0(VALU_DEP_2)
	v_cmp_lt_u32_e32 vcc_lo, 48, v0
	s_or_b32 s0, vcc_lo, s0
	s_wait_loadcnt_dscnt 0x0
	v_fmac_f32_e32 v7, v88, v89
	s_and_not1_b32 exec_lo, exec_lo, s0
	s_cbranch_execnz .LBB50_985
; %bb.986:
	s_or_b32 exec_lo, exec_lo, s0
.LBB50_987:
	s_delay_alu instid0(SALU_CYCLE_1)
	s_or_b32 exec_lo, exec_lo, s2
	v_mov_b32_e32 v0, 0
	ds_load_b32 v0, v0 offset:200
	s_wait_dscnt 0x0
	v_mul_f32_e32 v0, v7, v0
	scratch_store_b32 off, v0, off offset:200
.LBB50_988:
	s_wait_xcnt 0x0
	s_or_b32 exec_lo, exec_lo, s1
.LBB50_989:
	s_clause 0x4
	scratch_load_b128 v[88:91], off, off
	scratch_load_b128 v[92:95], off, off offset:16
	scratch_load_b128 v[96:99], off, off offset:32
	;; [unrolled: 1-line block ×4, first 2 shown]
	s_wait_loadcnt 0x4
	global_store_b32 v[2:3], v88, off
	scratch_load_b128 v[0:3], off, off offset:80
	s_clause 0x1
	global_store_b32 v[4:5], v89, off
	global_store_b32 v[122:123], v90, off
	scratch_load_b128 v[4:7], off, off offset:96
	global_store_b32 v[120:121], v91, off
	scratch_load_b128 v[88:91], off, off offset:112
	s_wait_loadcnt 0x6
	global_store_b32 v[118:119], v92, off
	scratch_load_b128 v[118:121], off, off offset:128
	s_clause 0x1
	global_store_b32 v[114:115], v93, off
	global_store_b32 v[116:117], v94, off
	scratch_load_b128 v[114:117], off, off offset:144
	global_store_b32 v[112:113], v95, off
	scratch_load_b128 v[92:95], off, off offset:160
	s_wait_loadcnt 0x8
	global_store_b32 v[110:111], v96, off
	scratch_load_b128 v[110:113], off, off offset:176
	s_clause 0x1
	global_store_b32 v[106:107], v97, off
	global_store_b32 v[108:109], v98, off
	scratch_load_b96 v[96:98], off, off offset:192
	global_store_b32 v[8:9], v99, off
	s_wait_loadcnt 0x9
	s_clause 0x3
	global_store_b32 v[10:11], v100, off
	global_store_b32 v[12:13], v101, off
	global_store_b32 v[14:15], v102, off
	global_store_b32 v[16:17], v103, off
	s_wait_loadcnt 0x8
	s_clause 0x3
	global_store_b32 v[18:19], v124, off
	global_store_b32 v[20:21], v125, off
	global_store_b32 v[22:23], v126, off
	;; [unrolled: 6-line block ×10, first 2 shown]
.LBB50_990:
	s_sendmsg sendmsg(MSG_DEALLOC_VGPRS)
	s_endpgm
	.section	.rodata,"a",@progbits
	.p2align	6, 0x0
	.amdhsa_kernel _ZN9rocsolver6v33100L18trti2_kernel_smallILi51EfPfEEv13rocblas_fill_17rocblas_diagonal_T1_iil
		.amdhsa_group_segment_fixed_size 412
		.amdhsa_private_segment_fixed_size 208
		.amdhsa_kernarg_size 32
		.amdhsa_user_sgpr_count 2
		.amdhsa_user_sgpr_dispatch_ptr 0
		.amdhsa_user_sgpr_queue_ptr 0
		.amdhsa_user_sgpr_kernarg_segment_ptr 1
		.amdhsa_user_sgpr_dispatch_id 0
		.amdhsa_user_sgpr_kernarg_preload_length 0
		.amdhsa_user_sgpr_kernarg_preload_offset 0
		.amdhsa_user_sgpr_private_segment_size 0
		.amdhsa_wavefront_size32 1
		.amdhsa_uses_dynamic_stack 0
		.amdhsa_enable_private_segment 1
		.amdhsa_system_sgpr_workgroup_id_x 1
		.amdhsa_system_sgpr_workgroup_id_y 0
		.amdhsa_system_sgpr_workgroup_id_z 0
		.amdhsa_system_sgpr_workgroup_info 0
		.amdhsa_system_vgpr_workitem_id 0
		.amdhsa_next_free_vgpr 128
		.amdhsa_next_free_sgpr 20
		.amdhsa_named_barrier_count 0
		.amdhsa_reserve_vcc 1
		.amdhsa_float_round_mode_32 0
		.amdhsa_float_round_mode_16_64 0
		.amdhsa_float_denorm_mode_32 3
		.amdhsa_float_denorm_mode_16_64 3
		.amdhsa_fp16_overflow 0
		.amdhsa_memory_ordered 1
		.amdhsa_forward_progress 1
		.amdhsa_inst_pref_size 222
		.amdhsa_round_robin_scheduling 0
		.amdhsa_exception_fp_ieee_invalid_op 0
		.amdhsa_exception_fp_denorm_src 0
		.amdhsa_exception_fp_ieee_div_zero 0
		.amdhsa_exception_fp_ieee_overflow 0
		.amdhsa_exception_fp_ieee_underflow 0
		.amdhsa_exception_fp_ieee_inexact 0
		.amdhsa_exception_int_div_zero 0
	.end_amdhsa_kernel
	.section	.text._ZN9rocsolver6v33100L18trti2_kernel_smallILi51EfPfEEv13rocblas_fill_17rocblas_diagonal_T1_iil,"axG",@progbits,_ZN9rocsolver6v33100L18trti2_kernel_smallILi51EfPfEEv13rocblas_fill_17rocblas_diagonal_T1_iil,comdat
.Lfunc_end50:
	.size	_ZN9rocsolver6v33100L18trti2_kernel_smallILi51EfPfEEv13rocblas_fill_17rocblas_diagonal_T1_iil, .Lfunc_end50-_ZN9rocsolver6v33100L18trti2_kernel_smallILi51EfPfEEv13rocblas_fill_17rocblas_diagonal_T1_iil
                                        ; -- End function
	.set _ZN9rocsolver6v33100L18trti2_kernel_smallILi51EfPfEEv13rocblas_fill_17rocblas_diagonal_T1_iil.num_vgpr, 128
	.set _ZN9rocsolver6v33100L18trti2_kernel_smallILi51EfPfEEv13rocblas_fill_17rocblas_diagonal_T1_iil.num_agpr, 0
	.set _ZN9rocsolver6v33100L18trti2_kernel_smallILi51EfPfEEv13rocblas_fill_17rocblas_diagonal_T1_iil.numbered_sgpr, 20
	.set _ZN9rocsolver6v33100L18trti2_kernel_smallILi51EfPfEEv13rocblas_fill_17rocblas_diagonal_T1_iil.num_named_barrier, 0
	.set _ZN9rocsolver6v33100L18trti2_kernel_smallILi51EfPfEEv13rocblas_fill_17rocblas_diagonal_T1_iil.private_seg_size, 208
	.set _ZN9rocsolver6v33100L18trti2_kernel_smallILi51EfPfEEv13rocblas_fill_17rocblas_diagonal_T1_iil.uses_vcc, 1
	.set _ZN9rocsolver6v33100L18trti2_kernel_smallILi51EfPfEEv13rocblas_fill_17rocblas_diagonal_T1_iil.uses_flat_scratch, 1
	.set _ZN9rocsolver6v33100L18trti2_kernel_smallILi51EfPfEEv13rocblas_fill_17rocblas_diagonal_T1_iil.has_dyn_sized_stack, 0
	.set _ZN9rocsolver6v33100L18trti2_kernel_smallILi51EfPfEEv13rocblas_fill_17rocblas_diagonal_T1_iil.has_recursion, 0
	.set _ZN9rocsolver6v33100L18trti2_kernel_smallILi51EfPfEEv13rocblas_fill_17rocblas_diagonal_T1_iil.has_indirect_call, 0
	.section	.AMDGPU.csdata,"",@progbits
; Kernel info:
; codeLenInByte = 28308
; TotalNumSgprs: 22
; NumVgprs: 128
; ScratchSize: 208
; MemoryBound: 0
; FloatMode: 240
; IeeeMode: 1
; LDSByteSize: 412 bytes/workgroup (compile time only)
; SGPRBlocks: 0
; VGPRBlocks: 7
; NumSGPRsForWavesPerEU: 22
; NumVGPRsForWavesPerEU: 128
; NamedBarCnt: 0
; Occupancy: 8
; WaveLimiterHint : 0
; COMPUTE_PGM_RSRC2:SCRATCH_EN: 1
; COMPUTE_PGM_RSRC2:USER_SGPR: 2
; COMPUTE_PGM_RSRC2:TRAP_HANDLER: 0
; COMPUTE_PGM_RSRC2:TGID_X_EN: 1
; COMPUTE_PGM_RSRC2:TGID_Y_EN: 0
; COMPUTE_PGM_RSRC2:TGID_Z_EN: 0
; COMPUTE_PGM_RSRC2:TIDIG_COMP_CNT: 0
	.section	.text._ZN9rocsolver6v33100L18trti2_kernel_smallILi52EfPfEEv13rocblas_fill_17rocblas_diagonal_T1_iil,"axG",@progbits,_ZN9rocsolver6v33100L18trti2_kernel_smallILi52EfPfEEv13rocblas_fill_17rocblas_diagonal_T1_iil,comdat
	.globl	_ZN9rocsolver6v33100L18trti2_kernel_smallILi52EfPfEEv13rocblas_fill_17rocblas_diagonal_T1_iil ; -- Begin function _ZN9rocsolver6v33100L18trti2_kernel_smallILi52EfPfEEv13rocblas_fill_17rocblas_diagonal_T1_iil
	.p2align	8
	.type	_ZN9rocsolver6v33100L18trti2_kernel_smallILi52EfPfEEv13rocblas_fill_17rocblas_diagonal_T1_iil,@function
_ZN9rocsolver6v33100L18trti2_kernel_smallILi52EfPfEEv13rocblas_fill_17rocblas_diagonal_T1_iil: ; @_ZN9rocsolver6v33100L18trti2_kernel_smallILi52EfPfEEv13rocblas_fill_17rocblas_diagonal_T1_iil
; %bb.0:
	s_mov_b32 s2, exec_lo
	v_cmpx_gt_u32_e32 52, v0
	s_cbranch_execz .LBB51_1010
; %bb.1:
	s_load_b256 s[4:11], s[0:1], 0x0
	s_wait_xcnt 0x0
	s_bfe_u32 s0, ttmp6, 0x4000c
	s_and_b32 s1, ttmp6, 15
	s_add_co_i32 s0, s0, 1
	s_getreg_b32 s2, hwreg(HW_REG_IB_STS2, 6, 4)
	s_mul_i32 s0, ttmp9, s0
	v_mov_b32_e32 v7, 0
	s_add_co_i32 s0, s1, s0
	s_wait_kmcnt 0x0
	v_add3_u32 v8, s9, s9, v0
	s_ashr_i32 s1, s8, 31
	s_cmp_eq_u32 s2, 0
	s_cselect_b32 s2, ttmp9, s0
	s_delay_alu instid0(VALU_DEP_1)
	v_add_nc_u32_e32 v10, s9, v8
	s_ashr_i32 s3, s2, 31
	s_mov_b32 s0, s8
	s_mul_u64 s[2:3], s[10:11], s[2:3]
	s_lshl_b64 s[0:1], s[0:1], 2
	v_add_nc_u32_e32 v12, s9, v10
	s_lshl_b64 s[2:3], s[2:3], 2
	s_delay_alu instid0(SALU_CYCLE_1) | instskip(NEXT) | instid1(VALU_DEP_1)
	s_add_nc_u64 s[2:3], s[6:7], s[2:3]
	v_add_nc_u32_e32 v14, s9, v12
	s_add_nc_u64 s[6:7], s[2:3], s[0:1]
	s_mov_b32 s0, s9
	s_ashr_i32 s1, s9, 31
	s_cmp_lg_u32 s5, 0x84
	v_add_nc_u32_e32 v16, s9, v14
	s_cselect_b32 s3, -1, 0
	s_cmp_eq_u32 s5, 0x84
	s_delay_alu instid0(VALU_DEP_1) | instskip(NEXT) | instid1(VALU_DEP_1)
	v_dual_ashrrev_i32 v11, 31, v10 :: v_dual_add_nc_u32 v18, s9, v16
	v_dual_ashrrev_i32 v13, 31, v12 :: v_dual_ashrrev_i32 v19, 31, v18
	v_dual_add_nc_u32 v20, s9, v18 :: v_dual_ashrrev_i32 v9, 31, v8
	s_delay_alu instid0(VALU_DEP_1) | instskip(NEXT) | instid1(VALU_DEP_1)
	v_dual_ashrrev_i32 v15, 31, v14 :: v_dual_add_nc_u32 v22, s9, v20
	v_add_nc_u32_e32 v24, s9, v22
	s_delay_alu instid0(VALU_DEP_1) | instskip(NEXT) | instid1(VALU_DEP_1)
	v_add_nc_u32_e32 v26, s9, v24
	v_dual_add_nc_u32 v28, s9, v26 :: v_dual_ashrrev_i32 v17, 31, v16
	s_delay_alu instid0(VALU_DEP_1) | instskip(NEXT) | instid1(VALU_DEP_1)
	v_dual_ashrrev_i32 v23, 31, v22 :: v_dual_add_nc_u32 v30, s9, v28
	v_dual_ashrrev_i32 v25, 31, v24 :: v_dual_ashrrev_i32 v31, 31, v30
	v_dual_add_nc_u32 v32, s9, v30 :: v_dual_ashrrev_i32 v21, 31, v20
	s_delay_alu instid0(VALU_DEP_1) | instskip(NEXT) | instid1(VALU_DEP_1)
	v_dual_ashrrev_i32 v27, 31, v26 :: v_dual_add_nc_u32 v34, s9, v32
	v_add_nc_u32_e32 v36, s9, v34
	s_delay_alu instid0(VALU_DEP_1) | instskip(NEXT) | instid1(VALU_DEP_1)
	v_add_nc_u32_e32 v38, s9, v36
	v_dual_add_nc_u32 v40, s9, v38 :: v_dual_ashrrev_i32 v29, 31, v28
	s_delay_alu instid0(VALU_DEP_1) | instskip(NEXT) | instid1(VALU_DEP_1)
	v_dual_ashrrev_i32 v35, 31, v34 :: v_dual_add_nc_u32 v42, s9, v40
	v_dual_ashrrev_i32 v37, 31, v36 :: v_dual_ashrrev_i32 v43, 31, v42
	v_dual_add_nc_u32 v44, s9, v42 :: v_dual_ashrrev_i32 v33, 31, v32
	s_delay_alu instid0(VALU_DEP_1) | instskip(SKIP_1) | instid1(VALU_DEP_2)
	v_dual_ashrrev_i32 v39, 31, v38 :: v_dual_add_nc_u32 v46, s9, v44
	v_lshlrev_b32_e32 v6, 2, v0
	v_dual_ashrrev_i32 v41, 31, v40 :: v_dual_ashrrev_i32 v47, 31, v46
	v_add_nc_u32_e32 v48, s9, v46
	s_delay_alu instid0(VALU_DEP_3) | instskip(NEXT) | instid1(VALU_DEP_2)
	v_add_nc_u64_e32 v[2:3], s[6:7], v[6:7]
	v_add_nc_u32_e32 v50, s9, v48
	s_delay_alu instid0(VALU_DEP_2)
	v_lshl_add_u64 v[4:5], s[0:1], 2, v[2:3]
	s_clause 0x7
	global_load_b32 v88, v0, s[6:7] scale_offset
	global_load_b32 v89, v[4:5], off
	global_load_b32 v90, v8, s[6:7] scale_offset
	global_load_b32 v91, v10, s[6:7] scale_offset
	;; [unrolled: 1-line block ×6, first 2 shown]
	v_add_nc_u32_e32 v52, s9, v50
	s_clause 0x7
	global_load_b32 v96, v20, s[6:7] scale_offset
	global_load_b32 v97, v22, s[6:7] scale_offset
	;; [unrolled: 1-line block ×8, first 2 shown]
	v_add_nc_u32_e32 v54, s9, v52
	s_delay_alu instid0(VALU_DEP_1)
	v_add_nc_u32_e32 v56, s9, v54
	s_clause 0x7
	global_load_b32 v104, v36, s[6:7] scale_offset
	global_load_b32 v105, v38, s[6:7] scale_offset
	;; [unrolled: 1-line block ×8, first 2 shown]
	v_dual_ashrrev_i32 v45, 31, v44 :: v_dual_ashrrev_i32 v51, 31, v50
	v_add_nc_u32_e32 v58, s9, v56
	s_delay_alu instid0(VALU_DEP_1) | instskip(SKIP_1) | instid1(VALU_DEP_1)
	v_dual_ashrrev_i32 v53, 31, v52 :: v_dual_ashrrev_i32 v59, 31, v58
	v_dual_add_nc_u32 v60, s9, v58 :: v_dual_ashrrev_i32 v49, 31, v48
	v_dual_ashrrev_i32 v55, 31, v54 :: v_dual_add_nc_u32 v62, s9, v60
	s_delay_alu instid0(VALU_DEP_1) | instskip(NEXT) | instid1(VALU_DEP_1)
	v_add_nc_u32_e32 v64, s9, v62
	v_add_nc_u32_e32 v66, s9, v64
	s_delay_alu instid0(VALU_DEP_1) | instskip(NEXT) | instid1(VALU_DEP_1)
	v_dual_add_nc_u32 v68, s9, v66 :: v_dual_ashrrev_i32 v57, 31, v56
	v_dual_ashrrev_i32 v63, 31, v62 :: v_dual_add_nc_u32 v70, s9, v68
	s_delay_alu instid0(VALU_DEP_1)
	v_dual_ashrrev_i32 v65, 31, v64 :: v_dual_ashrrev_i32 v71, 31, v70
	v_add_nc_u32_e32 v72, s9, v70
	s_clause 0x7
	global_load_b32 v112, v52, s[6:7] scale_offset
	global_load_b32 v113, v54, s[6:7] scale_offset
	;; [unrolled: 1-line block ×8, first 2 shown]
	v_dual_ashrrev_i32 v61, 31, v60 :: v_dual_ashrrev_i32 v67, 31, v66
	v_add_nc_u32_e32 v74, s9, v72
	s_delay_alu instid0(VALU_DEP_1) | instskip(NEXT) | instid1(VALU_DEP_1)
	v_add_nc_u32_e32 v76, s9, v74
	v_add_nc_u32_e32 v78, s9, v76
	s_delay_alu instid0(VALU_DEP_1)
	v_add_nc_u32_e32 v80, s9, v78
	s_clause 0x3
	global_load_b32 v120, v68, s[6:7] scale_offset
	global_load_b32 v121, v70, s[6:7] scale_offset
	;; [unrolled: 1-line block ×4, first 2 shown]
	v_dual_ashrrev_i32 v69, 31, v68 :: v_dual_ashrrev_i32 v75, 31, v74
	v_add_nc_u32_e32 v82, s9, v80
	s_delay_alu instid0(VALU_DEP_1) | instskip(SKIP_1) | instid1(VALU_DEP_1)
	v_dual_ashrrev_i32 v77, 31, v76 :: v_dual_ashrrev_i32 v83, 31, v82
	v_dual_add_nc_u32 v84, s9, v82 :: v_dual_ashrrev_i32 v73, 31, v72
	v_dual_ashrrev_i32 v79, 31, v78 :: v_dual_add_nc_u32 v86, s9, v84
	s_wait_loadcnt 0x20
	scratch_store_b128 off, v[88:91], off
	s_wait_xcnt 0x0
	v_add_nc_u32_e32 v88, s9, v86
	s_clause 0x3
	global_load_b32 v124, v76, s[6:7] scale_offset
	global_load_b32 v125, v78, s[6:7] scale_offset
	;; [unrolled: 1-line block ×4, first 2 shown]
	s_wait_loadcnt 0x20
	scratch_store_b128 off, v[92:95], off offset:16
	s_wait_loadcnt 0x1c
	scratch_store_b128 off, v[96:99], off offset:32
	v_add_nc_u32_e32 v90, s9, v88
	s_wait_loadcnt 0x18
	scratch_store_b128 off, v[100:103], off offset:48
	s_wait_loadcnt 0x14
	scratch_store_b128 off, v[104:107], off offset:64
	s_wait_xcnt 0x3
	v_dual_add_nc_u32 v92, s9, v90 :: v_dual_ashrrev_i32 v81, 31, v80
	v_ashrrev_i32_e32 v87, 31, v86
	s_wait_loadcnt 0x10
	scratch_store_b128 off, v[108:111], off offset:80
	s_wait_xcnt 0x0
	v_dual_mov_b32 v108, -1.0 :: v_dual_add_nc_u32 v94, s9, v92
	v_ashrrev_i32_e32 v89, 31, v88
	s_wait_loadcnt 0xc
	scratch_store_b128 off, v[112:115], off offset:96
	s_wait_loadcnt 0x8
	scratch_store_b128 off, v[116:119], off offset:112
	v_dual_add_nc_u32 v96, s9, v94 :: v_dual_ashrrev_i32 v85, 31, v84
	v_ashrrev_i32_e32 v91, 31, v90
	s_delay_alu instid0(VALU_DEP_2) | instskip(NEXT) | instid1(VALU_DEP_1)
	v_dual_ashrrev_i32 v95, 31, v94 :: v_dual_add_nc_u32 v98, s9, v96
	v_add_nc_u32_e32 v100, s9, v98
	s_delay_alu instid0(VALU_DEP_1) | instskip(NEXT) | instid1(VALU_DEP_1)
	v_add_nc_u32_e32 v102, s9, v100
	v_dual_ashrrev_i32 v97, 31, v96 :: v_dual_ashrrev_i32 v103, 31, v102
	v_add_nc_u32_e32 v104, s9, v102
	s_clause 0x7
	global_load_b32 v110, v84, s[6:7] scale_offset
	global_load_b32 v111, v86, s[6:7] scale_offset
	global_load_b32 v112, v88, s[6:7] scale_offset
	global_load_b32 v113, v90, s[6:7] scale_offset
	global_load_b32 v114, v92, s[6:7] scale_offset
	global_load_b32 v115, v94, s[6:7] scale_offset
	global_load_b32 v116, v96, s[6:7] scale_offset
	global_load_b32 v117, v98, s[6:7] scale_offset
	s_wait_loadcnt 0xc
	scratch_store_b128 off, v[120:123], off offset:128
	v_dual_ashrrev_i32 v93, 31, v92 :: v_dual_ashrrev_i32 v99, 31, v98
	v_add_nc_u32_e32 v106, s9, v104
	s_clause 0x3
	global_load_b32 v118, v100, s[6:7] scale_offset
	global_load_b32 v119, v102, s[6:7] scale_offset
	;; [unrolled: 1-line block ×4, first 2 shown]
	v_ashrrev_i32_e32 v101, 31, v100
	v_dual_ashrrev_i32 v105, 31, v104 :: v_dual_ashrrev_i32 v107, 31, v106
	s_wait_loadcnt 0xc
	scratch_store_b128 off, v[124:127], off offset:144
	s_wait_loadcnt 0x8
	scratch_store_b128 off, v[110:113], off offset:160
	;; [unrolled: 2-line block ×4, first 2 shown]
	s_cbranch_scc1 .LBB51_3
; %bb.2:
	scratch_load_b32 v1, v0, off scale_offset
	s_wait_loadcnt 0x0
	v_div_scale_f32 v7, null, v1, v1, 1.0
	s_delay_alu instid0(VALU_DEP_1) | instskip(SKIP_1) | instid1(TRANS32_DEP_1)
	v_rcp_f32_e32 v108, v7
	v_nop
	v_fma_f32 v109, -v7, v108, 1.0
	s_delay_alu instid0(VALU_DEP_1) | instskip(SKIP_2) | instid1(VALU_DEP_1)
	v_fmac_f32_e32 v108, v109, v108
	v_div_scale_f32 v109, vcc_lo, 1.0, v1, 1.0
	s_wait_xcnt 0x3
	v_mul_f32_e32 v110, v109, v108
	s_delay_alu instid0(VALU_DEP_1) | instskip(NEXT) | instid1(VALU_DEP_1)
	v_fma_f32 v111, -v7, v110, v109
	v_fmac_f32_e32 v110, v111, v108
	s_delay_alu instid0(VALU_DEP_1) | instskip(NEXT) | instid1(VALU_DEP_1)
	v_fma_f32 v7, -v7, v110, v109
	v_div_fmas_f32 v7, v7, v108, v110
	s_delay_alu instid0(VALU_DEP_1) | instskip(NEXT) | instid1(VALU_DEP_1)
	v_div_fixup_f32 v1, v7, v1, 1.0
	v_xor_b32_e32 v108, 0x80000000, v1
	scratch_store_b32 v0, v1, off scale_offset
.LBB51_3:
	s_wait_xcnt 0x0
	v_add_nc_u32_e32 v1, 0xd0, v6
	v_mov_b32_e32 v7, v6
	s_cmp_eq_u32 s4, 0x79
	s_mov_b32 s1, -1
	ds_store_b32 v6, v108
	s_cbranch_scc1 .LBB51_507
; %bb.4:
	scratch_load_b32 v108, off, off offset:200
	v_cmp_eq_u32_e64 s0, 51, v0
	s_movk_i32 s1, 0x50
	s_movk_i32 s10, 0x60
	;; [unrolled: 1-line block ×8, first 2 shown]
	s_wait_loadcnt 0x0
	ds_store_b32 v1, v108
	s_wait_storecnt_dscnt 0x0
	s_barrier_signal -1
	s_barrier_wait -1
	s_wait_xcnt 0x0
	s_and_saveexec_b32 s2, s0
	s_cbranch_execz .LBB51_10
; %bb.5:
	s_and_b32 vcc_lo, exec_lo, s3
	s_cbranch_vccz .LBB51_7
; %bb.6:
	scratch_load_b32 v108, v7, off
	ds_load_b32 v109, v1
	s_wait_loadcnt_dscnt 0x0
	v_mul_f32_e32 v108, v108, v109
	s_cbranch_execz .LBB51_8
	s_branch .LBB51_9
.LBB51_7:
                                        ; implicit-def: $vgpr108
.LBB51_8:
	ds_load_b32 v108, v1
.LBB51_9:
	v_mov_b32_e32 v109, 0
	ds_load_b32 v109, v109 offset:200
	s_wait_dscnt 0x0
	v_mul_f32_e32 v108, v108, v109
	scratch_store_b32 off, v108, off offset:200
.LBB51_10:
	s_wait_xcnt 0x0
	s_or_b32 exec_lo, exec_lo, s2
	scratch_load_b32 v108, off, off offset:196
	s_mov_b32 s9, s1
	v_cmp_lt_u32_e64 s1, 49, v0
	s_mov_b32 s4, 16
	s_mov_b32 s2, 32
	s_mov_b32 s5, 48
	s_mov_b32 s8, 64
	s_wait_loadcnt 0x0
	ds_store_b32 v1, v108
	s_wait_storecnt_dscnt 0x0
	s_barrier_signal -1
	s_barrier_wait -1
	s_wait_xcnt 0x0
	s_and_saveexec_b32 s17, s1
	s_cbranch_execz .LBB51_16
; %bb.11:
	s_and_not1_b32 vcc_lo, exec_lo, s3
	s_cbranch_vccnz .LBB51_13
; %bb.12:
	scratch_load_b32 v108, v7, off
	ds_load_b32 v109, v1
	s_wait_loadcnt_dscnt 0x0
	v_mul_f32_e32 v108, v108, v109
	s_cbranch_execz .LBB51_14
	s_branch .LBB51_15
.LBB51_13:
                                        ; implicit-def: $vgpr108
.LBB51_14:
	ds_load_b32 v108, v1
.LBB51_15:
	scratch_load_b32 v109, off, off offset:200
	v_mov_b32_e32 v110, 0
	ds_load_2addr_b32 v[110:111], v110 offset0:49 offset1:102
	s_wait_loadcnt_dscnt 0x0
	v_fma_f32 v109, v109, v111, v108
	s_delay_alu instid0(VALU_DEP_1) | instskip(NEXT) | instid1(VALU_DEP_1)
	v_cndmask_b32_e64 v108, v108, v109, s0
	v_mul_f32_e32 v108, v108, v110
	scratch_store_b32 off, v108, off offset:196
.LBB51_16:
	s_wait_xcnt 0x0
	s_or_b32 exec_lo, exec_lo, s17
	scratch_load_b32 v108, off, off offset:192
	v_cmp_lt_u32_e64 s0, 48, v0
	s_wait_loadcnt 0x0
	ds_store_b32 v1, v108
	s_wait_storecnt_dscnt 0x0
	s_barrier_signal -1
	s_barrier_wait -1
	s_wait_xcnt 0x0
	s_and_saveexec_b32 s17, s0
	s_cbranch_execz .LBB51_26
; %bb.17:
	s_and_not1_b32 vcc_lo, exec_lo, s3
	s_cbranch_vccnz .LBB51_19
; %bb.18:
	scratch_load_b32 v108, v7, off
	ds_load_b32 v109, v1
	s_wait_loadcnt_dscnt 0x0
	v_mul_f32_e32 v108, v108, v109
	s_cbranch_execz .LBB51_20
	s_branch .LBB51_21
.LBB51_19:
                                        ; implicit-def: $vgpr108
.LBB51_20:
	ds_load_b32 v108, v1
.LBB51_21:
	s_and_saveexec_b32 s18, s1
	s_cbranch_execz .LBB51_25
; %bb.22:
	v_subrev_nc_u32_e32 v109, 49, v0
	s_movk_i32 s1, 0xc4
	s_movk_i32 s20, 0x194
	s_mov_b32 s19, 0
.LBB51_23:                              ; =>This Inner Loop Header: Depth=1
	scratch_load_b32 v110, off, s1
	v_dual_mov_b32 v111, s20 :: v_dual_add_nc_u32 v109, -1, v109
	s_add_co_i32 s20, s20, 4
	s_wait_xcnt 0x0
	s_add_co_i32 s1, s1, 4
	ds_load_b32 v111, v111
	v_cmp_eq_u32_e32 vcc_lo, 0, v109
	s_or_b32 s19, vcc_lo, s19
	s_wait_loadcnt_dscnt 0x0
	v_fmac_f32_e32 v108, v110, v111
	s_and_not1_b32 exec_lo, exec_lo, s19
	s_cbranch_execnz .LBB51_23
; %bb.24:
	s_or_b32 exec_lo, exec_lo, s19
.LBB51_25:
	s_delay_alu instid0(SALU_CYCLE_1)
	s_or_b32 exec_lo, exec_lo, s18
	v_mov_b32_e32 v109, 0
	ds_load_b32 v109, v109 offset:192
	s_wait_dscnt 0x0
	v_mul_f32_e32 v108, v108, v109
	scratch_store_b32 off, v108, off offset:192
.LBB51_26:
	s_wait_xcnt 0x0
	s_or_b32 exec_lo, exec_lo, s17
	scratch_load_b32 v108, off, off offset:188
	v_cmp_lt_u32_e64 s1, 47, v0
	s_wait_loadcnt 0x0
	ds_store_b32 v1, v108
	s_wait_storecnt_dscnt 0x0
	s_barrier_signal -1
	s_barrier_wait -1
	s_wait_xcnt 0x0
	s_and_saveexec_b32 s17, s1
	s_cbranch_execz .LBB51_36
; %bb.27:
	s_and_not1_b32 vcc_lo, exec_lo, s3
	s_cbranch_vccnz .LBB51_29
; %bb.28:
	scratch_load_b32 v108, v7, off
	ds_load_b32 v109, v1
	s_wait_loadcnt_dscnt 0x0
	v_mul_f32_e32 v108, v108, v109
	s_cbranch_execz .LBB51_30
	s_branch .LBB51_31
.LBB51_29:
                                        ; implicit-def: $vgpr108
.LBB51_30:
	ds_load_b32 v108, v1
.LBB51_31:
	s_and_saveexec_b32 s18, s0
	s_cbranch_execz .LBB51_35
; %bb.32:
	v_subrev_nc_u32_e32 v109, 48, v0
	s_movk_i32 s19, 0x190
	s_mov_b32 s0, 0
.LBB51_33:                              ; =>This Inner Loop Header: Depth=1
	scratch_load_b32 v110, off, s16
	v_dual_mov_b32 v111, s19 :: v_dual_add_nc_u32 v109, -1, v109
	s_add_co_i32 s19, s19, 4
	s_wait_xcnt 0x0
	s_add_co_i32 s16, s16, 4
	ds_load_b32 v111, v111
	v_cmp_eq_u32_e32 vcc_lo, 0, v109
	s_or_b32 s0, vcc_lo, s0
	s_wait_loadcnt_dscnt 0x0
	v_fmac_f32_e32 v108, v110, v111
	s_and_not1_b32 exec_lo, exec_lo, s0
	s_cbranch_execnz .LBB51_33
; %bb.34:
	s_or_b32 exec_lo, exec_lo, s0
.LBB51_35:
	s_delay_alu instid0(SALU_CYCLE_1)
	s_or_b32 exec_lo, exec_lo, s18
	v_mov_b32_e32 v109, 0
	ds_load_b32 v109, v109 offset:188
	s_wait_dscnt 0x0
	v_mul_f32_e32 v108, v108, v109
	scratch_store_b32 off, v108, off offset:188
.LBB51_36:
	s_wait_xcnt 0x0
	s_or_b32 exec_lo, exec_lo, s17
	scratch_load_b32 v108, off, off offset:184
	v_cmp_lt_u32_e64 s0, 46, v0
	s_wait_loadcnt 0x0
	ds_store_b32 v1, v108
	s_wait_storecnt_dscnt 0x0
	s_barrier_signal -1
	s_barrier_wait -1
	s_wait_xcnt 0x0
	s_and_saveexec_b32 s16, s0
	s_cbranch_execz .LBB51_46
; %bb.37:
	s_and_not1_b32 vcc_lo, exec_lo, s3
	s_cbranch_vccnz .LBB51_39
; %bb.38:
	scratch_load_b32 v108, v7, off
	ds_load_b32 v109, v1
	s_wait_loadcnt_dscnt 0x0
	v_mul_f32_e32 v108, v108, v109
	s_cbranch_execz .LBB51_40
	s_branch .LBB51_41
.LBB51_39:
                                        ; implicit-def: $vgpr108
.LBB51_40:
	ds_load_b32 v108, v1
.LBB51_41:
	s_and_saveexec_b32 s17, s1
	s_cbranch_execz .LBB51_45
; %bb.42:
	v_subrev_nc_u32_e32 v109, 47, v0
	s_movk_i32 s1, 0xbc
	s_movk_i32 s19, 0x18c
	s_mov_b32 s18, 0
.LBB51_43:                              ; =>This Inner Loop Header: Depth=1
	scratch_load_b32 v110, off, s1
	v_dual_mov_b32 v111, s19 :: v_dual_add_nc_u32 v109, -1, v109
	s_add_co_i32 s19, s19, 4
	s_wait_xcnt 0x0
	s_add_co_i32 s1, s1, 4
	ds_load_b32 v111, v111
	v_cmp_eq_u32_e32 vcc_lo, 0, v109
	s_or_b32 s18, vcc_lo, s18
	s_wait_loadcnt_dscnt 0x0
	v_fmac_f32_e32 v108, v110, v111
	s_and_not1_b32 exec_lo, exec_lo, s18
	s_cbranch_execnz .LBB51_43
; %bb.44:
	s_or_b32 exec_lo, exec_lo, s18
.LBB51_45:
	s_delay_alu instid0(SALU_CYCLE_1)
	s_or_b32 exec_lo, exec_lo, s17
	v_mov_b32_e32 v109, 0
	ds_load_b32 v109, v109 offset:184
	s_wait_dscnt 0x0
	v_mul_f32_e32 v108, v108, v109
	scratch_store_b32 off, v108, off offset:184
.LBB51_46:
	s_wait_xcnt 0x0
	s_or_b32 exec_lo, exec_lo, s16
	scratch_load_b32 v108, off, off offset:180
	v_cmp_lt_u32_e64 s1, 45, v0
	s_wait_loadcnt 0x0
	ds_store_b32 v1, v108
	s_wait_storecnt_dscnt 0x0
	s_barrier_signal -1
	s_barrier_wait -1
	s_wait_xcnt 0x0
	s_and_saveexec_b32 s16, s1
	s_cbranch_execz .LBB51_56
; %bb.47:
	s_and_not1_b32 vcc_lo, exec_lo, s3
	s_cbranch_vccnz .LBB51_49
; %bb.48:
	scratch_load_b32 v108, v7, off
	ds_load_b32 v109, v1
	s_wait_loadcnt_dscnt 0x0
	v_mul_f32_e32 v108, v108, v109
	s_cbranch_execz .LBB51_50
	s_branch .LBB51_51
.LBB51_49:
                                        ; implicit-def: $vgpr108
.LBB51_50:
	ds_load_b32 v108, v1
.LBB51_51:
	s_and_saveexec_b32 s17, s0
	s_cbranch_execz .LBB51_55
; %bb.52:
	v_subrev_nc_u32_e32 v109, 46, v0
	s_movk_i32 s0, 0xb8
	s_movk_i32 s19, 0x188
	s_mov_b32 s18, 0
.LBB51_53:                              ; =>This Inner Loop Header: Depth=1
	scratch_load_b32 v110, off, s0
	v_dual_mov_b32 v111, s19 :: v_dual_add_nc_u32 v109, -1, v109
	s_add_co_i32 s19, s19, 4
	s_wait_xcnt 0x0
	s_add_co_i32 s0, s0, 4
	ds_load_b32 v111, v111
	v_cmp_eq_u32_e32 vcc_lo, 0, v109
	s_or_b32 s18, vcc_lo, s18
	s_wait_loadcnt_dscnt 0x0
	v_fmac_f32_e32 v108, v110, v111
	s_and_not1_b32 exec_lo, exec_lo, s18
	s_cbranch_execnz .LBB51_53
; %bb.54:
	s_or_b32 exec_lo, exec_lo, s18
.LBB51_55:
	s_delay_alu instid0(SALU_CYCLE_1)
	s_or_b32 exec_lo, exec_lo, s17
	v_mov_b32_e32 v109, 0
	ds_load_b32 v109, v109 offset:180
	s_wait_dscnt 0x0
	v_mul_f32_e32 v108, v108, v109
	scratch_store_b32 off, v108, off offset:180
.LBB51_56:
	;; [unrolled: 58-line block ×3, first 2 shown]
	s_wait_xcnt 0x0
	s_or_b32 exec_lo, exec_lo, s16
	scratch_load_b32 v108, off, off offset:172
	v_cmp_lt_u32_e64 s1, 43, v0
	s_wait_loadcnt 0x0
	ds_store_b32 v1, v108
	s_wait_storecnt_dscnt 0x0
	s_barrier_signal -1
	s_barrier_wait -1
	s_wait_xcnt 0x0
	s_and_saveexec_b32 s16, s1
	s_cbranch_execz .LBB51_76
; %bb.67:
	s_and_not1_b32 vcc_lo, exec_lo, s3
	s_cbranch_vccnz .LBB51_69
; %bb.68:
	scratch_load_b32 v108, v7, off
	ds_load_b32 v109, v1
	s_wait_loadcnt_dscnt 0x0
	v_mul_f32_e32 v108, v108, v109
	s_cbranch_execz .LBB51_70
	s_branch .LBB51_71
.LBB51_69:
                                        ; implicit-def: $vgpr108
.LBB51_70:
	ds_load_b32 v108, v1
.LBB51_71:
	s_and_saveexec_b32 s17, s0
	s_cbranch_execz .LBB51_75
; %bb.72:
	v_subrev_nc_u32_e32 v109, 44, v0
	s_movk_i32 s18, 0x180
	s_mov_b32 s0, 0
.LBB51_73:                              ; =>This Inner Loop Header: Depth=1
	scratch_load_b32 v110, off, s15
	v_dual_mov_b32 v111, s18 :: v_dual_add_nc_u32 v109, -1, v109
	s_add_co_i32 s18, s18, 4
	s_wait_xcnt 0x0
	s_add_co_i32 s15, s15, 4
	ds_load_b32 v111, v111
	v_cmp_eq_u32_e32 vcc_lo, 0, v109
	s_or_b32 s0, vcc_lo, s0
	s_wait_loadcnt_dscnt 0x0
	v_fmac_f32_e32 v108, v110, v111
	s_and_not1_b32 exec_lo, exec_lo, s0
	s_cbranch_execnz .LBB51_73
; %bb.74:
	s_or_b32 exec_lo, exec_lo, s0
.LBB51_75:
	s_delay_alu instid0(SALU_CYCLE_1)
	s_or_b32 exec_lo, exec_lo, s17
	v_mov_b32_e32 v109, 0
	ds_load_b32 v109, v109 offset:172
	s_wait_dscnt 0x0
	v_mul_f32_e32 v108, v108, v109
	scratch_store_b32 off, v108, off offset:172
.LBB51_76:
	s_wait_xcnt 0x0
	s_or_b32 exec_lo, exec_lo, s16
	scratch_load_b32 v108, off, off offset:168
	v_cmp_lt_u32_e64 s0, 42, v0
	s_wait_loadcnt 0x0
	ds_store_b32 v1, v108
	s_wait_storecnt_dscnt 0x0
	s_barrier_signal -1
	s_barrier_wait -1
	s_wait_xcnt 0x0
	s_and_saveexec_b32 s15, s0
	s_cbranch_execz .LBB51_86
; %bb.77:
	s_and_not1_b32 vcc_lo, exec_lo, s3
	s_cbranch_vccnz .LBB51_79
; %bb.78:
	scratch_load_b32 v108, v7, off
	ds_load_b32 v109, v1
	s_wait_loadcnt_dscnt 0x0
	v_mul_f32_e32 v108, v108, v109
	s_cbranch_execz .LBB51_80
	s_branch .LBB51_81
.LBB51_79:
                                        ; implicit-def: $vgpr108
.LBB51_80:
	ds_load_b32 v108, v1
.LBB51_81:
	s_and_saveexec_b32 s16, s1
	s_cbranch_execz .LBB51_85
; %bb.82:
	v_subrev_nc_u32_e32 v109, 43, v0
	s_movk_i32 s1, 0xac
	s_movk_i32 s18, 0x17c
	s_mov_b32 s17, 0
.LBB51_83:                              ; =>This Inner Loop Header: Depth=1
	scratch_load_b32 v110, off, s1
	v_dual_mov_b32 v111, s18 :: v_dual_add_nc_u32 v109, -1, v109
	s_add_co_i32 s18, s18, 4
	s_wait_xcnt 0x0
	s_add_co_i32 s1, s1, 4
	ds_load_b32 v111, v111
	v_cmp_eq_u32_e32 vcc_lo, 0, v109
	s_or_b32 s17, vcc_lo, s17
	s_wait_loadcnt_dscnt 0x0
	v_fmac_f32_e32 v108, v110, v111
	s_and_not1_b32 exec_lo, exec_lo, s17
	s_cbranch_execnz .LBB51_83
; %bb.84:
	s_or_b32 exec_lo, exec_lo, s17
.LBB51_85:
	s_delay_alu instid0(SALU_CYCLE_1)
	s_or_b32 exec_lo, exec_lo, s16
	v_mov_b32_e32 v109, 0
	ds_load_b32 v109, v109 offset:168
	s_wait_dscnt 0x0
	v_mul_f32_e32 v108, v108, v109
	scratch_store_b32 off, v108, off offset:168
.LBB51_86:
	s_wait_xcnt 0x0
	s_or_b32 exec_lo, exec_lo, s15
	scratch_load_b32 v108, off, off offset:164
	v_cmp_lt_u32_e64 s1, 41, v0
	s_wait_loadcnt 0x0
	ds_store_b32 v1, v108
	s_wait_storecnt_dscnt 0x0
	s_barrier_signal -1
	s_barrier_wait -1
	s_wait_xcnt 0x0
	s_and_saveexec_b32 s15, s1
	s_cbranch_execz .LBB51_96
; %bb.87:
	s_and_not1_b32 vcc_lo, exec_lo, s3
	s_cbranch_vccnz .LBB51_89
; %bb.88:
	scratch_load_b32 v108, v7, off
	ds_load_b32 v109, v1
	s_wait_loadcnt_dscnt 0x0
	v_mul_f32_e32 v108, v108, v109
	s_cbranch_execz .LBB51_90
	s_branch .LBB51_91
.LBB51_89:
                                        ; implicit-def: $vgpr108
.LBB51_90:
	ds_load_b32 v108, v1
.LBB51_91:
	s_and_saveexec_b32 s16, s0
	s_cbranch_execz .LBB51_95
; %bb.92:
	v_subrev_nc_u32_e32 v109, 42, v0
	s_movk_i32 s0, 0xa8
	s_movk_i32 s18, 0x178
	s_mov_b32 s17, 0
.LBB51_93:                              ; =>This Inner Loop Header: Depth=1
	scratch_load_b32 v110, off, s0
	v_dual_mov_b32 v111, s18 :: v_dual_add_nc_u32 v109, -1, v109
	s_add_co_i32 s18, s18, 4
	s_wait_xcnt 0x0
	s_add_co_i32 s0, s0, 4
	ds_load_b32 v111, v111
	v_cmp_eq_u32_e32 vcc_lo, 0, v109
	s_or_b32 s17, vcc_lo, s17
	s_wait_loadcnt_dscnt 0x0
	v_fmac_f32_e32 v108, v110, v111
	s_and_not1_b32 exec_lo, exec_lo, s17
	s_cbranch_execnz .LBB51_93
; %bb.94:
	s_or_b32 exec_lo, exec_lo, s17
.LBB51_95:
	s_delay_alu instid0(SALU_CYCLE_1)
	s_or_b32 exec_lo, exec_lo, s16
	v_mov_b32_e32 v109, 0
	ds_load_b32 v109, v109 offset:164
	s_wait_dscnt 0x0
	v_mul_f32_e32 v108, v108, v109
	scratch_store_b32 off, v108, off offset:164
.LBB51_96:
	s_wait_xcnt 0x0
	s_or_b32 exec_lo, exec_lo, s15
	scratch_load_b32 v108, off, off offset:160
	v_cmp_lt_u32_e64 s0, 40, v0
	s_wait_loadcnt 0x0
	ds_store_b32 v1, v108
	s_wait_storecnt_dscnt 0x0
	s_barrier_signal -1
	s_barrier_wait -1
	s_wait_xcnt 0x0
	s_and_saveexec_b32 s15, s0
	s_cbranch_execz .LBB51_106
; %bb.97:
	s_and_not1_b32 vcc_lo, exec_lo, s3
	s_cbranch_vccnz .LBB51_99
; %bb.98:
	scratch_load_b32 v108, v7, off
	ds_load_b32 v109, v1
	s_wait_loadcnt_dscnt 0x0
	v_mul_f32_e32 v108, v108, v109
	s_cbranch_execz .LBB51_100
	s_branch .LBB51_101
.LBB51_99:
                                        ; implicit-def: $vgpr108
.LBB51_100:
	ds_load_b32 v108, v1
.LBB51_101:
	s_and_saveexec_b32 s16, s1
	s_cbranch_execz .LBB51_105
; %bb.102:
	v_subrev_nc_u32_e32 v109, 41, v0
	s_movk_i32 s1, 0xa4
	s_movk_i32 s18, 0x174
	s_mov_b32 s17, 0
.LBB51_103:                             ; =>This Inner Loop Header: Depth=1
	scratch_load_b32 v110, off, s1
	v_dual_mov_b32 v111, s18 :: v_dual_add_nc_u32 v109, -1, v109
	s_add_co_i32 s18, s18, 4
	s_wait_xcnt 0x0
	s_add_co_i32 s1, s1, 4
	ds_load_b32 v111, v111
	v_cmp_eq_u32_e32 vcc_lo, 0, v109
	s_or_b32 s17, vcc_lo, s17
	s_wait_loadcnt_dscnt 0x0
	v_fmac_f32_e32 v108, v110, v111
	s_and_not1_b32 exec_lo, exec_lo, s17
	s_cbranch_execnz .LBB51_103
; %bb.104:
	s_or_b32 exec_lo, exec_lo, s17
.LBB51_105:
	s_delay_alu instid0(SALU_CYCLE_1)
	s_or_b32 exec_lo, exec_lo, s16
	v_mov_b32_e32 v109, 0
	ds_load_b32 v109, v109 offset:160
	s_wait_dscnt 0x0
	v_mul_f32_e32 v108, v108, v109
	scratch_store_b32 off, v108, off offset:160
.LBB51_106:
	s_wait_xcnt 0x0
	s_or_b32 exec_lo, exec_lo, s15
	scratch_load_b32 v108, off, off offset:156
	v_cmp_lt_u32_e64 s1, 39, v0
	s_wait_loadcnt 0x0
	ds_store_b32 v1, v108
	s_wait_storecnt_dscnt 0x0
	s_barrier_signal -1
	s_barrier_wait -1
	s_wait_xcnt 0x0
	s_and_saveexec_b32 s15, s1
	s_cbranch_execz .LBB51_116
; %bb.107:
	s_and_not1_b32 vcc_lo, exec_lo, s3
	s_cbranch_vccnz .LBB51_109
; %bb.108:
	scratch_load_b32 v108, v7, off
	ds_load_b32 v109, v1
	s_wait_loadcnt_dscnt 0x0
	v_mul_f32_e32 v108, v108, v109
	s_cbranch_execz .LBB51_110
	s_branch .LBB51_111
.LBB51_109:
                                        ; implicit-def: $vgpr108
.LBB51_110:
	ds_load_b32 v108, v1
.LBB51_111:
	s_and_saveexec_b32 s16, s0
	s_cbranch_execz .LBB51_115
; %bb.112:
	v_subrev_nc_u32_e32 v109, 40, v0
	s_movk_i32 s17, 0x170
	s_mov_b32 s0, 0
.LBB51_113:                             ; =>This Inner Loop Header: Depth=1
	scratch_load_b32 v110, off, s14
	v_dual_mov_b32 v111, s17 :: v_dual_add_nc_u32 v109, -1, v109
	s_add_co_i32 s17, s17, 4
	s_wait_xcnt 0x0
	s_add_co_i32 s14, s14, 4
	ds_load_b32 v111, v111
	v_cmp_eq_u32_e32 vcc_lo, 0, v109
	s_or_b32 s0, vcc_lo, s0
	s_wait_loadcnt_dscnt 0x0
	v_fmac_f32_e32 v108, v110, v111
	s_and_not1_b32 exec_lo, exec_lo, s0
	s_cbranch_execnz .LBB51_113
; %bb.114:
	s_or_b32 exec_lo, exec_lo, s0
.LBB51_115:
	s_delay_alu instid0(SALU_CYCLE_1)
	s_or_b32 exec_lo, exec_lo, s16
	v_mov_b32_e32 v109, 0
	ds_load_b32 v109, v109 offset:156
	s_wait_dscnt 0x0
	v_mul_f32_e32 v108, v108, v109
	scratch_store_b32 off, v108, off offset:156
.LBB51_116:
	s_wait_xcnt 0x0
	s_or_b32 exec_lo, exec_lo, s15
	scratch_load_b32 v108, off, off offset:152
	v_cmp_lt_u32_e64 s0, 38, v0
	s_wait_loadcnt 0x0
	ds_store_b32 v1, v108
	s_wait_storecnt_dscnt 0x0
	s_barrier_signal -1
	s_barrier_wait -1
	s_wait_xcnt 0x0
	s_and_saveexec_b32 s14, s0
	s_cbranch_execz .LBB51_126
; %bb.117:
	s_and_not1_b32 vcc_lo, exec_lo, s3
	s_cbranch_vccnz .LBB51_119
; %bb.118:
	scratch_load_b32 v108, v7, off
	ds_load_b32 v109, v1
	s_wait_loadcnt_dscnt 0x0
	v_mul_f32_e32 v108, v108, v109
	s_cbranch_execz .LBB51_120
	s_branch .LBB51_121
.LBB51_119:
                                        ; implicit-def: $vgpr108
.LBB51_120:
	ds_load_b32 v108, v1
.LBB51_121:
	s_and_saveexec_b32 s15, s1
	s_cbranch_execz .LBB51_125
; %bb.122:
	v_subrev_nc_u32_e32 v109, 39, v0
	s_movk_i32 s1, 0x9c
	s_movk_i32 s17, 0x16c
	s_mov_b32 s16, 0
.LBB51_123:                             ; =>This Inner Loop Header: Depth=1
	scratch_load_b32 v110, off, s1
	v_dual_mov_b32 v111, s17 :: v_dual_add_nc_u32 v109, -1, v109
	s_add_co_i32 s17, s17, 4
	s_wait_xcnt 0x0
	s_add_co_i32 s1, s1, 4
	ds_load_b32 v111, v111
	v_cmp_eq_u32_e32 vcc_lo, 0, v109
	s_or_b32 s16, vcc_lo, s16
	s_wait_loadcnt_dscnt 0x0
	v_fmac_f32_e32 v108, v110, v111
	s_and_not1_b32 exec_lo, exec_lo, s16
	s_cbranch_execnz .LBB51_123
; %bb.124:
	s_or_b32 exec_lo, exec_lo, s16
.LBB51_125:
	s_delay_alu instid0(SALU_CYCLE_1)
	s_or_b32 exec_lo, exec_lo, s15
	v_mov_b32_e32 v109, 0
	ds_load_b32 v109, v109 offset:152
	s_wait_dscnt 0x0
	v_mul_f32_e32 v108, v108, v109
	scratch_store_b32 off, v108, off offset:152
.LBB51_126:
	s_wait_xcnt 0x0
	s_or_b32 exec_lo, exec_lo, s14
	scratch_load_b32 v108, off, off offset:148
	v_cmp_lt_u32_e64 s1, 37, v0
	s_wait_loadcnt 0x0
	ds_store_b32 v1, v108
	s_wait_storecnt_dscnt 0x0
	s_barrier_signal -1
	s_barrier_wait -1
	s_wait_xcnt 0x0
	s_and_saveexec_b32 s14, s1
	s_cbranch_execz .LBB51_136
; %bb.127:
	s_and_not1_b32 vcc_lo, exec_lo, s3
	s_cbranch_vccnz .LBB51_129
; %bb.128:
	scratch_load_b32 v108, v7, off
	ds_load_b32 v109, v1
	s_wait_loadcnt_dscnt 0x0
	v_mul_f32_e32 v108, v108, v109
	s_cbranch_execz .LBB51_130
	s_branch .LBB51_131
.LBB51_129:
                                        ; implicit-def: $vgpr108
.LBB51_130:
	ds_load_b32 v108, v1
.LBB51_131:
	s_and_saveexec_b32 s15, s0
	s_cbranch_execz .LBB51_135
; %bb.132:
	v_subrev_nc_u32_e32 v109, 38, v0
	s_movk_i32 s0, 0x98
	s_movk_i32 s17, 0x168
	s_mov_b32 s16, 0
.LBB51_133:                             ; =>This Inner Loop Header: Depth=1
	scratch_load_b32 v110, off, s0
	v_dual_mov_b32 v111, s17 :: v_dual_add_nc_u32 v109, -1, v109
	s_add_co_i32 s17, s17, 4
	s_wait_xcnt 0x0
	s_add_co_i32 s0, s0, 4
	ds_load_b32 v111, v111
	v_cmp_eq_u32_e32 vcc_lo, 0, v109
	s_or_b32 s16, vcc_lo, s16
	s_wait_loadcnt_dscnt 0x0
	v_fmac_f32_e32 v108, v110, v111
	s_and_not1_b32 exec_lo, exec_lo, s16
	s_cbranch_execnz .LBB51_133
; %bb.134:
	s_or_b32 exec_lo, exec_lo, s16
.LBB51_135:
	s_delay_alu instid0(SALU_CYCLE_1)
	s_or_b32 exec_lo, exec_lo, s15
	v_mov_b32_e32 v109, 0
	ds_load_b32 v109, v109 offset:148
	s_wait_dscnt 0x0
	v_mul_f32_e32 v108, v108, v109
	scratch_store_b32 off, v108, off offset:148
.LBB51_136:
	;; [unrolled: 58-line block ×3, first 2 shown]
	s_wait_xcnt 0x0
	s_or_b32 exec_lo, exec_lo, s14
	scratch_load_b32 v108, off, off offset:140
	v_cmp_lt_u32_e64 s1, 35, v0
	s_wait_loadcnt 0x0
	ds_store_b32 v1, v108
	s_wait_storecnt_dscnt 0x0
	s_barrier_signal -1
	s_barrier_wait -1
	s_wait_xcnt 0x0
	s_and_saveexec_b32 s14, s1
	s_cbranch_execz .LBB51_156
; %bb.147:
	s_and_not1_b32 vcc_lo, exec_lo, s3
	s_cbranch_vccnz .LBB51_149
; %bb.148:
	scratch_load_b32 v108, v7, off
	ds_load_b32 v109, v1
	s_wait_loadcnt_dscnt 0x0
	v_mul_f32_e32 v108, v108, v109
	s_cbranch_execz .LBB51_150
	s_branch .LBB51_151
.LBB51_149:
                                        ; implicit-def: $vgpr108
.LBB51_150:
	ds_load_b32 v108, v1
.LBB51_151:
	s_and_saveexec_b32 s15, s0
	s_cbranch_execz .LBB51_155
; %bb.152:
	v_subrev_nc_u32_e32 v109, 36, v0
	s_movk_i32 s16, 0x160
	s_mov_b32 s0, 0
.LBB51_153:                             ; =>This Inner Loop Header: Depth=1
	scratch_load_b32 v110, off, s13
	v_dual_mov_b32 v111, s16 :: v_dual_add_nc_u32 v109, -1, v109
	s_add_co_i32 s16, s16, 4
	s_wait_xcnt 0x0
	s_add_co_i32 s13, s13, 4
	ds_load_b32 v111, v111
	v_cmp_eq_u32_e32 vcc_lo, 0, v109
	s_or_b32 s0, vcc_lo, s0
	s_wait_loadcnt_dscnt 0x0
	v_fmac_f32_e32 v108, v110, v111
	s_and_not1_b32 exec_lo, exec_lo, s0
	s_cbranch_execnz .LBB51_153
; %bb.154:
	s_or_b32 exec_lo, exec_lo, s0
.LBB51_155:
	s_delay_alu instid0(SALU_CYCLE_1)
	s_or_b32 exec_lo, exec_lo, s15
	v_mov_b32_e32 v109, 0
	ds_load_b32 v109, v109 offset:140
	s_wait_dscnt 0x0
	v_mul_f32_e32 v108, v108, v109
	scratch_store_b32 off, v108, off offset:140
.LBB51_156:
	s_wait_xcnt 0x0
	s_or_b32 exec_lo, exec_lo, s14
	scratch_load_b32 v108, off, off offset:136
	v_cmp_lt_u32_e64 s0, 34, v0
	s_wait_loadcnt 0x0
	ds_store_b32 v1, v108
	s_wait_storecnt_dscnt 0x0
	s_barrier_signal -1
	s_barrier_wait -1
	s_wait_xcnt 0x0
	s_and_saveexec_b32 s13, s0
	s_cbranch_execz .LBB51_166
; %bb.157:
	s_and_not1_b32 vcc_lo, exec_lo, s3
	s_cbranch_vccnz .LBB51_159
; %bb.158:
	scratch_load_b32 v108, v7, off
	ds_load_b32 v109, v1
	s_wait_loadcnt_dscnt 0x0
	v_mul_f32_e32 v108, v108, v109
	s_cbranch_execz .LBB51_160
	s_branch .LBB51_161
.LBB51_159:
                                        ; implicit-def: $vgpr108
.LBB51_160:
	ds_load_b32 v108, v1
.LBB51_161:
	s_and_saveexec_b32 s14, s1
	s_cbranch_execz .LBB51_165
; %bb.162:
	v_subrev_nc_u32_e32 v109, 35, v0
	s_movk_i32 s1, 0x8c
	s_movk_i32 s16, 0x15c
	s_mov_b32 s15, 0
.LBB51_163:                             ; =>This Inner Loop Header: Depth=1
	scratch_load_b32 v110, off, s1
	v_dual_mov_b32 v111, s16 :: v_dual_add_nc_u32 v109, -1, v109
	s_add_co_i32 s16, s16, 4
	s_wait_xcnt 0x0
	s_add_co_i32 s1, s1, 4
	ds_load_b32 v111, v111
	v_cmp_eq_u32_e32 vcc_lo, 0, v109
	s_or_b32 s15, vcc_lo, s15
	s_wait_loadcnt_dscnt 0x0
	v_fmac_f32_e32 v108, v110, v111
	s_and_not1_b32 exec_lo, exec_lo, s15
	s_cbranch_execnz .LBB51_163
; %bb.164:
	s_or_b32 exec_lo, exec_lo, s15
.LBB51_165:
	s_delay_alu instid0(SALU_CYCLE_1)
	s_or_b32 exec_lo, exec_lo, s14
	v_mov_b32_e32 v109, 0
	ds_load_b32 v109, v109 offset:136
	s_wait_dscnt 0x0
	v_mul_f32_e32 v108, v108, v109
	scratch_store_b32 off, v108, off offset:136
.LBB51_166:
	s_wait_xcnt 0x0
	s_or_b32 exec_lo, exec_lo, s13
	scratch_load_b32 v108, off, off offset:132
	v_cmp_lt_u32_e64 s1, 33, v0
	s_wait_loadcnt 0x0
	ds_store_b32 v1, v108
	s_wait_storecnt_dscnt 0x0
	s_barrier_signal -1
	s_barrier_wait -1
	s_wait_xcnt 0x0
	s_and_saveexec_b32 s13, s1
	s_cbranch_execz .LBB51_176
; %bb.167:
	s_and_not1_b32 vcc_lo, exec_lo, s3
	s_cbranch_vccnz .LBB51_169
; %bb.168:
	scratch_load_b32 v108, v7, off
	ds_load_b32 v109, v1
	s_wait_loadcnt_dscnt 0x0
	v_mul_f32_e32 v108, v108, v109
	s_cbranch_execz .LBB51_170
	s_branch .LBB51_171
.LBB51_169:
                                        ; implicit-def: $vgpr108
.LBB51_170:
	ds_load_b32 v108, v1
.LBB51_171:
	s_and_saveexec_b32 s14, s0
	s_cbranch_execz .LBB51_175
; %bb.172:
	v_subrev_nc_u32_e32 v109, 34, v0
	s_movk_i32 s0, 0x88
	s_movk_i32 s16, 0x158
	s_mov_b32 s15, 0
.LBB51_173:                             ; =>This Inner Loop Header: Depth=1
	scratch_load_b32 v110, off, s0
	v_dual_mov_b32 v111, s16 :: v_dual_add_nc_u32 v109, -1, v109
	s_add_co_i32 s16, s16, 4
	s_wait_xcnt 0x0
	s_add_co_i32 s0, s0, 4
	ds_load_b32 v111, v111
	v_cmp_eq_u32_e32 vcc_lo, 0, v109
	s_or_b32 s15, vcc_lo, s15
	s_wait_loadcnt_dscnt 0x0
	v_fmac_f32_e32 v108, v110, v111
	s_and_not1_b32 exec_lo, exec_lo, s15
	s_cbranch_execnz .LBB51_173
; %bb.174:
	s_or_b32 exec_lo, exec_lo, s15
.LBB51_175:
	s_delay_alu instid0(SALU_CYCLE_1)
	s_or_b32 exec_lo, exec_lo, s14
	v_mov_b32_e32 v109, 0
	ds_load_b32 v109, v109 offset:132
	s_wait_dscnt 0x0
	v_mul_f32_e32 v108, v108, v109
	scratch_store_b32 off, v108, off offset:132
.LBB51_176:
	;; [unrolled: 58-line block ×3, first 2 shown]
	s_wait_xcnt 0x0
	s_or_b32 exec_lo, exec_lo, s13
	scratch_load_b32 v108, off, off offset:124
	v_cmp_lt_u32_e64 s1, 31, v0
	s_wait_loadcnt 0x0
	ds_store_b32 v1, v108
	s_wait_storecnt_dscnt 0x0
	s_barrier_signal -1
	s_barrier_wait -1
	s_wait_xcnt 0x0
	s_and_saveexec_b32 s13, s1
	s_cbranch_execz .LBB51_196
; %bb.187:
	s_and_not1_b32 vcc_lo, exec_lo, s3
	s_cbranch_vccnz .LBB51_189
; %bb.188:
	scratch_load_b32 v108, v7, off
	ds_load_b32 v109, v1
	s_wait_loadcnt_dscnt 0x0
	v_mul_f32_e32 v108, v108, v109
	s_cbranch_execz .LBB51_190
	s_branch .LBB51_191
.LBB51_189:
                                        ; implicit-def: $vgpr108
.LBB51_190:
	ds_load_b32 v108, v1
.LBB51_191:
	s_and_saveexec_b32 s14, s0
	s_cbranch_execz .LBB51_195
; %bb.192:
	v_subrev_nc_u32_e32 v109, 32, v0
	s_movk_i32 s15, 0x150
	s_mov_b32 s0, 0
.LBB51_193:                             ; =>This Inner Loop Header: Depth=1
	scratch_load_b32 v110, off, s12
	v_dual_mov_b32 v111, s15 :: v_dual_add_nc_u32 v109, -1, v109
	s_add_co_i32 s15, s15, 4
	s_wait_xcnt 0x0
	s_add_co_i32 s12, s12, 4
	ds_load_b32 v111, v111
	v_cmp_eq_u32_e32 vcc_lo, 0, v109
	s_or_b32 s0, vcc_lo, s0
	s_wait_loadcnt_dscnt 0x0
	v_fmac_f32_e32 v108, v110, v111
	s_and_not1_b32 exec_lo, exec_lo, s0
	s_cbranch_execnz .LBB51_193
; %bb.194:
	s_or_b32 exec_lo, exec_lo, s0
.LBB51_195:
	s_delay_alu instid0(SALU_CYCLE_1)
	s_or_b32 exec_lo, exec_lo, s14
	v_mov_b32_e32 v109, 0
	ds_load_b32 v109, v109 offset:124
	s_wait_dscnt 0x0
	v_mul_f32_e32 v108, v108, v109
	scratch_store_b32 off, v108, off offset:124
.LBB51_196:
	s_wait_xcnt 0x0
	s_or_b32 exec_lo, exec_lo, s13
	scratch_load_b32 v108, off, off offset:120
	v_cmp_lt_u32_e64 s0, 30, v0
	s_wait_loadcnt 0x0
	ds_store_b32 v1, v108
	s_wait_storecnt_dscnt 0x0
	s_barrier_signal -1
	s_barrier_wait -1
	s_wait_xcnt 0x0
	s_and_saveexec_b32 s12, s0
	s_cbranch_execz .LBB51_206
; %bb.197:
	s_and_not1_b32 vcc_lo, exec_lo, s3
	s_cbranch_vccnz .LBB51_199
; %bb.198:
	scratch_load_b32 v108, v7, off
	ds_load_b32 v109, v1
	s_wait_loadcnt_dscnt 0x0
	v_mul_f32_e32 v108, v108, v109
	s_cbranch_execz .LBB51_200
	s_branch .LBB51_201
.LBB51_199:
                                        ; implicit-def: $vgpr108
.LBB51_200:
	ds_load_b32 v108, v1
.LBB51_201:
	s_and_saveexec_b32 s13, s1
	s_cbranch_execz .LBB51_205
; %bb.202:
	v_subrev_nc_u32_e32 v109, 31, v0
	s_movk_i32 s1, 0x7c
	s_movk_i32 s15, 0x14c
	s_mov_b32 s14, 0
.LBB51_203:                             ; =>This Inner Loop Header: Depth=1
	scratch_load_b32 v110, off, s1
	v_dual_mov_b32 v111, s15 :: v_dual_add_nc_u32 v109, -1, v109
	s_add_co_i32 s15, s15, 4
	s_wait_xcnt 0x0
	s_add_co_i32 s1, s1, 4
	ds_load_b32 v111, v111
	v_cmp_eq_u32_e32 vcc_lo, 0, v109
	s_or_b32 s14, vcc_lo, s14
	s_wait_loadcnt_dscnt 0x0
	v_fmac_f32_e32 v108, v110, v111
	s_and_not1_b32 exec_lo, exec_lo, s14
	s_cbranch_execnz .LBB51_203
; %bb.204:
	s_or_b32 exec_lo, exec_lo, s14
.LBB51_205:
	s_delay_alu instid0(SALU_CYCLE_1)
	s_or_b32 exec_lo, exec_lo, s13
	v_mov_b32_e32 v109, 0
	ds_load_b32 v109, v109 offset:120
	s_wait_dscnt 0x0
	v_mul_f32_e32 v108, v108, v109
	scratch_store_b32 off, v108, off offset:120
.LBB51_206:
	s_wait_xcnt 0x0
	s_or_b32 exec_lo, exec_lo, s12
	scratch_load_b32 v108, off, off offset:116
	v_cmp_lt_u32_e64 s1, 29, v0
	s_wait_loadcnt 0x0
	ds_store_b32 v1, v108
	s_wait_storecnt_dscnt 0x0
	s_barrier_signal -1
	s_barrier_wait -1
	s_wait_xcnt 0x0
	s_and_saveexec_b32 s12, s1
	s_cbranch_execz .LBB51_216
; %bb.207:
	s_and_not1_b32 vcc_lo, exec_lo, s3
	s_cbranch_vccnz .LBB51_209
; %bb.208:
	scratch_load_b32 v108, v7, off
	ds_load_b32 v109, v1
	s_wait_loadcnt_dscnt 0x0
	v_mul_f32_e32 v108, v108, v109
	s_cbranch_execz .LBB51_210
	s_branch .LBB51_211
.LBB51_209:
                                        ; implicit-def: $vgpr108
.LBB51_210:
	ds_load_b32 v108, v1
.LBB51_211:
	s_and_saveexec_b32 s13, s0
	s_cbranch_execz .LBB51_215
; %bb.212:
	v_subrev_nc_u32_e32 v109, 30, v0
	s_movk_i32 s0, 0x78
	s_movk_i32 s15, 0x148
	s_mov_b32 s14, 0
.LBB51_213:                             ; =>This Inner Loop Header: Depth=1
	scratch_load_b32 v110, off, s0
	v_dual_mov_b32 v111, s15 :: v_dual_add_nc_u32 v109, -1, v109
	s_add_co_i32 s15, s15, 4
	s_wait_xcnt 0x0
	s_add_co_i32 s0, s0, 4
	ds_load_b32 v111, v111
	v_cmp_eq_u32_e32 vcc_lo, 0, v109
	s_or_b32 s14, vcc_lo, s14
	s_wait_loadcnt_dscnt 0x0
	v_fmac_f32_e32 v108, v110, v111
	s_and_not1_b32 exec_lo, exec_lo, s14
	s_cbranch_execnz .LBB51_213
; %bb.214:
	s_or_b32 exec_lo, exec_lo, s14
.LBB51_215:
	s_delay_alu instid0(SALU_CYCLE_1)
	s_or_b32 exec_lo, exec_lo, s13
	v_mov_b32_e32 v109, 0
	ds_load_b32 v109, v109 offset:116
	s_wait_dscnt 0x0
	v_mul_f32_e32 v108, v108, v109
	scratch_store_b32 off, v108, off offset:116
.LBB51_216:
	;; [unrolled: 58-line block ×3, first 2 shown]
	s_wait_xcnt 0x0
	s_or_b32 exec_lo, exec_lo, s12
	scratch_load_b32 v108, off, off offset:108
	v_cmp_lt_u32_e64 s1, 27, v0
	s_wait_loadcnt 0x0
	ds_store_b32 v1, v108
	s_wait_storecnt_dscnt 0x0
	s_barrier_signal -1
	s_barrier_wait -1
	s_wait_xcnt 0x0
	s_and_saveexec_b32 s12, s1
	s_cbranch_execz .LBB51_236
; %bb.227:
	s_and_not1_b32 vcc_lo, exec_lo, s3
	s_cbranch_vccnz .LBB51_229
; %bb.228:
	scratch_load_b32 v108, v7, off
	ds_load_b32 v109, v1
	s_wait_loadcnt_dscnt 0x0
	v_mul_f32_e32 v108, v108, v109
	s_cbranch_execz .LBB51_230
	s_branch .LBB51_231
.LBB51_229:
                                        ; implicit-def: $vgpr108
.LBB51_230:
	ds_load_b32 v108, v1
.LBB51_231:
	s_and_saveexec_b32 s13, s0
	s_cbranch_execz .LBB51_235
; %bb.232:
	v_subrev_nc_u32_e32 v109, 28, v0
	s_movk_i32 s14, 0x140
	s_mov_b32 s0, 0
.LBB51_233:                             ; =>This Inner Loop Header: Depth=1
	scratch_load_b32 v110, off, s11
	v_dual_mov_b32 v111, s14 :: v_dual_add_nc_u32 v109, -1, v109
	s_add_co_i32 s14, s14, 4
	s_wait_xcnt 0x0
	s_add_co_i32 s11, s11, 4
	ds_load_b32 v111, v111
	v_cmp_eq_u32_e32 vcc_lo, 0, v109
	s_or_b32 s0, vcc_lo, s0
	s_wait_loadcnt_dscnt 0x0
	v_fmac_f32_e32 v108, v110, v111
	s_and_not1_b32 exec_lo, exec_lo, s0
	s_cbranch_execnz .LBB51_233
; %bb.234:
	s_or_b32 exec_lo, exec_lo, s0
.LBB51_235:
	s_delay_alu instid0(SALU_CYCLE_1)
	s_or_b32 exec_lo, exec_lo, s13
	v_mov_b32_e32 v109, 0
	ds_load_b32 v109, v109 offset:108
	s_wait_dscnt 0x0
	v_mul_f32_e32 v108, v108, v109
	scratch_store_b32 off, v108, off offset:108
.LBB51_236:
	s_wait_xcnt 0x0
	s_or_b32 exec_lo, exec_lo, s12
	scratch_load_b32 v108, off, off offset:104
	v_cmp_lt_u32_e64 s0, 26, v0
	s_wait_loadcnt 0x0
	ds_store_b32 v1, v108
	s_wait_storecnt_dscnt 0x0
	s_barrier_signal -1
	s_barrier_wait -1
	s_wait_xcnt 0x0
	s_and_saveexec_b32 s11, s0
	s_cbranch_execz .LBB51_246
; %bb.237:
	s_and_not1_b32 vcc_lo, exec_lo, s3
	s_cbranch_vccnz .LBB51_239
; %bb.238:
	scratch_load_b32 v108, v7, off
	ds_load_b32 v109, v1
	s_wait_loadcnt_dscnt 0x0
	v_mul_f32_e32 v108, v108, v109
	s_cbranch_execz .LBB51_240
	s_branch .LBB51_241
.LBB51_239:
                                        ; implicit-def: $vgpr108
.LBB51_240:
	ds_load_b32 v108, v1
.LBB51_241:
	s_and_saveexec_b32 s12, s1
	s_cbranch_execz .LBB51_245
; %bb.242:
	v_subrev_nc_u32_e32 v109, 27, v0
	s_movk_i32 s1, 0x6c
	s_movk_i32 s14, 0x13c
	s_mov_b32 s13, 0
.LBB51_243:                             ; =>This Inner Loop Header: Depth=1
	scratch_load_b32 v110, off, s1
	v_dual_mov_b32 v111, s14 :: v_dual_add_nc_u32 v109, -1, v109
	s_add_co_i32 s14, s14, 4
	s_wait_xcnt 0x0
	s_add_co_i32 s1, s1, 4
	ds_load_b32 v111, v111
	v_cmp_eq_u32_e32 vcc_lo, 0, v109
	s_or_b32 s13, vcc_lo, s13
	s_wait_loadcnt_dscnt 0x0
	v_fmac_f32_e32 v108, v110, v111
	s_and_not1_b32 exec_lo, exec_lo, s13
	s_cbranch_execnz .LBB51_243
; %bb.244:
	s_or_b32 exec_lo, exec_lo, s13
.LBB51_245:
	s_delay_alu instid0(SALU_CYCLE_1)
	s_or_b32 exec_lo, exec_lo, s12
	v_mov_b32_e32 v109, 0
	ds_load_b32 v109, v109 offset:104
	s_wait_dscnt 0x0
	v_mul_f32_e32 v108, v108, v109
	scratch_store_b32 off, v108, off offset:104
.LBB51_246:
	s_wait_xcnt 0x0
	s_or_b32 exec_lo, exec_lo, s11
	scratch_load_b32 v108, off, off offset:100
	v_cmp_lt_u32_e64 s1, 25, v0
	s_wait_loadcnt 0x0
	ds_store_b32 v1, v108
	s_wait_storecnt_dscnt 0x0
	s_barrier_signal -1
	s_barrier_wait -1
	s_wait_xcnt 0x0
	s_and_saveexec_b32 s11, s1
	s_cbranch_execz .LBB51_256
; %bb.247:
	s_and_not1_b32 vcc_lo, exec_lo, s3
	s_cbranch_vccnz .LBB51_249
; %bb.248:
	scratch_load_b32 v108, v7, off
	ds_load_b32 v109, v1
	s_wait_loadcnt_dscnt 0x0
	v_mul_f32_e32 v108, v108, v109
	s_cbranch_execz .LBB51_250
	s_branch .LBB51_251
.LBB51_249:
                                        ; implicit-def: $vgpr108
.LBB51_250:
	ds_load_b32 v108, v1
.LBB51_251:
	s_and_saveexec_b32 s12, s0
	s_cbranch_execz .LBB51_255
; %bb.252:
	v_subrev_nc_u32_e32 v109, 26, v0
	s_movk_i32 s0, 0x68
	s_movk_i32 s14, 0x138
	s_mov_b32 s13, 0
.LBB51_253:                             ; =>This Inner Loop Header: Depth=1
	scratch_load_b32 v110, off, s0
	v_dual_mov_b32 v111, s14 :: v_dual_add_nc_u32 v109, -1, v109
	s_add_co_i32 s14, s14, 4
	s_wait_xcnt 0x0
	s_add_co_i32 s0, s0, 4
	ds_load_b32 v111, v111
	v_cmp_eq_u32_e32 vcc_lo, 0, v109
	s_or_b32 s13, vcc_lo, s13
	s_wait_loadcnt_dscnt 0x0
	v_fmac_f32_e32 v108, v110, v111
	s_and_not1_b32 exec_lo, exec_lo, s13
	s_cbranch_execnz .LBB51_253
; %bb.254:
	s_or_b32 exec_lo, exec_lo, s13
.LBB51_255:
	s_delay_alu instid0(SALU_CYCLE_1)
	s_or_b32 exec_lo, exec_lo, s12
	v_mov_b32_e32 v109, 0
	ds_load_b32 v109, v109 offset:100
	s_wait_dscnt 0x0
	v_mul_f32_e32 v108, v108, v109
	scratch_store_b32 off, v108, off offset:100
.LBB51_256:
	;; [unrolled: 58-line block ×3, first 2 shown]
	s_wait_xcnt 0x0
	s_or_b32 exec_lo, exec_lo, s11
	scratch_load_b32 v108, off, off offset:92
	v_cmp_lt_u32_e64 s1, 23, v0
	s_wait_loadcnt 0x0
	ds_store_b32 v1, v108
	s_wait_storecnt_dscnt 0x0
	s_barrier_signal -1
	s_barrier_wait -1
	s_wait_xcnt 0x0
	s_and_saveexec_b32 s11, s1
	s_cbranch_execz .LBB51_276
; %bb.267:
	s_and_not1_b32 vcc_lo, exec_lo, s3
	s_cbranch_vccnz .LBB51_269
; %bb.268:
	scratch_load_b32 v108, v7, off
	ds_load_b32 v109, v1
	s_wait_loadcnt_dscnt 0x0
	v_mul_f32_e32 v108, v108, v109
	s_cbranch_execz .LBB51_270
	s_branch .LBB51_271
.LBB51_269:
                                        ; implicit-def: $vgpr108
.LBB51_270:
	ds_load_b32 v108, v1
.LBB51_271:
	s_and_saveexec_b32 s12, s0
	s_cbranch_execz .LBB51_275
; %bb.272:
	v_subrev_nc_u32_e32 v109, 24, v0
	s_movk_i32 s13, 0x130
	s_mov_b32 s0, 0
.LBB51_273:                             ; =>This Inner Loop Header: Depth=1
	scratch_load_b32 v110, off, s10
	v_dual_mov_b32 v111, s13 :: v_dual_add_nc_u32 v109, -1, v109
	s_add_co_i32 s13, s13, 4
	s_wait_xcnt 0x0
	s_add_co_i32 s10, s10, 4
	ds_load_b32 v111, v111
	v_cmp_eq_u32_e32 vcc_lo, 0, v109
	s_or_b32 s0, vcc_lo, s0
	s_wait_loadcnt_dscnt 0x0
	v_fmac_f32_e32 v108, v110, v111
	s_and_not1_b32 exec_lo, exec_lo, s0
	s_cbranch_execnz .LBB51_273
; %bb.274:
	s_or_b32 exec_lo, exec_lo, s0
.LBB51_275:
	s_delay_alu instid0(SALU_CYCLE_1)
	s_or_b32 exec_lo, exec_lo, s12
	v_mov_b32_e32 v109, 0
	ds_load_b32 v109, v109 offset:92
	s_wait_dscnt 0x0
	v_mul_f32_e32 v108, v108, v109
	scratch_store_b32 off, v108, off offset:92
.LBB51_276:
	s_wait_xcnt 0x0
	s_or_b32 exec_lo, exec_lo, s11
	scratch_load_b32 v108, off, off offset:88
	v_cmp_lt_u32_e64 s0, 22, v0
	s_wait_loadcnt 0x0
	ds_store_b32 v1, v108
	s_wait_storecnt_dscnt 0x0
	s_barrier_signal -1
	s_barrier_wait -1
	s_wait_xcnt 0x0
	s_and_saveexec_b32 s10, s0
	s_cbranch_execz .LBB51_286
; %bb.277:
	s_and_not1_b32 vcc_lo, exec_lo, s3
	s_cbranch_vccnz .LBB51_279
; %bb.278:
	scratch_load_b32 v108, v7, off
	ds_load_b32 v109, v1
	s_wait_loadcnt_dscnt 0x0
	v_mul_f32_e32 v108, v108, v109
	s_cbranch_execz .LBB51_280
	s_branch .LBB51_281
.LBB51_279:
                                        ; implicit-def: $vgpr108
.LBB51_280:
	ds_load_b32 v108, v1
.LBB51_281:
	s_and_saveexec_b32 s11, s1
	s_cbranch_execz .LBB51_285
; %bb.282:
	v_subrev_nc_u32_e32 v109, 23, v0
	s_movk_i32 s1, 0x5c
	s_movk_i32 s13, 0x12c
	s_mov_b32 s12, 0
.LBB51_283:                             ; =>This Inner Loop Header: Depth=1
	scratch_load_b32 v110, off, s1
	v_dual_mov_b32 v111, s13 :: v_dual_add_nc_u32 v109, -1, v109
	s_add_co_i32 s13, s13, 4
	s_wait_xcnt 0x0
	s_add_co_i32 s1, s1, 4
	ds_load_b32 v111, v111
	v_cmp_eq_u32_e32 vcc_lo, 0, v109
	s_or_b32 s12, vcc_lo, s12
	s_wait_loadcnt_dscnt 0x0
	v_fmac_f32_e32 v108, v110, v111
	s_and_not1_b32 exec_lo, exec_lo, s12
	s_cbranch_execnz .LBB51_283
; %bb.284:
	s_or_b32 exec_lo, exec_lo, s12
.LBB51_285:
	s_delay_alu instid0(SALU_CYCLE_1)
	s_or_b32 exec_lo, exec_lo, s11
	v_mov_b32_e32 v109, 0
	ds_load_b32 v109, v109 offset:88
	s_wait_dscnt 0x0
	v_mul_f32_e32 v108, v108, v109
	scratch_store_b32 off, v108, off offset:88
.LBB51_286:
	s_wait_xcnt 0x0
	s_or_b32 exec_lo, exec_lo, s10
	scratch_load_b32 v108, off, off offset:84
	v_cmp_lt_u32_e64 s1, 21, v0
	s_wait_loadcnt 0x0
	ds_store_b32 v1, v108
	s_wait_storecnt_dscnt 0x0
	s_barrier_signal -1
	s_barrier_wait -1
	s_wait_xcnt 0x0
	s_and_saveexec_b32 s10, s1
	s_cbranch_execz .LBB51_296
; %bb.287:
	s_and_not1_b32 vcc_lo, exec_lo, s3
	s_cbranch_vccnz .LBB51_289
; %bb.288:
	scratch_load_b32 v108, v7, off
	ds_load_b32 v109, v1
	s_wait_loadcnt_dscnt 0x0
	v_mul_f32_e32 v108, v108, v109
	s_cbranch_execz .LBB51_290
	s_branch .LBB51_291
.LBB51_289:
                                        ; implicit-def: $vgpr108
.LBB51_290:
	ds_load_b32 v108, v1
.LBB51_291:
	s_and_saveexec_b32 s11, s0
	s_cbranch_execz .LBB51_295
; %bb.292:
	v_subrev_nc_u32_e32 v109, 22, v0
	s_movk_i32 s0, 0x58
	s_movk_i32 s13, 0x128
	s_mov_b32 s12, 0
.LBB51_293:                             ; =>This Inner Loop Header: Depth=1
	scratch_load_b32 v110, off, s0
	v_dual_mov_b32 v111, s13 :: v_dual_add_nc_u32 v109, -1, v109
	s_add_co_i32 s13, s13, 4
	s_wait_xcnt 0x0
	s_add_co_i32 s0, s0, 4
	ds_load_b32 v111, v111
	v_cmp_eq_u32_e32 vcc_lo, 0, v109
	s_or_b32 s12, vcc_lo, s12
	s_wait_loadcnt_dscnt 0x0
	v_fmac_f32_e32 v108, v110, v111
	s_and_not1_b32 exec_lo, exec_lo, s12
	s_cbranch_execnz .LBB51_293
; %bb.294:
	s_or_b32 exec_lo, exec_lo, s12
.LBB51_295:
	s_delay_alu instid0(SALU_CYCLE_1)
	s_or_b32 exec_lo, exec_lo, s11
	v_mov_b32_e32 v109, 0
	ds_load_b32 v109, v109 offset:84
	s_wait_dscnt 0x0
	v_mul_f32_e32 v108, v108, v109
	scratch_store_b32 off, v108, off offset:84
.LBB51_296:
	;; [unrolled: 58-line block ×3, first 2 shown]
	s_wait_xcnt 0x0
	s_or_b32 exec_lo, exec_lo, s10
	scratch_load_b32 v108, off, off offset:76
	v_cmp_lt_u32_e64 s1, 19, v0
	s_wait_loadcnt 0x0
	ds_store_b32 v1, v108
	s_wait_storecnt_dscnt 0x0
	s_barrier_signal -1
	s_barrier_wait -1
	s_wait_xcnt 0x0
	s_and_saveexec_b32 s10, s1
	s_cbranch_execz .LBB51_316
; %bb.307:
	s_and_not1_b32 vcc_lo, exec_lo, s3
	s_cbranch_vccnz .LBB51_309
; %bb.308:
	scratch_load_b32 v108, v7, off
	ds_load_b32 v109, v1
	s_wait_loadcnt_dscnt 0x0
	v_mul_f32_e32 v108, v108, v109
	s_cbranch_execz .LBB51_310
	s_branch .LBB51_311
.LBB51_309:
                                        ; implicit-def: $vgpr108
.LBB51_310:
	ds_load_b32 v108, v1
.LBB51_311:
	s_and_saveexec_b32 s11, s0
	s_cbranch_execz .LBB51_315
; %bb.312:
	v_subrev_nc_u32_e32 v109, 20, v0
	s_movk_i32 s12, 0x120
	s_mov_b32 s0, 0
.LBB51_313:                             ; =>This Inner Loop Header: Depth=1
	scratch_load_b32 v110, off, s9
	v_dual_mov_b32 v111, s12 :: v_dual_add_nc_u32 v109, -1, v109
	s_add_co_i32 s12, s12, 4
	s_wait_xcnt 0x0
	s_add_co_i32 s9, s9, 4
	ds_load_b32 v111, v111
	v_cmp_eq_u32_e32 vcc_lo, 0, v109
	s_or_b32 s0, vcc_lo, s0
	s_wait_loadcnt_dscnt 0x0
	v_fmac_f32_e32 v108, v110, v111
	s_and_not1_b32 exec_lo, exec_lo, s0
	s_cbranch_execnz .LBB51_313
; %bb.314:
	s_or_b32 exec_lo, exec_lo, s0
.LBB51_315:
	s_delay_alu instid0(SALU_CYCLE_1)
	s_or_b32 exec_lo, exec_lo, s11
	v_mov_b32_e32 v109, 0
	ds_load_b32 v109, v109 offset:76
	s_wait_dscnt 0x0
	v_mul_f32_e32 v108, v108, v109
	scratch_store_b32 off, v108, off offset:76
.LBB51_316:
	s_wait_xcnt 0x0
	s_or_b32 exec_lo, exec_lo, s10
	scratch_load_b32 v108, off, off offset:72
	v_cmp_lt_u32_e64 s0, 18, v0
	s_wait_loadcnt 0x0
	ds_store_b32 v1, v108
	s_wait_storecnt_dscnt 0x0
	s_barrier_signal -1
	s_barrier_wait -1
	s_wait_xcnt 0x0
	s_and_saveexec_b32 s9, s0
	s_cbranch_execz .LBB51_326
; %bb.317:
	s_and_not1_b32 vcc_lo, exec_lo, s3
	s_cbranch_vccnz .LBB51_319
; %bb.318:
	scratch_load_b32 v108, v7, off
	ds_load_b32 v109, v1
	s_wait_loadcnt_dscnt 0x0
	v_mul_f32_e32 v108, v108, v109
	s_cbranch_execz .LBB51_320
	s_branch .LBB51_321
.LBB51_319:
                                        ; implicit-def: $vgpr108
.LBB51_320:
	ds_load_b32 v108, v1
.LBB51_321:
	s_and_saveexec_b32 s10, s1
	s_cbranch_execz .LBB51_325
; %bb.322:
	v_subrev_nc_u32_e32 v109, 19, v0
	s_movk_i32 s1, 0x4c
	s_movk_i32 s12, 0x11c
	s_mov_b32 s11, 0
.LBB51_323:                             ; =>This Inner Loop Header: Depth=1
	scratch_load_b32 v110, off, s1
	v_dual_mov_b32 v111, s12 :: v_dual_add_nc_u32 v109, -1, v109
	s_add_co_i32 s12, s12, 4
	s_wait_xcnt 0x0
	s_add_co_i32 s1, s1, 4
	ds_load_b32 v111, v111
	v_cmp_eq_u32_e32 vcc_lo, 0, v109
	s_or_b32 s11, vcc_lo, s11
	s_wait_loadcnt_dscnt 0x0
	v_fmac_f32_e32 v108, v110, v111
	s_and_not1_b32 exec_lo, exec_lo, s11
	s_cbranch_execnz .LBB51_323
; %bb.324:
	s_or_b32 exec_lo, exec_lo, s11
.LBB51_325:
	s_delay_alu instid0(SALU_CYCLE_1)
	s_or_b32 exec_lo, exec_lo, s10
	v_mov_b32_e32 v109, 0
	ds_load_b32 v109, v109 offset:72
	s_wait_dscnt 0x0
	v_mul_f32_e32 v108, v108, v109
	scratch_store_b32 off, v108, off offset:72
.LBB51_326:
	s_wait_xcnt 0x0
	s_or_b32 exec_lo, exec_lo, s9
	scratch_load_b32 v108, off, off offset:68
	v_cmp_lt_u32_e64 s1, 17, v0
	s_wait_loadcnt 0x0
	ds_store_b32 v1, v108
	s_wait_storecnt_dscnt 0x0
	s_barrier_signal -1
	s_barrier_wait -1
	s_wait_xcnt 0x0
	s_and_saveexec_b32 s9, s1
	s_cbranch_execz .LBB51_336
; %bb.327:
	s_and_not1_b32 vcc_lo, exec_lo, s3
	s_cbranch_vccnz .LBB51_329
; %bb.328:
	scratch_load_b32 v108, v7, off
	ds_load_b32 v109, v1
	s_wait_loadcnt_dscnt 0x0
	v_mul_f32_e32 v108, v108, v109
	s_cbranch_execz .LBB51_330
	s_branch .LBB51_331
.LBB51_329:
                                        ; implicit-def: $vgpr108
.LBB51_330:
	ds_load_b32 v108, v1
.LBB51_331:
	s_and_saveexec_b32 s10, s0
	s_cbranch_execz .LBB51_335
; %bb.332:
	v_subrev_nc_u32_e32 v109, 18, v0
	s_movk_i32 s0, 0x48
	s_movk_i32 s12, 0x118
	s_mov_b32 s11, 0
.LBB51_333:                             ; =>This Inner Loop Header: Depth=1
	scratch_load_b32 v110, off, s0
	v_dual_mov_b32 v111, s12 :: v_dual_add_nc_u32 v109, -1, v109
	s_add_co_i32 s12, s12, 4
	s_wait_xcnt 0x0
	s_add_co_i32 s0, s0, 4
	ds_load_b32 v111, v111
	v_cmp_eq_u32_e32 vcc_lo, 0, v109
	s_or_b32 s11, vcc_lo, s11
	s_wait_loadcnt_dscnt 0x0
	v_fmac_f32_e32 v108, v110, v111
	s_and_not1_b32 exec_lo, exec_lo, s11
	s_cbranch_execnz .LBB51_333
; %bb.334:
	s_or_b32 exec_lo, exec_lo, s11
.LBB51_335:
	s_delay_alu instid0(SALU_CYCLE_1)
	s_or_b32 exec_lo, exec_lo, s10
	v_mov_b32_e32 v109, 0
	ds_load_b32 v109, v109 offset:68
	s_wait_dscnt 0x0
	v_mul_f32_e32 v108, v108, v109
	scratch_store_b32 off, v108, off offset:68
.LBB51_336:
	;; [unrolled: 58-line block ×3, first 2 shown]
	s_wait_xcnt 0x0
	s_or_b32 exec_lo, exec_lo, s9
	scratch_load_b32 v108, off, off offset:60
	v_cmp_lt_u32_e64 s1, 15, v0
	s_wait_loadcnt 0x0
	ds_store_b32 v1, v108
	s_wait_storecnt_dscnt 0x0
	s_barrier_signal -1
	s_barrier_wait -1
	s_wait_xcnt 0x0
	s_and_saveexec_b32 s9, s1
	s_cbranch_execz .LBB51_356
; %bb.347:
	s_and_not1_b32 vcc_lo, exec_lo, s3
	s_cbranch_vccnz .LBB51_349
; %bb.348:
	scratch_load_b32 v108, v7, off
	ds_load_b32 v109, v1
	s_wait_loadcnt_dscnt 0x0
	v_mul_f32_e32 v108, v108, v109
	s_cbranch_execz .LBB51_350
	s_branch .LBB51_351
.LBB51_349:
                                        ; implicit-def: $vgpr108
.LBB51_350:
	ds_load_b32 v108, v1
.LBB51_351:
	s_and_saveexec_b32 s10, s0
	s_cbranch_execz .LBB51_355
; %bb.352:
	v_add_nc_u32_e32 v109, -16, v0
	s_movk_i32 s11, 0x110
	s_mov_b32 s0, 0
.LBB51_353:                             ; =>This Inner Loop Header: Depth=1
	scratch_load_b32 v110, off, s8
	v_dual_mov_b32 v111, s11 :: v_dual_add_nc_u32 v109, -1, v109
	s_add_co_i32 s11, s11, 4
	s_wait_xcnt 0x0
	s_add_co_i32 s8, s8, 4
	ds_load_b32 v111, v111
	v_cmp_eq_u32_e32 vcc_lo, 0, v109
	s_or_b32 s0, vcc_lo, s0
	s_wait_loadcnt_dscnt 0x0
	v_fmac_f32_e32 v108, v110, v111
	s_and_not1_b32 exec_lo, exec_lo, s0
	s_cbranch_execnz .LBB51_353
; %bb.354:
	s_or_b32 exec_lo, exec_lo, s0
.LBB51_355:
	s_delay_alu instid0(SALU_CYCLE_1)
	s_or_b32 exec_lo, exec_lo, s10
	v_mov_b32_e32 v109, 0
	ds_load_b32 v109, v109 offset:60
	s_wait_dscnt 0x0
	v_mul_f32_e32 v108, v108, v109
	scratch_store_b32 off, v108, off offset:60
.LBB51_356:
	s_wait_xcnt 0x0
	s_or_b32 exec_lo, exec_lo, s9
	scratch_load_b32 v108, off, off offset:56
	v_cmp_lt_u32_e64 s0, 14, v0
	s_wait_loadcnt 0x0
	ds_store_b32 v1, v108
	s_wait_storecnt_dscnt 0x0
	s_barrier_signal -1
	s_barrier_wait -1
	s_wait_xcnt 0x0
	s_and_saveexec_b32 s8, s0
	s_cbranch_execz .LBB51_366
; %bb.357:
	s_and_not1_b32 vcc_lo, exec_lo, s3
	s_cbranch_vccnz .LBB51_359
; %bb.358:
	scratch_load_b32 v108, v7, off
	ds_load_b32 v109, v1
	s_wait_loadcnt_dscnt 0x0
	v_mul_f32_e32 v108, v108, v109
	s_cbranch_execz .LBB51_360
	s_branch .LBB51_361
.LBB51_359:
                                        ; implicit-def: $vgpr108
.LBB51_360:
	ds_load_b32 v108, v1
.LBB51_361:
	s_and_saveexec_b32 s9, s1
	s_cbranch_execz .LBB51_365
; %bb.362:
	v_add_nc_u32_e32 v109, -15, v0
	s_mov_b32 s1, 60
	s_movk_i32 s11, 0x10c
	s_mov_b32 s10, 0
.LBB51_363:                             ; =>This Inner Loop Header: Depth=1
	scratch_load_b32 v110, off, s1
	v_dual_mov_b32 v111, s11 :: v_dual_add_nc_u32 v109, -1, v109
	s_add_co_i32 s11, s11, 4
	s_wait_xcnt 0x0
	s_add_co_i32 s1, s1, 4
	ds_load_b32 v111, v111
	v_cmp_eq_u32_e32 vcc_lo, 0, v109
	s_or_b32 s10, vcc_lo, s10
	s_wait_loadcnt_dscnt 0x0
	v_fmac_f32_e32 v108, v110, v111
	s_and_not1_b32 exec_lo, exec_lo, s10
	s_cbranch_execnz .LBB51_363
; %bb.364:
	s_or_b32 exec_lo, exec_lo, s10
.LBB51_365:
	s_delay_alu instid0(SALU_CYCLE_1)
	s_or_b32 exec_lo, exec_lo, s9
	v_mov_b32_e32 v109, 0
	ds_load_b32 v109, v109 offset:56
	s_wait_dscnt 0x0
	v_mul_f32_e32 v108, v108, v109
	scratch_store_b32 off, v108, off offset:56
.LBB51_366:
	s_wait_xcnt 0x0
	s_or_b32 exec_lo, exec_lo, s8
	scratch_load_b32 v108, off, off offset:52
	v_cmp_lt_u32_e64 s1, 13, v0
	s_wait_loadcnt 0x0
	ds_store_b32 v1, v108
	s_wait_storecnt_dscnt 0x0
	s_barrier_signal -1
	s_barrier_wait -1
	s_wait_xcnt 0x0
	s_and_saveexec_b32 s8, s1
	s_cbranch_execz .LBB51_376
; %bb.367:
	s_and_not1_b32 vcc_lo, exec_lo, s3
	s_cbranch_vccnz .LBB51_369
; %bb.368:
	scratch_load_b32 v108, v7, off
	ds_load_b32 v109, v1
	s_wait_loadcnt_dscnt 0x0
	v_mul_f32_e32 v108, v108, v109
	s_cbranch_execz .LBB51_370
	s_branch .LBB51_371
.LBB51_369:
                                        ; implicit-def: $vgpr108
.LBB51_370:
	ds_load_b32 v108, v1
.LBB51_371:
	s_and_saveexec_b32 s9, s0
	s_cbranch_execz .LBB51_375
; %bb.372:
	v_add_nc_u32_e32 v109, -14, v0
	s_mov_b32 s0, 56
	s_movk_i32 s11, 0x108
	s_mov_b32 s10, 0
.LBB51_373:                             ; =>This Inner Loop Header: Depth=1
	scratch_load_b32 v110, off, s0
	v_dual_mov_b32 v111, s11 :: v_dual_add_nc_u32 v109, -1, v109
	s_add_co_i32 s11, s11, 4
	s_wait_xcnt 0x0
	s_add_co_i32 s0, s0, 4
	ds_load_b32 v111, v111
	v_cmp_eq_u32_e32 vcc_lo, 0, v109
	s_or_b32 s10, vcc_lo, s10
	s_wait_loadcnt_dscnt 0x0
	v_fmac_f32_e32 v108, v110, v111
	s_and_not1_b32 exec_lo, exec_lo, s10
	s_cbranch_execnz .LBB51_373
; %bb.374:
	s_or_b32 exec_lo, exec_lo, s10
.LBB51_375:
	s_delay_alu instid0(SALU_CYCLE_1)
	s_or_b32 exec_lo, exec_lo, s9
	v_mov_b32_e32 v109, 0
	ds_load_b32 v109, v109 offset:52
	s_wait_dscnt 0x0
	v_mul_f32_e32 v108, v108, v109
	scratch_store_b32 off, v108, off offset:52
.LBB51_376:
	s_wait_xcnt 0x0
	s_or_b32 exec_lo, exec_lo, s8
	scratch_load_b32 v108, off, off offset:48
	v_cmp_lt_u32_e64 s0, 12, v0
	s_wait_loadcnt 0x0
	ds_store_b32 v1, v108
	s_wait_storecnt_dscnt 0x0
	s_barrier_signal -1
	s_barrier_wait -1
	s_wait_xcnt 0x0
	s_and_saveexec_b32 s8, s0
	s_cbranch_execz .LBB51_386
; %bb.377:
	s_and_not1_b32 vcc_lo, exec_lo, s3
	s_cbranch_vccnz .LBB51_379
; %bb.378:
	scratch_load_b32 v108, v7, off
	ds_load_b32 v109, v1
	s_wait_loadcnt_dscnt 0x0
	v_mul_f32_e32 v108, v108, v109
	s_cbranch_execz .LBB51_380
	s_branch .LBB51_381
.LBB51_379:
                                        ; implicit-def: $vgpr108
.LBB51_380:
	ds_load_b32 v108, v1
.LBB51_381:
	s_and_saveexec_b32 s9, s1
	s_cbranch_execz .LBB51_385
; %bb.382:
	v_add_nc_u32_e32 v109, -13, v0
	s_mov_b32 s1, 52
	s_movk_i32 s11, 0x104
	s_mov_b32 s10, 0
.LBB51_383:                             ; =>This Inner Loop Header: Depth=1
	scratch_load_b32 v110, off, s1
	v_dual_mov_b32 v111, s11 :: v_dual_add_nc_u32 v109, -1, v109
	s_add_co_i32 s11, s11, 4
	s_wait_xcnt 0x0
	s_add_co_i32 s1, s1, 4
	ds_load_b32 v111, v111
	v_cmp_eq_u32_e32 vcc_lo, 0, v109
	s_or_b32 s10, vcc_lo, s10
	s_wait_loadcnt_dscnt 0x0
	v_fmac_f32_e32 v108, v110, v111
	s_and_not1_b32 exec_lo, exec_lo, s10
	s_cbranch_execnz .LBB51_383
; %bb.384:
	s_or_b32 exec_lo, exec_lo, s10
.LBB51_385:
	s_delay_alu instid0(SALU_CYCLE_1)
	s_or_b32 exec_lo, exec_lo, s9
	v_mov_b32_e32 v109, 0
	ds_load_b32 v109, v109 offset:48
	s_wait_dscnt 0x0
	v_mul_f32_e32 v108, v108, v109
	scratch_store_b32 off, v108, off offset:48
.LBB51_386:
	s_wait_xcnt 0x0
	s_or_b32 exec_lo, exec_lo, s8
	scratch_load_b32 v108, off, off offset:44
	v_cmp_lt_u32_e64 s1, 11, v0
	s_wait_loadcnt 0x0
	ds_store_b32 v1, v108
	s_wait_storecnt_dscnt 0x0
	s_barrier_signal -1
	s_barrier_wait -1
	s_wait_xcnt 0x0
	s_and_saveexec_b32 s8, s1
	s_cbranch_execz .LBB51_396
; %bb.387:
	s_and_not1_b32 vcc_lo, exec_lo, s3
	s_cbranch_vccnz .LBB51_389
; %bb.388:
	scratch_load_b32 v108, v7, off
	ds_load_b32 v109, v1
	s_wait_loadcnt_dscnt 0x0
	v_mul_f32_e32 v108, v108, v109
	s_cbranch_execz .LBB51_390
	s_branch .LBB51_391
.LBB51_389:
                                        ; implicit-def: $vgpr108
.LBB51_390:
	ds_load_b32 v108, v1
.LBB51_391:
	s_and_saveexec_b32 s9, s0
	s_cbranch_execz .LBB51_395
; %bb.392:
	v_add_nc_u32_e32 v109, -12, v0
	s_movk_i32 s10, 0x100
	s_mov_b32 s0, 0
.LBB51_393:                             ; =>This Inner Loop Header: Depth=1
	scratch_load_b32 v110, off, s5
	v_dual_mov_b32 v111, s10 :: v_dual_add_nc_u32 v109, -1, v109
	s_add_co_i32 s10, s10, 4
	s_wait_xcnt 0x0
	s_add_co_i32 s5, s5, 4
	ds_load_b32 v111, v111
	v_cmp_eq_u32_e32 vcc_lo, 0, v109
	s_or_b32 s0, vcc_lo, s0
	s_wait_loadcnt_dscnt 0x0
	v_fmac_f32_e32 v108, v110, v111
	s_and_not1_b32 exec_lo, exec_lo, s0
	s_cbranch_execnz .LBB51_393
; %bb.394:
	s_or_b32 exec_lo, exec_lo, s0
.LBB51_395:
	s_delay_alu instid0(SALU_CYCLE_1)
	s_or_b32 exec_lo, exec_lo, s9
	v_mov_b32_e32 v109, 0
	ds_load_b32 v109, v109 offset:44
	s_wait_dscnt 0x0
	v_mul_f32_e32 v108, v108, v109
	scratch_store_b32 off, v108, off offset:44
.LBB51_396:
	s_wait_xcnt 0x0
	s_or_b32 exec_lo, exec_lo, s8
	scratch_load_b32 v108, off, off offset:40
	v_cmp_lt_u32_e64 s0, 10, v0
	s_wait_loadcnt 0x0
	ds_store_b32 v1, v108
	s_wait_storecnt_dscnt 0x0
	s_barrier_signal -1
	s_barrier_wait -1
	s_wait_xcnt 0x0
	s_and_saveexec_b32 s5, s0
	s_cbranch_execz .LBB51_406
; %bb.397:
	s_and_not1_b32 vcc_lo, exec_lo, s3
	s_cbranch_vccnz .LBB51_399
; %bb.398:
	scratch_load_b32 v108, v7, off
	ds_load_b32 v109, v1
	s_wait_loadcnt_dscnt 0x0
	v_mul_f32_e32 v108, v108, v109
	s_cbranch_execz .LBB51_400
	s_branch .LBB51_401
.LBB51_399:
                                        ; implicit-def: $vgpr108
.LBB51_400:
	ds_load_b32 v108, v1
.LBB51_401:
	s_and_saveexec_b32 s8, s1
	s_cbranch_execz .LBB51_405
; %bb.402:
	v_add_nc_u32_e32 v109, -11, v0
	s_mov_b32 s1, 44
	s_movk_i32 s10, 0xfc
	s_mov_b32 s9, 0
.LBB51_403:                             ; =>This Inner Loop Header: Depth=1
	scratch_load_b32 v110, off, s1
	v_dual_mov_b32 v111, s10 :: v_dual_add_nc_u32 v109, -1, v109
	s_add_co_i32 s10, s10, 4
	s_wait_xcnt 0x0
	s_add_co_i32 s1, s1, 4
	ds_load_b32 v111, v111
	v_cmp_eq_u32_e32 vcc_lo, 0, v109
	s_or_b32 s9, vcc_lo, s9
	s_wait_loadcnt_dscnt 0x0
	v_fmac_f32_e32 v108, v110, v111
	s_and_not1_b32 exec_lo, exec_lo, s9
	s_cbranch_execnz .LBB51_403
; %bb.404:
	s_or_b32 exec_lo, exec_lo, s9
.LBB51_405:
	s_delay_alu instid0(SALU_CYCLE_1)
	s_or_b32 exec_lo, exec_lo, s8
	v_mov_b32_e32 v109, 0
	ds_load_b32 v109, v109 offset:40
	s_wait_dscnt 0x0
	v_mul_f32_e32 v108, v108, v109
	scratch_store_b32 off, v108, off offset:40
.LBB51_406:
	s_wait_xcnt 0x0
	s_or_b32 exec_lo, exec_lo, s5
	scratch_load_b32 v108, off, off offset:36
	v_cmp_lt_u32_e64 s1, 9, v0
	s_wait_loadcnt 0x0
	ds_store_b32 v1, v108
	s_wait_storecnt_dscnt 0x0
	s_barrier_signal -1
	s_barrier_wait -1
	s_wait_xcnt 0x0
	s_and_saveexec_b32 s5, s1
	s_cbranch_execz .LBB51_416
; %bb.407:
	s_and_not1_b32 vcc_lo, exec_lo, s3
	s_cbranch_vccnz .LBB51_409
; %bb.408:
	scratch_load_b32 v108, v7, off
	ds_load_b32 v109, v1
	s_wait_loadcnt_dscnt 0x0
	v_mul_f32_e32 v108, v108, v109
	s_cbranch_execz .LBB51_410
	s_branch .LBB51_411
.LBB51_409:
                                        ; implicit-def: $vgpr108
.LBB51_410:
	ds_load_b32 v108, v1
.LBB51_411:
	s_and_saveexec_b32 s8, s0
	s_cbranch_execz .LBB51_415
; %bb.412:
	v_add_nc_u32_e32 v109, -10, v0
	s_mov_b32 s0, 40
	s_movk_i32 s10, 0xf8
	s_mov_b32 s9, 0
.LBB51_413:                             ; =>This Inner Loop Header: Depth=1
	scratch_load_b32 v110, off, s0
	v_dual_mov_b32 v111, s10 :: v_dual_add_nc_u32 v109, -1, v109
	s_add_co_i32 s10, s10, 4
	s_wait_xcnt 0x0
	s_add_co_i32 s0, s0, 4
	ds_load_b32 v111, v111
	v_cmp_eq_u32_e32 vcc_lo, 0, v109
	s_or_b32 s9, vcc_lo, s9
	s_wait_loadcnt_dscnt 0x0
	v_fmac_f32_e32 v108, v110, v111
	s_and_not1_b32 exec_lo, exec_lo, s9
	s_cbranch_execnz .LBB51_413
; %bb.414:
	s_or_b32 exec_lo, exec_lo, s9
.LBB51_415:
	s_delay_alu instid0(SALU_CYCLE_1)
	s_or_b32 exec_lo, exec_lo, s8
	v_mov_b32_e32 v109, 0
	ds_load_b32 v109, v109 offset:36
	s_wait_dscnt 0x0
	v_mul_f32_e32 v108, v108, v109
	scratch_store_b32 off, v108, off offset:36
.LBB51_416:
	;; [unrolled: 58-line block ×3, first 2 shown]
	s_wait_xcnt 0x0
	s_or_b32 exec_lo, exec_lo, s5
	scratch_load_b32 v108, off, off offset:28
	v_cmp_lt_u32_e64 s1, 7, v0
	s_wait_loadcnt 0x0
	ds_store_b32 v1, v108
	s_wait_storecnt_dscnt 0x0
	s_barrier_signal -1
	s_barrier_wait -1
	s_wait_xcnt 0x0
	s_and_saveexec_b32 s5, s1
	s_cbranch_execz .LBB51_436
; %bb.427:
	s_and_not1_b32 vcc_lo, exec_lo, s3
	s_cbranch_vccnz .LBB51_429
; %bb.428:
	scratch_load_b32 v108, v7, off
	ds_load_b32 v109, v1
	s_wait_loadcnt_dscnt 0x0
	v_mul_f32_e32 v108, v108, v109
	s_cbranch_execz .LBB51_430
	s_branch .LBB51_431
.LBB51_429:
                                        ; implicit-def: $vgpr108
.LBB51_430:
	ds_load_b32 v108, v1
.LBB51_431:
	s_and_saveexec_b32 s8, s0
	s_cbranch_execz .LBB51_435
; %bb.432:
	v_add_nc_u32_e32 v109, -8, v0
	s_movk_i32 s9, 0xf0
	s_mov_b32 s0, 0
.LBB51_433:                             ; =>This Inner Loop Header: Depth=1
	scratch_load_b32 v110, off, s2
	v_dual_mov_b32 v111, s9 :: v_dual_add_nc_u32 v109, -1, v109
	s_add_co_i32 s9, s9, 4
	s_wait_xcnt 0x0
	s_add_co_i32 s2, s2, 4
	ds_load_b32 v111, v111
	v_cmp_eq_u32_e32 vcc_lo, 0, v109
	s_or_b32 s0, vcc_lo, s0
	s_wait_loadcnt_dscnt 0x0
	v_fmac_f32_e32 v108, v110, v111
	s_and_not1_b32 exec_lo, exec_lo, s0
	s_cbranch_execnz .LBB51_433
; %bb.434:
	s_or_b32 exec_lo, exec_lo, s0
.LBB51_435:
	s_delay_alu instid0(SALU_CYCLE_1)
	s_or_b32 exec_lo, exec_lo, s8
	v_mov_b32_e32 v109, 0
	ds_load_b32 v109, v109 offset:28
	s_wait_dscnt 0x0
	v_mul_f32_e32 v108, v108, v109
	scratch_store_b32 off, v108, off offset:28
.LBB51_436:
	s_wait_xcnt 0x0
	s_or_b32 exec_lo, exec_lo, s5
	scratch_load_b32 v108, off, off offset:24
	v_cmp_lt_u32_e64 s0, 6, v0
	s_wait_loadcnt 0x0
	ds_store_b32 v1, v108
	s_wait_storecnt_dscnt 0x0
	s_barrier_signal -1
	s_barrier_wait -1
	s_wait_xcnt 0x0
	s_and_saveexec_b32 s2, s0
	s_cbranch_execz .LBB51_446
; %bb.437:
	s_and_not1_b32 vcc_lo, exec_lo, s3
	s_cbranch_vccnz .LBB51_439
; %bb.438:
	scratch_load_b32 v108, v7, off
	ds_load_b32 v109, v1
	s_wait_loadcnt_dscnt 0x0
	v_mul_f32_e32 v108, v108, v109
	s_cbranch_execz .LBB51_440
	s_branch .LBB51_441
.LBB51_439:
                                        ; implicit-def: $vgpr108
.LBB51_440:
	ds_load_b32 v108, v1
.LBB51_441:
	s_and_saveexec_b32 s5, s1
	s_cbranch_execz .LBB51_445
; %bb.442:
	v_add_nc_u32_e32 v109, -7, v0
	s_mov_b32 s1, 28
	s_movk_i32 s9, 0xec
	s_mov_b32 s8, 0
.LBB51_443:                             ; =>This Inner Loop Header: Depth=1
	scratch_load_b32 v110, off, s1
	v_dual_mov_b32 v111, s9 :: v_dual_add_nc_u32 v109, -1, v109
	s_add_co_i32 s9, s9, 4
	s_wait_xcnt 0x0
	s_add_co_i32 s1, s1, 4
	ds_load_b32 v111, v111
	v_cmp_eq_u32_e32 vcc_lo, 0, v109
	s_or_b32 s8, vcc_lo, s8
	s_wait_loadcnt_dscnt 0x0
	v_fmac_f32_e32 v108, v110, v111
	s_and_not1_b32 exec_lo, exec_lo, s8
	s_cbranch_execnz .LBB51_443
; %bb.444:
	s_or_b32 exec_lo, exec_lo, s8
.LBB51_445:
	s_delay_alu instid0(SALU_CYCLE_1)
	s_or_b32 exec_lo, exec_lo, s5
	v_mov_b32_e32 v109, 0
	ds_load_b32 v109, v109 offset:24
	s_wait_dscnt 0x0
	v_mul_f32_e32 v108, v108, v109
	scratch_store_b32 off, v108, off offset:24
.LBB51_446:
	s_wait_xcnt 0x0
	s_or_b32 exec_lo, exec_lo, s2
	scratch_load_b32 v108, off, off offset:20
	v_cmp_lt_u32_e64 s1, 5, v0
	s_wait_loadcnt 0x0
	ds_store_b32 v1, v108
	s_wait_storecnt_dscnt 0x0
	s_barrier_signal -1
	s_barrier_wait -1
	s_wait_xcnt 0x0
	s_and_saveexec_b32 s2, s1
	s_cbranch_execz .LBB51_456
; %bb.447:
	s_and_not1_b32 vcc_lo, exec_lo, s3
	s_cbranch_vccnz .LBB51_449
; %bb.448:
	scratch_load_b32 v108, v7, off
	ds_load_b32 v109, v1
	s_wait_loadcnt_dscnt 0x0
	v_mul_f32_e32 v108, v108, v109
	s_cbranch_execz .LBB51_450
	s_branch .LBB51_451
.LBB51_449:
                                        ; implicit-def: $vgpr108
.LBB51_450:
	ds_load_b32 v108, v1
.LBB51_451:
	s_and_saveexec_b32 s5, s0
	s_cbranch_execz .LBB51_455
; %bb.452:
	v_add_nc_u32_e32 v109, -6, v0
	s_mov_b32 s0, 24
	s_movk_i32 s9, 0xe8
	s_mov_b32 s8, 0
.LBB51_453:                             ; =>This Inner Loop Header: Depth=1
	scratch_load_b32 v110, off, s0
	v_dual_mov_b32 v111, s9 :: v_dual_add_nc_u32 v109, -1, v109
	s_add_co_i32 s9, s9, 4
	s_wait_xcnt 0x0
	s_add_co_i32 s0, s0, 4
	ds_load_b32 v111, v111
	v_cmp_eq_u32_e32 vcc_lo, 0, v109
	s_or_b32 s8, vcc_lo, s8
	s_wait_loadcnt_dscnt 0x0
	v_fmac_f32_e32 v108, v110, v111
	s_and_not1_b32 exec_lo, exec_lo, s8
	s_cbranch_execnz .LBB51_453
; %bb.454:
	s_or_b32 exec_lo, exec_lo, s8
.LBB51_455:
	s_delay_alu instid0(SALU_CYCLE_1)
	s_or_b32 exec_lo, exec_lo, s5
	v_mov_b32_e32 v109, 0
	ds_load_b32 v109, v109 offset:20
	s_wait_dscnt 0x0
	v_mul_f32_e32 v108, v108, v109
	scratch_store_b32 off, v108, off offset:20
.LBB51_456:
	;; [unrolled: 58-line block ×3, first 2 shown]
	s_wait_xcnt 0x0
	s_or_b32 exec_lo, exec_lo, s2
	scratch_load_b32 v108, off, off offset:12
	v_cmp_lt_u32_e64 s2, 3, v0
	s_wait_loadcnt 0x0
	ds_store_b32 v1, v108
	s_wait_storecnt_dscnt 0x0
	s_barrier_signal -1
	s_barrier_wait -1
	s_wait_xcnt 0x0
	s_and_saveexec_b32 s1, s2
	s_cbranch_execz .LBB51_476
; %bb.467:
	s_and_not1_b32 vcc_lo, exec_lo, s3
	s_cbranch_vccnz .LBB51_469
; %bb.468:
	scratch_load_b32 v108, v7, off
	ds_load_b32 v109, v1
	s_wait_loadcnt_dscnt 0x0
	v_mul_f32_e32 v108, v108, v109
	s_cbranch_execz .LBB51_470
	s_branch .LBB51_471
.LBB51_469:
                                        ; implicit-def: $vgpr108
.LBB51_470:
	ds_load_b32 v108, v1
.LBB51_471:
	s_and_saveexec_b32 s5, s0
	s_cbranch_execz .LBB51_475
; %bb.472:
	v_add_nc_u32_e32 v109, -4, v0
	s_movk_i32 s8, 0xe0
	s_mov_b32 s0, 0
.LBB51_473:                             ; =>This Inner Loop Header: Depth=1
	scratch_load_b32 v110, off, s4
	v_dual_mov_b32 v111, s8 :: v_dual_add_nc_u32 v109, -1, v109
	s_add_co_i32 s8, s8, 4
	s_wait_xcnt 0x0
	s_add_co_i32 s4, s4, 4
	ds_load_b32 v111, v111
	v_cmp_eq_u32_e32 vcc_lo, 0, v109
	s_or_b32 s0, vcc_lo, s0
	s_wait_loadcnt_dscnt 0x0
	v_fmac_f32_e32 v108, v110, v111
	s_and_not1_b32 exec_lo, exec_lo, s0
	s_cbranch_execnz .LBB51_473
; %bb.474:
	s_or_b32 exec_lo, exec_lo, s0
.LBB51_475:
	s_delay_alu instid0(SALU_CYCLE_1)
	s_or_b32 exec_lo, exec_lo, s5
	v_mov_b32_e32 v109, 0
	ds_load_b32 v109, v109 offset:12
	s_wait_dscnt 0x0
	v_mul_f32_e32 v108, v108, v109
	scratch_store_b32 off, v108, off offset:12
.LBB51_476:
	s_wait_xcnt 0x0
	s_or_b32 exec_lo, exec_lo, s1
	scratch_load_b32 v108, off, off offset:8
	v_cmp_lt_u32_e64 s1, 2, v0
	s_wait_loadcnt 0x0
	ds_store_b32 v1, v108
	s_wait_storecnt_dscnt 0x0
	s_barrier_signal -1
	s_barrier_wait -1
	s_wait_xcnt 0x0
	s_and_saveexec_b32 s0, s1
	s_cbranch_execz .LBB51_486
; %bb.477:
	s_and_not1_b32 vcc_lo, exec_lo, s3
	s_cbranch_vccnz .LBB51_479
; %bb.478:
	scratch_load_b32 v108, v7, off
	ds_load_b32 v109, v1
	s_wait_loadcnt_dscnt 0x0
	v_mul_f32_e32 v108, v108, v109
	s_cbranch_execz .LBB51_480
	s_branch .LBB51_481
.LBB51_479:
                                        ; implicit-def: $vgpr108
.LBB51_480:
	ds_load_b32 v108, v1
.LBB51_481:
	s_and_saveexec_b32 s4, s2
	s_cbranch_execz .LBB51_485
; %bb.482:
	v_add_nc_u32_e32 v109, -3, v0
	s_or_b32 s2, 0, 12
	s_movk_i32 s8, 0xdc
	s_mov_b32 s5, 0
.LBB51_483:                             ; =>This Inner Loop Header: Depth=1
	scratch_load_b32 v110, off, s2
	v_dual_mov_b32 v111, s8 :: v_dual_add_nc_u32 v109, -1, v109
	s_add_co_i32 s8, s8, 4
	s_wait_xcnt 0x0
	s_add_co_i32 s2, s2, 4
	ds_load_b32 v111, v111
	v_cmp_eq_u32_e32 vcc_lo, 0, v109
	s_or_b32 s5, vcc_lo, s5
	s_wait_loadcnt_dscnt 0x0
	v_fmac_f32_e32 v108, v110, v111
	s_and_not1_b32 exec_lo, exec_lo, s5
	s_cbranch_execnz .LBB51_483
; %bb.484:
	s_or_b32 exec_lo, exec_lo, s5
.LBB51_485:
	s_delay_alu instid0(SALU_CYCLE_1)
	s_or_b32 exec_lo, exec_lo, s4
	v_mov_b32_e32 v109, 0
	ds_load_b32 v109, v109 offset:8
	s_wait_dscnt 0x0
	v_mul_f32_e32 v108, v108, v109
	scratch_store_b32 off, v108, off offset:8
.LBB51_486:
	s_wait_xcnt 0x0
	s_or_b32 exec_lo, exec_lo, s0
	scratch_load_b32 v108, off, off offset:4
	v_cmp_lt_u32_e64 s0, 1, v0
	s_wait_loadcnt 0x0
	ds_store_b32 v1, v108
	s_wait_storecnt_dscnt 0x0
	s_barrier_signal -1
	s_barrier_wait -1
	s_wait_xcnt 0x0
	s_and_saveexec_b32 s2, s0
	s_cbranch_execz .LBB51_496
; %bb.487:
	s_and_not1_b32 vcc_lo, exec_lo, s3
	s_cbranch_vccnz .LBB51_489
; %bb.488:
	scratch_load_b32 v108, v7, off
	ds_load_b32 v109, v1
	s_wait_loadcnt_dscnt 0x0
	v_mul_f32_e32 v108, v108, v109
	s_cbranch_execz .LBB51_490
	s_branch .LBB51_491
.LBB51_489:
                                        ; implicit-def: $vgpr108
.LBB51_490:
	ds_load_b32 v108, v1
.LBB51_491:
	s_and_saveexec_b32 s4, s1
	s_cbranch_execz .LBB51_495
; %bb.492:
	v_add_nc_u32_e32 v109, -2, v0
	s_or_b32 s1, 0, 8
	s_movk_i32 s8, 0xd8
	s_mov_b32 s5, 0
.LBB51_493:                             ; =>This Inner Loop Header: Depth=1
	scratch_load_b32 v110, off, s1
	v_dual_mov_b32 v111, s8 :: v_dual_add_nc_u32 v109, -1, v109
	s_add_co_i32 s8, s8, 4
	s_wait_xcnt 0x0
	s_add_co_i32 s1, s1, 4
	ds_load_b32 v111, v111
	v_cmp_eq_u32_e32 vcc_lo, 0, v109
	s_or_b32 s5, vcc_lo, s5
	s_wait_loadcnt_dscnt 0x0
	v_fmac_f32_e32 v108, v110, v111
	s_and_not1_b32 exec_lo, exec_lo, s5
	s_cbranch_execnz .LBB51_493
; %bb.494:
	s_or_b32 exec_lo, exec_lo, s5
.LBB51_495:
	s_delay_alu instid0(SALU_CYCLE_1)
	s_or_b32 exec_lo, exec_lo, s4
	v_mov_b32_e32 v109, 0
	ds_load_b32 v109, v109 offset:4
	s_wait_dscnt 0x0
	v_mul_f32_e32 v108, v108, v109
	scratch_store_b32 off, v108, off offset:4
.LBB51_496:
	s_wait_xcnt 0x0
	s_or_b32 exec_lo, exec_lo, s2
	scratch_load_b32 v108, off, off
	s_mov_b32 s1, 0
	s_mov_b32 s2, exec_lo
	s_wait_loadcnt 0x0
	ds_store_b32 v1, v108
	s_wait_storecnt_dscnt 0x0
	s_barrier_signal -1
	s_barrier_wait -1
	s_wait_xcnt 0x0
	v_cmpx_ne_u32_e32 0, v0
	s_cbranch_execz .LBB51_506
; %bb.497:
	s_and_not1_b32 vcc_lo, exec_lo, s3
	s_cbranch_vccnz .LBB51_499
; %bb.498:
	scratch_load_b32 v108, v7, off
	ds_load_b32 v109, v1
	s_wait_loadcnt_dscnt 0x0
	v_mul_f32_e32 v108, v108, v109
	s_cbranch_execz .LBB51_500
	s_branch .LBB51_501
.LBB51_499:
                                        ; implicit-def: $vgpr108
.LBB51_500:
	ds_load_b32 v108, v1
.LBB51_501:
	s_and_saveexec_b32 s4, s0
	s_cbranch_execz .LBB51_505
; %bb.502:
	v_add_nc_u32_e32 v109, -1, v0
	s_or_b32 s0, 0, 4
	s_movk_i32 s8, 0xd4
	s_mov_b32 s5, 0
.LBB51_503:                             ; =>This Inner Loop Header: Depth=1
	scratch_load_b32 v110, off, s0
	v_dual_mov_b32 v111, s8 :: v_dual_add_nc_u32 v109, -1, v109
	s_add_co_i32 s8, s8, 4
	s_wait_xcnt 0x0
	s_add_co_i32 s0, s0, 4
	ds_load_b32 v111, v111
	v_cmp_eq_u32_e32 vcc_lo, 0, v109
	s_or_b32 s5, vcc_lo, s5
	s_wait_loadcnt_dscnt 0x0
	v_fmac_f32_e32 v108, v110, v111
	s_and_not1_b32 exec_lo, exec_lo, s5
	s_cbranch_execnz .LBB51_503
; %bb.504:
	s_or_b32 exec_lo, exec_lo, s5
.LBB51_505:
	s_delay_alu instid0(SALU_CYCLE_1)
	s_or_b32 exec_lo, exec_lo, s4
	v_mov_b32_e32 v109, 0
	ds_load_b32 v109, v109
	s_wait_dscnt 0x0
	v_mul_f32_e32 v108, v108, v109
	scratch_store_b32 off, v108, off
.LBB51_506:
	s_wait_xcnt 0x0
	s_or_b32 exec_lo, exec_lo, s2
.LBB51_507:
	v_lshl_add_u64 v[124:125], v[8:9], 2, s[6:7]
	v_lshl_add_u64 v[126:127], v[10:11], 2, s[6:7]
	;; [unrolled: 1-line block ×50, first 2 shown]
	s_and_b32 vcc_lo, exec_lo, s1
	s_cbranch_vccz .LBB51_1009
; %bb.508:
	scratch_load_b32 v88, off, off offset:4
	v_cmp_eq_u32_e64 s0, 0, v0
	s_wait_loadcnt 0x0
	ds_store_b32 v1, v88
	s_wait_storecnt_dscnt 0x0
	s_barrier_signal -1
	s_barrier_wait -1
	s_wait_xcnt 0x0
	s_and_saveexec_b32 s1, s0
	s_cbranch_execz .LBB51_514
; %bb.509:
	s_and_b32 vcc_lo, exec_lo, s3
	s_cbranch_vccz .LBB51_511
; %bb.510:
	scratch_load_b32 v88, v7, off
	ds_load_b32 v89, v1
	s_wait_loadcnt_dscnt 0x0
	v_mul_f32_e32 v88, v88, v89
	s_cbranch_execz .LBB51_512
	s_branch .LBB51_513
.LBB51_511:
                                        ; implicit-def: $vgpr88
.LBB51_512:
	ds_load_b32 v88, v1
.LBB51_513:
	v_mov_b32_e32 v89, 0
	ds_load_b32 v89, v89 offset:4
	s_wait_dscnt 0x0
	v_mul_f32_e32 v88, v88, v89
	scratch_store_b32 off, v88, off offset:4
.LBB51_514:
	s_wait_xcnt 0x0
	s_or_b32 exec_lo, exec_lo, s1
	scratch_load_b32 v89, off, off offset:8
	v_cndmask_b32_e64 v88, 0, 1, s3
	s_mov_b32 s1, exec_lo
	s_wait_loadcnt 0x0
	ds_store_b32 v1, v89
	s_wait_storecnt_dscnt 0x0
	s_barrier_signal -1
	s_barrier_wait -1
	s_wait_xcnt 0x0
	v_cmpx_gt_u32_e32 2, v0
	s_cbranch_execz .LBB51_520
; %bb.515:
	s_and_not1_b32 vcc_lo, exec_lo, s3
	s_cbranch_vccnz .LBB51_517
; %bb.516:
	scratch_load_b32 v89, v7, off
	ds_load_b32 v90, v1
	s_wait_loadcnt_dscnt 0x0
	v_mul_f32_e32 v89, v89, v90
	s_cbranch_execz .LBB51_518
	s_branch .LBB51_519
.LBB51_517:
                                        ; implicit-def: $vgpr89
.LBB51_518:
	ds_load_b32 v89, v1
.LBB51_519:
	scratch_load_b32 v92, off, off offset:4
	v_mov_b32_e32 v90, 0
	ds_load_2addr_b32 v[90:91], v90 offset0:2 offset1:53
	s_wait_loadcnt_dscnt 0x0
	v_fma_f32 v91, v92, v91, v89
	s_delay_alu instid0(VALU_DEP_1) | instskip(NEXT) | instid1(VALU_DEP_1)
	v_cndmask_b32_e64 v89, v89, v91, s0
	v_mul_f32_e32 v89, v89, v90
	scratch_store_b32 off, v89, off offset:8
.LBB51_520:
	s_wait_xcnt 0x0
	s_or_b32 exec_lo, exec_lo, s1
	scratch_load_b32 v89, off, off offset:12
	s_mov_b32 s1, exec_lo
	s_wait_loadcnt 0x0
	ds_store_b32 v1, v89
	s_wait_storecnt_dscnt 0x0
	s_barrier_signal -1
	s_barrier_wait -1
	s_wait_xcnt 0x0
	v_cmpx_gt_u32_e32 3, v0
	s_cbranch_execz .LBB51_528
; %bb.521:
	v_cmp_ne_u32_e32 vcc_lo, 1, v88
	s_cbranch_vccnz .LBB51_523
; %bb.522:
	scratch_load_b32 v89, v7, off
	ds_load_b32 v90, v1
	s_wait_loadcnt_dscnt 0x0
	v_mul_f32_e32 v89, v89, v90
	s_cbranch_execz .LBB51_524
	s_branch .LBB51_525
.LBB51_523:
                                        ; implicit-def: $vgpr89
.LBB51_524:
	ds_load_b32 v89, v1
.LBB51_525:
	s_mov_b32 s2, exec_lo
	v_cmpx_ne_u32_e32 2, v0
	s_cbranch_execz .LBB51_527
; %bb.526:
	scratch_load_b32 v90, v7, off offset:4
	scratch_load_b32 v91, off, off offset:8
	ds_load_b32 v92, v1 offset:4
	v_mov_b32_e32 v93, 0
	ds_load_b32 v93, v93 offset:216
	s_wait_loadcnt_dscnt 0x101
	v_fmac_f32_e32 v89, v90, v92
	s_wait_loadcnt_dscnt 0x0
	s_delay_alu instid0(VALU_DEP_1) | instskip(NEXT) | instid1(VALU_DEP_1)
	v_fma_f32 v90, v91, v93, v89
	v_cndmask_b32_e64 v89, v89, v90, s0
.LBB51_527:
	s_or_b32 exec_lo, exec_lo, s2
	v_mov_b32_e32 v90, 0
	ds_load_b32 v90, v90 offset:12
	s_wait_dscnt 0x0
	v_mul_f32_e32 v89, v89, v90
	scratch_store_b32 off, v89, off offset:12
.LBB51_528:
	s_wait_xcnt 0x0
	s_or_b32 exec_lo, exec_lo, s1
	scratch_load_b32 v89, off, off offset:16
	s_mov_b32 s0, exec_lo
	s_wait_loadcnt 0x0
	ds_store_b32 v1, v89
	s_wait_storecnt_dscnt 0x0
	s_barrier_signal -1
	s_barrier_wait -1
	s_wait_xcnt 0x0
	v_cmpx_gt_u32_e32 4, v0
	s_cbranch_execz .LBB51_538
; %bb.529:
	v_cmp_ne_u32_e32 vcc_lo, 1, v88
	s_cbranch_vccnz .LBB51_531
; %bb.530:
	scratch_load_b32 v89, v7, off
	ds_load_b32 v90, v1
	s_wait_loadcnt_dscnt 0x0
	v_mul_f32_e32 v89, v89, v90
	s_cbranch_execz .LBB51_532
	s_branch .LBB51_533
.LBB51_531:
                                        ; implicit-def: $vgpr89
.LBB51_532:
	ds_load_b32 v89, v1
.LBB51_533:
	s_mov_b32 s1, exec_lo
	v_cmpx_ne_u32_e32 3, v0
	s_cbranch_execz .LBB51_537
; %bb.534:
	v_add_nc_u32_e32 v90, 0xd4, v6
	v_add3_u32 v91, 0, v6, 4
	v_mov_b32_e32 v92, v0
	s_mov_b32 s2, 0
.LBB51_535:                             ; =>This Inner Loop Header: Depth=1
	scratch_load_b32 v93, v91, off
	ds_load_b32 v94, v90
	v_dual_add_nc_u32 v92, 1, v92 :: v_dual_add_nc_u32 v90, 4, v90
	s_wait_xcnt 0x0
	v_add_nc_u32_e32 v91, 4, v91
	s_delay_alu instid0(VALU_DEP_2)
	v_cmp_lt_u32_e32 vcc_lo, 2, v92
	s_or_b32 s2, vcc_lo, s2
	s_wait_loadcnt_dscnt 0x0
	v_fmac_f32_e32 v89, v93, v94
	s_and_not1_b32 exec_lo, exec_lo, s2
	s_cbranch_execnz .LBB51_535
; %bb.536:
	s_or_b32 exec_lo, exec_lo, s2
.LBB51_537:
	s_delay_alu instid0(SALU_CYCLE_1)
	s_or_b32 exec_lo, exec_lo, s1
	v_mov_b32_e32 v90, 0
	ds_load_b32 v90, v90 offset:16
	s_wait_dscnt 0x0
	v_mul_f32_e32 v89, v89, v90
	scratch_store_b32 off, v89, off offset:16
.LBB51_538:
	s_wait_xcnt 0x0
	s_or_b32 exec_lo, exec_lo, s0
	scratch_load_b32 v89, off, off offset:20
	s_mov_b32 s0, exec_lo
	s_wait_loadcnt 0x0
	ds_store_b32 v1, v89
	s_wait_storecnt_dscnt 0x0
	s_barrier_signal -1
	s_barrier_wait -1
	s_wait_xcnt 0x0
	v_cmpx_gt_u32_e32 5, v0
	s_cbranch_execz .LBB51_548
; %bb.539:
	v_cmp_ne_u32_e32 vcc_lo, 1, v88
	s_cbranch_vccnz .LBB51_541
; %bb.540:
	scratch_load_b32 v89, v7, off
	ds_load_b32 v90, v1
	s_wait_loadcnt_dscnt 0x0
	v_mul_f32_e32 v89, v89, v90
	s_cbranch_execz .LBB51_542
	s_branch .LBB51_543
.LBB51_541:
                                        ; implicit-def: $vgpr89
.LBB51_542:
	ds_load_b32 v89, v1
.LBB51_543:
	s_mov_b32 s1, exec_lo
	v_cmpx_ne_u32_e32 4, v0
	s_cbranch_execz .LBB51_547
; %bb.544:
	v_add_nc_u32_e32 v90, 0xd4, v6
	v_add3_u32 v91, 0, v6, 4
	v_mov_b32_e32 v92, v0
	s_mov_b32 s2, 0
.LBB51_545:                             ; =>This Inner Loop Header: Depth=1
	scratch_load_b32 v93, v91, off
	ds_load_b32 v94, v90
	v_dual_add_nc_u32 v92, 1, v92 :: v_dual_add_nc_u32 v90, 4, v90
	s_wait_xcnt 0x0
	v_add_nc_u32_e32 v91, 4, v91
	s_delay_alu instid0(VALU_DEP_2)
	v_cmp_lt_u32_e32 vcc_lo, 3, v92
	s_or_b32 s2, vcc_lo, s2
	s_wait_loadcnt_dscnt 0x0
	v_fmac_f32_e32 v89, v93, v94
	s_and_not1_b32 exec_lo, exec_lo, s2
	s_cbranch_execnz .LBB51_545
; %bb.546:
	s_or_b32 exec_lo, exec_lo, s2
.LBB51_547:
	s_delay_alu instid0(SALU_CYCLE_1)
	s_or_b32 exec_lo, exec_lo, s1
	v_mov_b32_e32 v90, 0
	ds_load_b32 v90, v90 offset:20
	s_wait_dscnt 0x0
	v_mul_f32_e32 v89, v89, v90
	scratch_store_b32 off, v89, off offset:20
.LBB51_548:
	;; [unrolled: 59-line block ×46, first 2 shown]
	s_wait_xcnt 0x0
	s_or_b32 exec_lo, exec_lo, s0
	scratch_load_b32 v89, off, off offset:200
	v_cmp_gt_u32_e64 s0, 50, v0
	s_wait_loadcnt 0x0
	ds_store_b32 v1, v89
	s_wait_storecnt_dscnt 0x0
	s_barrier_signal -1
	s_barrier_wait -1
	s_wait_xcnt 0x0
	s_and_saveexec_b32 s1, s0
	s_cbranch_execz .LBB51_998
; %bb.989:
	v_cmp_ne_u32_e32 vcc_lo, 1, v88
	s_cbranch_vccnz .LBB51_991
; %bb.990:
	scratch_load_b32 v89, v7, off
	ds_load_b32 v90, v1
	s_wait_loadcnt_dscnt 0x0
	v_mul_f32_e32 v89, v89, v90
	s_cbranch_execz .LBB51_992
	s_branch .LBB51_993
.LBB51_991:
                                        ; implicit-def: $vgpr89
.LBB51_992:
	ds_load_b32 v89, v1
.LBB51_993:
	s_mov_b32 s2, exec_lo
	v_cmpx_ne_u32_e32 49, v0
	s_cbranch_execz .LBB51_997
; %bb.994:
	v_add_nc_u32_e32 v90, 0xd4, v6
	v_add3_u32 v91, 0, v6, 4
	v_mov_b32_e32 v92, v0
	s_mov_b32 s3, 0
.LBB51_995:                             ; =>This Inner Loop Header: Depth=1
	scratch_load_b32 v93, v91, off
	ds_load_b32 v94, v90
	v_dual_add_nc_u32 v92, 1, v92 :: v_dual_add_nc_u32 v90, 4, v90
	s_wait_xcnt 0x0
	v_add_nc_u32_e32 v91, 4, v91
	s_delay_alu instid0(VALU_DEP_2)
	v_cmp_lt_u32_e32 vcc_lo, 48, v92
	s_or_b32 s3, vcc_lo, s3
	s_wait_loadcnt_dscnt 0x0
	v_fmac_f32_e32 v89, v93, v94
	s_and_not1_b32 exec_lo, exec_lo, s3
	s_cbranch_execnz .LBB51_995
; %bb.996:
	s_or_b32 exec_lo, exec_lo, s3
.LBB51_997:
	s_delay_alu instid0(SALU_CYCLE_1)
	s_or_b32 exec_lo, exec_lo, s2
	v_mov_b32_e32 v90, 0
	ds_load_b32 v90, v90 offset:200
	s_wait_dscnt 0x0
	v_mul_f32_e32 v89, v89, v90
	scratch_store_b32 off, v89, off offset:200
.LBB51_998:
	s_wait_xcnt 0x0
	s_or_b32 exec_lo, exec_lo, s1
	scratch_load_b32 v89, off, off offset:204
	s_mov_b32 s1, exec_lo
	s_wait_loadcnt 0x0
	ds_store_b32 v1, v89
	s_wait_storecnt_dscnt 0x0
	s_barrier_signal -1
	s_barrier_wait -1
	s_wait_xcnt 0x0
	v_cmpx_ne_u32_e32 51, v0
	s_cbranch_execz .LBB51_1008
; %bb.999:
	v_cmp_ne_u32_e32 vcc_lo, 1, v88
	s_cbranch_vccnz .LBB51_1001
; %bb.1000:
	scratch_load_b32 v7, v7, off
	ds_load_b32 v88, v1
	s_wait_loadcnt_dscnt 0x0
	v_mul_f32_e32 v7, v7, v88
	s_cbranch_execz .LBB51_1002
	s_branch .LBB51_1003
.LBB51_1001:
                                        ; implicit-def: $vgpr7
.LBB51_1002:
	ds_load_b32 v7, v1
.LBB51_1003:
	s_and_saveexec_b32 s2, s0
	s_cbranch_execz .LBB51_1007
; %bb.1004:
	v_add_nc_u32_e32 v1, 0xd4, v6
	v_add3_u32 v6, 0, v6, 4
	s_mov_b32 s0, 0
.LBB51_1005:                            ; =>This Inner Loop Header: Depth=1
	scratch_load_b32 v88, v6, off
	ds_load_b32 v89, v1
	v_dual_add_nc_u32 v0, 1, v0 :: v_dual_add_nc_u32 v1, 4, v1
	s_wait_xcnt 0x0
	v_add_nc_u32_e32 v6, 4, v6
	s_delay_alu instid0(VALU_DEP_2)
	v_cmp_lt_u32_e32 vcc_lo, 49, v0
	s_or_b32 s0, vcc_lo, s0
	s_wait_loadcnt_dscnt 0x0
	v_fmac_f32_e32 v7, v88, v89
	s_and_not1_b32 exec_lo, exec_lo, s0
	s_cbranch_execnz .LBB51_1005
; %bb.1006:
	s_or_b32 exec_lo, exec_lo, s0
.LBB51_1007:
	s_delay_alu instid0(SALU_CYCLE_1)
	s_or_b32 exec_lo, exec_lo, s2
	v_mov_b32_e32 v0, 0
	ds_load_b32 v0, v0 offset:204
	s_wait_dscnt 0x0
	v_mul_f32_e32 v0, v7, v0
	scratch_store_b32 off, v0, off offset:204
.LBB51_1008:
	s_wait_xcnt 0x0
	s_or_b32 exec_lo, exec_lo, s1
.LBB51_1009:
	s_clause 0x4
	scratch_load_b128 v[88:91], off, off
	scratch_load_b128 v[92:95], off, off offset:16
	scratch_load_b128 v[96:99], off, off offset:32
	;; [unrolled: 1-line block ×4, first 2 shown]
	s_wait_loadcnt 0x4
	s_clause 0x1
	global_store_b32 v[2:3], v88, off
	global_store_b32 v[4:5], v89, off
	scratch_load_b128 v[0:3], off, off offset:80
	s_clause 0x1
	global_store_b32 v[124:125], v90, off
	global_store_b32 v[126:127], v91, off
	s_clause 0x1
	scratch_load_b128 v[4:7], off, off offset:96
	scratch_load_b128 v[88:91], off, off offset:112
	s_wait_loadcnt 0x6
	s_clause 0x1
	global_store_b32 v[120:121], v92, off
	global_store_b32 v[122:123], v93, off
	scratch_load_b128 v[120:123], off, off offset:128
	s_clause 0x1
	global_store_b32 v[116:117], v94, off
	global_store_b32 v[118:119], v95, off
	s_clause 0x1
	scratch_load_b128 v[92:95], off, off offset:144
	scratch_load_b128 v[116:119], off, off offset:160
	s_wait_loadcnt 0x8
	s_clause 0x1
	global_store_b32 v[112:113], v96, off
	global_store_b32 v[114:115], v97, off
	scratch_load_b128 v[112:115], off, off offset:176
	s_clause 0x1
	global_store_b32 v[108:109], v98, off
	global_store_b32 v[110:111], v99, off
	scratch_load_b128 v[96:99], off, off offset:192
	s_wait_loadcnt 0x9
	s_clause 0x3
	global_store_b32 v[8:9], v100, off
	global_store_b32 v[10:11], v101, off
	global_store_b32 v[12:13], v102, off
	global_store_b32 v[14:15], v103, off
	s_wait_loadcnt 0x8
	s_clause 0x3
	global_store_b32 v[16:17], v104, off
	global_store_b32 v[18:19], v105, off
	global_store_b32 v[20:21], v106, off
	global_store_b32 v[22:23], v107, off
	;; [unrolled: 6-line block ×10, first 2 shown]
.LBB51_1010:
	s_sendmsg sendmsg(MSG_DEALLOC_VGPRS)
	s_endpgm
	.section	.rodata,"a",@progbits
	.p2align	6, 0x0
	.amdhsa_kernel _ZN9rocsolver6v33100L18trti2_kernel_smallILi52EfPfEEv13rocblas_fill_17rocblas_diagonal_T1_iil
		.amdhsa_group_segment_fixed_size 416
		.amdhsa_private_segment_fixed_size 224
		.amdhsa_kernarg_size 32
		.amdhsa_user_sgpr_count 2
		.amdhsa_user_sgpr_dispatch_ptr 0
		.amdhsa_user_sgpr_queue_ptr 0
		.amdhsa_user_sgpr_kernarg_segment_ptr 1
		.amdhsa_user_sgpr_dispatch_id 0
		.amdhsa_user_sgpr_kernarg_preload_length 0
		.amdhsa_user_sgpr_kernarg_preload_offset 0
		.amdhsa_user_sgpr_private_segment_size 0
		.amdhsa_wavefront_size32 1
		.amdhsa_uses_dynamic_stack 0
		.amdhsa_enable_private_segment 1
		.amdhsa_system_sgpr_workgroup_id_x 1
		.amdhsa_system_sgpr_workgroup_id_y 0
		.amdhsa_system_sgpr_workgroup_id_z 0
		.amdhsa_system_sgpr_workgroup_info 0
		.amdhsa_system_vgpr_workitem_id 0
		.amdhsa_next_free_vgpr 128
		.amdhsa_next_free_sgpr 21
		.amdhsa_named_barrier_count 0
		.amdhsa_reserve_vcc 1
		.amdhsa_float_round_mode_32 0
		.amdhsa_float_round_mode_16_64 0
		.amdhsa_float_denorm_mode_32 3
		.amdhsa_float_denorm_mode_16_64 3
		.amdhsa_fp16_overflow 0
		.amdhsa_memory_ordered 1
		.amdhsa_forward_progress 1
		.amdhsa_inst_pref_size 226
		.amdhsa_round_robin_scheduling 0
		.amdhsa_exception_fp_ieee_invalid_op 0
		.amdhsa_exception_fp_denorm_src 0
		.amdhsa_exception_fp_ieee_div_zero 0
		.amdhsa_exception_fp_ieee_overflow 0
		.amdhsa_exception_fp_ieee_underflow 0
		.amdhsa_exception_fp_ieee_inexact 0
		.amdhsa_exception_int_div_zero 0
	.end_amdhsa_kernel
	.section	.text._ZN9rocsolver6v33100L18trti2_kernel_smallILi52EfPfEEv13rocblas_fill_17rocblas_diagonal_T1_iil,"axG",@progbits,_ZN9rocsolver6v33100L18trti2_kernel_smallILi52EfPfEEv13rocblas_fill_17rocblas_diagonal_T1_iil,comdat
.Lfunc_end51:
	.size	_ZN9rocsolver6v33100L18trti2_kernel_smallILi52EfPfEEv13rocblas_fill_17rocblas_diagonal_T1_iil, .Lfunc_end51-_ZN9rocsolver6v33100L18trti2_kernel_smallILi52EfPfEEv13rocblas_fill_17rocblas_diagonal_T1_iil
                                        ; -- End function
	.set _ZN9rocsolver6v33100L18trti2_kernel_smallILi52EfPfEEv13rocblas_fill_17rocblas_diagonal_T1_iil.num_vgpr, 128
	.set _ZN9rocsolver6v33100L18trti2_kernel_smallILi52EfPfEEv13rocblas_fill_17rocblas_diagonal_T1_iil.num_agpr, 0
	.set _ZN9rocsolver6v33100L18trti2_kernel_smallILi52EfPfEEv13rocblas_fill_17rocblas_diagonal_T1_iil.numbered_sgpr, 21
	.set _ZN9rocsolver6v33100L18trti2_kernel_smallILi52EfPfEEv13rocblas_fill_17rocblas_diagonal_T1_iil.num_named_barrier, 0
	.set _ZN9rocsolver6v33100L18trti2_kernel_smallILi52EfPfEEv13rocblas_fill_17rocblas_diagonal_T1_iil.private_seg_size, 224
	.set _ZN9rocsolver6v33100L18trti2_kernel_smallILi52EfPfEEv13rocblas_fill_17rocblas_diagonal_T1_iil.uses_vcc, 1
	.set _ZN9rocsolver6v33100L18trti2_kernel_smallILi52EfPfEEv13rocblas_fill_17rocblas_diagonal_T1_iil.uses_flat_scratch, 1
	.set _ZN9rocsolver6v33100L18trti2_kernel_smallILi52EfPfEEv13rocblas_fill_17rocblas_diagonal_T1_iil.has_dyn_sized_stack, 0
	.set _ZN9rocsolver6v33100L18trti2_kernel_smallILi52EfPfEEv13rocblas_fill_17rocblas_diagonal_T1_iil.has_recursion, 0
	.set _ZN9rocsolver6v33100L18trti2_kernel_smallILi52EfPfEEv13rocblas_fill_17rocblas_diagonal_T1_iil.has_indirect_call, 0
	.section	.AMDGPU.csdata,"",@progbits
; Kernel info:
; codeLenInByte = 28880
; TotalNumSgprs: 23
; NumVgprs: 128
; ScratchSize: 224
; MemoryBound: 0
; FloatMode: 240
; IeeeMode: 1
; LDSByteSize: 416 bytes/workgroup (compile time only)
; SGPRBlocks: 0
; VGPRBlocks: 7
; NumSGPRsForWavesPerEU: 23
; NumVGPRsForWavesPerEU: 128
; NamedBarCnt: 0
; Occupancy: 8
; WaveLimiterHint : 0
; COMPUTE_PGM_RSRC2:SCRATCH_EN: 1
; COMPUTE_PGM_RSRC2:USER_SGPR: 2
; COMPUTE_PGM_RSRC2:TRAP_HANDLER: 0
; COMPUTE_PGM_RSRC2:TGID_X_EN: 1
; COMPUTE_PGM_RSRC2:TGID_Y_EN: 0
; COMPUTE_PGM_RSRC2:TGID_Z_EN: 0
; COMPUTE_PGM_RSRC2:TIDIG_COMP_CNT: 0
	.section	.text._ZN9rocsolver6v33100L18trti2_kernel_smallILi53EfPfEEv13rocblas_fill_17rocblas_diagonal_T1_iil,"axG",@progbits,_ZN9rocsolver6v33100L18trti2_kernel_smallILi53EfPfEEv13rocblas_fill_17rocblas_diagonal_T1_iil,comdat
	.globl	_ZN9rocsolver6v33100L18trti2_kernel_smallILi53EfPfEEv13rocblas_fill_17rocblas_diagonal_T1_iil ; -- Begin function _ZN9rocsolver6v33100L18trti2_kernel_smallILi53EfPfEEv13rocblas_fill_17rocblas_diagonal_T1_iil
	.p2align	8
	.type	_ZN9rocsolver6v33100L18trti2_kernel_smallILi53EfPfEEv13rocblas_fill_17rocblas_diagonal_T1_iil,@function
_ZN9rocsolver6v33100L18trti2_kernel_smallILi53EfPfEEv13rocblas_fill_17rocblas_diagonal_T1_iil: ; @_ZN9rocsolver6v33100L18trti2_kernel_smallILi53EfPfEEv13rocblas_fill_17rocblas_diagonal_T1_iil
; %bb.0:
	s_mov_b32 s2, exec_lo
	v_cmpx_gt_u32_e32 53, v0
	s_cbranch_execz .LBB52_1030
; %bb.1:
	s_load_b256 s[4:11], s[0:1], 0x0
	s_wait_xcnt 0x0
	s_bfe_u32 s0, ttmp6, 0x4000c
	s_and_b32 s1, ttmp6, 15
	s_add_co_i32 s0, s0, 1
	s_getreg_b32 s2, hwreg(HW_REG_IB_STS2, 6, 4)
	s_mul_i32 s0, ttmp9, s0
	v_mov_b32_e32 v7, 0
	s_add_co_i32 s0, s1, s0
	v_lshlrev_b32_e32 v6, 2, v0
	s_wait_kmcnt 0x0
	v_add3_u32 v8, s9, s9, v0
	s_ashr_i32 s1, s8, 31
	s_cmp_eq_u32 s2, 0
	s_cselect_b32 s2, ttmp9, s0
	s_delay_alu instid0(VALU_DEP_1)
	v_add_nc_u32_e32 v10, s9, v8
	s_ashr_i32 s3, s2, 31
	s_mov_b32 s0, s8
	s_mul_u64 s[2:3], s[10:11], s[2:3]
	s_lshl_b64 s[0:1], s[0:1], 2
	v_add_nc_u32_e32 v12, s9, v10
	s_lshl_b64 s[2:3], s[2:3], 2
	s_delay_alu instid0(SALU_CYCLE_1) | instskip(NEXT) | instid1(VALU_DEP_1)
	s_add_nc_u64 s[2:3], s[6:7], s[2:3]
	v_add_nc_u32_e32 v14, s9, v12
	s_add_nc_u64 s[6:7], s[2:3], s[0:1]
	s_mov_b32 s0, s9
	s_ashr_i32 s1, s9, 31
	s_cmp_lg_u32 s5, 0x84
	v_dual_add_nc_u32 v16, s9, v14 :: v_dual_ashrrev_i32 v9, 31, v8
	v_ashrrev_i32_e32 v11, 31, v10
	s_cselect_b32 s3, -1, 0
	s_cmp_eq_u32 s5, 0x84
	s_delay_alu instid0(VALU_DEP_2) | instskip(SKIP_1) | instid1(VALU_DEP_2)
	v_dual_add_nc_u32 v18, s9, v16 :: v_dual_ashrrev_i32 v17, 31, v16
	v_add_nc_u64_e32 v[2:3], s[6:7], v[6:7]
	v_dual_add_nc_u32 v20, s9, v18 :: v_dual_ashrrev_i32 v13, 31, v12
	v_ashrrev_i32_e32 v15, 31, v14
	v_ashrrev_i32_e32 v19, 31, v18
	s_delay_alu instid0(VALU_DEP_4) | instskip(NEXT) | instid1(VALU_DEP_4)
	v_lshl_add_u64 v[4:5], s[0:1], 2, v[2:3]
	v_add_nc_u32_e32 v22, s9, v20
	s_clause 0x7
	global_load_b32 v84, v0, s[6:7] scale_offset
	global_load_b32 v85, v[4:5], off
	global_load_b32 v86, v8, s[6:7] scale_offset
	global_load_b32 v87, v10, s[6:7] scale_offset
	;; [unrolled: 1-line block ×6, first 2 shown]
	v_add_nc_u32_e32 v24, s9, v22
	s_delay_alu instid0(VALU_DEP_1) | instskip(NEXT) | instid1(VALU_DEP_1)
	v_add_nc_u32_e32 v26, s9, v24
	v_dual_add_nc_u32 v28, s9, v26 :: v_dual_ashrrev_i32 v21, 31, v20
	s_delay_alu instid0(VALU_DEP_1) | instskip(NEXT) | instid1(VALU_DEP_1)
	v_dual_ashrrev_i32 v23, 31, v22 :: v_dual_add_nc_u32 v30, s9, v28
	v_dual_ashrrev_i32 v29, 31, v28 :: v_dual_ashrrev_i32 v31, 31, v30
	v_add_nc_u32_e32 v32, s9, v30
	s_clause 0x3
	global_load_b32 v92, v20, s[6:7] scale_offset
	global_load_b32 v93, v22, s[6:7] scale_offset
	;; [unrolled: 1-line block ×4, first 2 shown]
	v_dual_ashrrev_i32 v25, 31, v24 :: v_dual_ashrrev_i32 v27, 31, v26
	v_add_nc_u32_e32 v34, s9, v32
	s_delay_alu instid0(VALU_DEP_1) | instskip(NEXT) | instid1(VALU_DEP_1)
	v_add_nc_u32_e32 v36, s9, v34
	v_add_nc_u32_e32 v38, s9, v36
	s_delay_alu instid0(VALU_DEP_1)
	v_add_nc_u32_e32 v40, s9, v38
	s_clause 0x3
	global_load_b32 v96, v28, s[6:7] scale_offset
	global_load_b32 v97, v30, s[6:7] scale_offset
	;; [unrolled: 1-line block ×4, first 2 shown]
	v_dual_ashrrev_i32 v33, 31, v32 :: v_dual_ashrrev_i32 v35, 31, v34
	v_dual_add_nc_u32 v42, s9, v40 :: v_dual_ashrrev_i32 v41, 31, v40
	s_delay_alu instid0(VALU_DEP_1) | instskip(SKIP_1) | instid1(VALU_DEP_2)
	v_dual_ashrrev_i32 v43, 31, v42 :: v_dual_add_nc_u32 v44, s9, v42
	v_dual_ashrrev_i32 v37, 31, v36 :: v_dual_ashrrev_i32 v39, 31, v38
	v_dual_add_nc_u32 v46, s9, v44 :: v_dual_ashrrev_i32 v45, 31, v44
	s_delay_alu instid0(VALU_DEP_1) | instskip(NEXT) | instid1(VALU_DEP_1)
	v_dual_ashrrev_i32 v47, 31, v46 :: v_dual_add_nc_u32 v48, s9, v46
	v_add_nc_u32_e32 v50, s9, v48
	s_delay_alu instid0(VALU_DEP_1) | instskip(NEXT) | instid1(VALU_DEP_1)
	v_add_nc_u32_e32 v52, s9, v50
	v_add_nc_u32_e32 v54, s9, v52
	s_delay_alu instid0(VALU_DEP_1)
	v_add_nc_u32_e32 v56, s9, v54
	s_clause 0x7
	global_load_b32 v100, v36, s[6:7] scale_offset
	global_load_b32 v101, v38, s[6:7] scale_offset
	;; [unrolled: 1-line block ×8, first 2 shown]
	v_dual_ashrrev_i32 v49, 31, v48 :: v_dual_ashrrev_i32 v51, 31, v50
	v_dual_add_nc_u32 v58, s9, v56 :: v_dual_ashrrev_i32 v57, 31, v56
	s_delay_alu instid0(VALU_DEP_1)
	v_dual_ashrrev_i32 v59, 31, v58 :: v_dual_add_nc_u32 v60, s9, v58
	s_clause 0x3
	global_load_b32 v108, v52, s[6:7] scale_offset
	global_load_b32 v109, v54, s[6:7] scale_offset
	;; [unrolled: 1-line block ×4, first 2 shown]
	v_dual_ashrrev_i32 v53, 31, v52 :: v_dual_ashrrev_i32 v55, 31, v54
	v_add_nc_u32_e32 v62, s9, v60
	s_delay_alu instid0(VALU_DEP_1) | instskip(NEXT) | instid1(VALU_DEP_1)
	v_add_nc_u32_e32 v64, s9, v62
	v_add_nc_u32_e32 v66, s9, v64
	s_delay_alu instid0(VALU_DEP_1) | instskip(NEXT) | instid1(VALU_DEP_1)
	v_dual_add_nc_u32 v68, s9, v66 :: v_dual_ashrrev_i32 v61, 31, v60
	v_dual_ashrrev_i32 v63, 31, v62 :: v_dual_add_nc_u32 v70, s9, v68
	s_delay_alu instid0(VALU_DEP_1)
	v_dual_ashrrev_i32 v69, 31, v68 :: v_dual_ashrrev_i32 v71, 31, v70
	v_add_nc_u32_e32 v72, s9, v70
	s_clause 0x3
	global_load_b32 v112, v60, s[6:7] scale_offset
	global_load_b32 v113, v62, s[6:7] scale_offset
	;; [unrolled: 1-line block ×4, first 2 shown]
	v_dual_ashrrev_i32 v65, 31, v64 :: v_dual_ashrrev_i32 v67, 31, v66
	v_add_nc_u32_e32 v74, s9, v72
	s_delay_alu instid0(VALU_DEP_1) | instskip(NEXT) | instid1(VALU_DEP_1)
	v_add_nc_u32_e32 v76, s9, v74
	v_add_nc_u32_e32 v78, s9, v76
	s_delay_alu instid0(VALU_DEP_1) | instskip(NEXT) | instid1(VALU_DEP_1)
	v_dual_add_nc_u32 v80, s9, v78 :: v_dual_ashrrev_i32 v73, 31, v72
	v_dual_ashrrev_i32 v75, 31, v74 :: v_dual_add_nc_u32 v82, s9, v80
	s_clause 0x7
	global_load_b32 v116, v68, s[6:7] scale_offset
	global_load_b32 v117, v70, s[6:7] scale_offset
	;; [unrolled: 1-line block ×8, first 2 shown]
	v_dual_ashrrev_i32 v81, 31, v80 :: v_dual_ashrrev_i32 v83, 31, v82
	s_wait_loadcnt 0x24
	scratch_store_b128 off, v[84:87], off
	s_wait_loadcnt 0x20
	scratch_store_b128 off, v[88:91], off offset:16
	s_wait_xcnt 0x1
	v_dual_add_nc_u32 v84, s9, v82 :: v_dual_ashrrev_i32 v77, 31, v76
	s_delay_alu instid0(VALU_DEP_1) | instskip(SKIP_1) | instid1(VALU_DEP_1)
	v_dual_ashrrev_i32 v79, 31, v78 :: v_dual_add_nc_u32 v86, s9, v84
	s_wait_xcnt 0x0
	v_add_nc_u32_e32 v88, s9, v86
	s_delay_alu instid0(VALU_DEP_1) | instskip(SKIP_4) | instid1(VALU_DEP_1)
	v_add_nc_u32_e32 v90, s9, v88
	s_wait_loadcnt 0x1c
	scratch_store_b128 off, v[92:95], off offset:32
	s_wait_xcnt 0x0
	v_dual_add_nc_u32 v92, s9, v90 :: v_dual_ashrrev_i32 v85, 31, v84
	v_dual_ashrrev_i32 v87, 31, v86 :: v_dual_add_nc_u32 v94, s9, v92
	s_delay_alu instid0(VALU_DEP_1) | instskip(SKIP_4) | instid1(VALU_DEP_1)
	v_dual_ashrrev_i32 v93, 31, v92 :: v_dual_ashrrev_i32 v95, 31, v94
	s_wait_loadcnt 0x18
	scratch_store_b128 off, v[96:99], off offset:48
	s_wait_xcnt 0x0
	v_dual_add_nc_u32 v96, s9, v94 :: v_dual_ashrrev_i32 v89, 31, v88
	v_dual_ashrrev_i32 v91, 31, v90 :: v_dual_add_nc_u32 v98, s9, v96
	s_wait_loadcnt 0x14
	scratch_store_b128 off, v[100:103], off offset:64
	s_wait_loadcnt 0x10
	scratch_store_b128 off, v[104:107], off offset:80
	;; [unrolled: 2-line block ×3, first 2 shown]
	s_wait_xcnt 0x0
	v_dual_add_nc_u32 v100, s9, v98 :: v_dual_mov_b32 v110, -1.0
	s_delay_alu instid0(VALU_DEP_1) | instskip(NEXT) | instid1(VALU_DEP_1)
	v_add_nc_u32_e32 v102, s9, v100
	v_add_nc_u32_e32 v104, s9, v102
	s_clause 0x7
	global_load_b32 v124, v84, s[6:7] scale_offset
	global_load_b32 v125, v86, s[6:7] scale_offset
	;; [unrolled: 1-line block ×8, first 2 shown]
	v_dual_ashrrev_i32 v97, 31, v96 :: v_dual_ashrrev_i32 v99, 31, v98
	v_dual_add_nc_u32 v106, s9, v104 :: v_dual_ashrrev_i32 v105, 31, v104
	s_delay_alu instid0(VALU_DEP_1) | instskip(SKIP_1) | instid1(VALU_DEP_2)
	v_dual_ashrrev_i32 v107, 31, v106 :: v_dual_add_nc_u32 v108, s9, v106
	v_dual_ashrrev_i32 v101, 31, v100 :: v_dual_ashrrev_i32 v103, 31, v102
	v_ashrrev_i32_e32 v109, 31, v108
	s_wait_loadcnt 0x10
	scratch_store_b128 off, v[112:115], off offset:112
	s_wait_loadcnt 0xc
	scratch_store_b128 off, v[116:119], off offset:128
	;; [unrolled: 2-line block ×3, first 2 shown]
	s_clause 0x4
	global_load_b32 v112, v100, s[6:7] scale_offset
	global_load_b32 v113, v102, s[6:7] scale_offset
	;; [unrolled: 1-line block ×5, first 2 shown]
	s_wait_loadcnt 0x9
	scratch_store_b128 off, v[124:127], off offset:160
	s_wait_loadcnt 0x5
	scratch_store_b128 off, v[128:131], off offset:176
	;; [unrolled: 2-line block ×3, first 2 shown]
	s_wait_loadcnt 0x0
	scratch_store_b32 off, v1, off offset:208
	s_cbranch_scc1 .LBB52_3
; %bb.2:
	scratch_load_b32 v1, v0, off scale_offset
	s_wait_loadcnt 0x0
	v_div_scale_f32 v7, null, v1, v1, 1.0
	s_delay_alu instid0(VALU_DEP_1) | instskip(SKIP_1) | instid1(TRANS32_DEP_1)
	v_rcp_f32_e32 v110, v7
	v_nop
	v_fma_f32 v111, -v7, v110, 1.0
	s_delay_alu instid0(VALU_DEP_1) | instskip(SKIP_1) | instid1(VALU_DEP_1)
	v_fmac_f32_e32 v110, v111, v110
	v_div_scale_f32 v111, vcc_lo, 1.0, v1, 1.0
	v_mul_f32_e32 v112, v111, v110
	s_delay_alu instid0(VALU_DEP_1) | instskip(NEXT) | instid1(VALU_DEP_1)
	v_fma_f32 v113, -v7, v112, v111
	v_fmac_f32_e32 v112, v113, v110
	s_delay_alu instid0(VALU_DEP_1) | instskip(NEXT) | instid1(VALU_DEP_1)
	v_fma_f32 v7, -v7, v112, v111
	v_div_fmas_f32 v7, v7, v110, v112
	s_delay_alu instid0(VALU_DEP_1) | instskip(NEXT) | instid1(VALU_DEP_1)
	v_div_fixup_f32 v1, v7, v1, 1.0
	v_xor_b32_e32 v110, 0x80000000, v1
	scratch_store_b32 v0, v1, off scale_offset
.LBB52_3:
	s_wait_xcnt 0x0
	v_add_nc_u32_e32 v1, 0xe0, v6
	v_mov_b32_e32 v7, v6
	s_cmp_eq_u32 s4, 0x79
	s_mov_b32 s1, -1
	ds_store_b32 v6, v110
	s_cbranch_scc1 .LBB52_517
; %bb.4:
	scratch_load_b32 v110, off, off offset:204
	v_cmp_eq_u32_e64 s0, 52, v0
	s_movk_i32 s1, 0x50
	s_movk_i32 s2, 0x60
	;; [unrolled: 1-line block ×8, first 2 shown]
	s_wait_loadcnt 0x0
	ds_store_b32 v1, v110
	s_wait_storecnt_dscnt 0x0
	s_barrier_signal -1
	s_barrier_wait -1
	s_wait_xcnt 0x0
	s_and_saveexec_b32 s4, s0
	s_cbranch_execz .LBB52_10
; %bb.5:
	s_and_b32 vcc_lo, exec_lo, s3
	s_cbranch_vccz .LBB52_7
; %bb.6:
	scratch_load_b32 v110, v7, off
	ds_load_b32 v111, v1
	s_wait_loadcnt_dscnt 0x0
	v_mul_f32_e32 v110, v110, v111
	s_cbranch_execz .LBB52_8
	s_branch .LBB52_9
.LBB52_7:
                                        ; implicit-def: $vgpr110
.LBB52_8:
	ds_load_b32 v110, v1
.LBB52_9:
	v_mov_b32_e32 v111, 0
	ds_load_b32 v111, v111 offset:204
	s_wait_dscnt 0x0
	v_mul_f32_e32 v110, v110, v111
	scratch_store_b32 off, v110, off offset:204
.LBB52_10:
	s_wait_xcnt 0x0
	s_or_b32 exec_lo, exec_lo, s4
	scratch_load_b32 v110, off, off offset:200
	s_mov_b32 s10, s1
	v_cmp_lt_u32_e64 s1, 50, v0
	s_mov_b32 s4, 16
	s_mov_b32 s5, 32
	;; [unrolled: 1-line block ×5, first 2 shown]
	s_wait_loadcnt 0x0
	ds_store_b32 v1, v110
	s_wait_storecnt_dscnt 0x0
	s_barrier_signal -1
	s_barrier_wait -1
	s_wait_xcnt 0x0
	s_and_saveexec_b32 s2, s1
	s_cbranch_execz .LBB52_16
; %bb.11:
	s_and_not1_b32 vcc_lo, exec_lo, s3
	s_cbranch_vccnz .LBB52_13
; %bb.12:
	scratch_load_b32 v110, v7, off
	ds_load_b32 v111, v1
	s_wait_loadcnt_dscnt 0x0
	v_mul_f32_e32 v110, v110, v111
	s_cbranch_execz .LBB52_14
	s_branch .LBB52_15
.LBB52_13:
                                        ; implicit-def: $vgpr110
.LBB52_14:
	ds_load_b32 v110, v1
.LBB52_15:
	scratch_load_b32 v111, off, off offset:204
	v_mov_b32_e32 v112, 0
	ds_load_2addr_b32 v[112:113], v112 offset0:50 offset1:107
	s_wait_loadcnt_dscnt 0x0
	v_fma_f32 v111, v111, v113, v110
	s_delay_alu instid0(VALU_DEP_1) | instskip(NEXT) | instid1(VALU_DEP_1)
	v_cndmask_b32_e64 v110, v110, v111, s0
	v_mul_f32_e32 v110, v110, v112
	scratch_store_b32 off, v110, off offset:200
.LBB52_16:
	s_wait_xcnt 0x0
	s_or_b32 exec_lo, exec_lo, s2
	scratch_load_b32 v110, off, off offset:196
	v_cmp_lt_u32_e64 s0, 49, v0
	s_wait_loadcnt 0x0
	ds_store_b32 v1, v110
	s_wait_storecnt_dscnt 0x0
	s_barrier_signal -1
	s_barrier_wait -1
	s_wait_xcnt 0x0
	s_and_saveexec_b32 s2, s0
	s_cbranch_execz .LBB52_26
; %bb.17:
	s_and_not1_b32 vcc_lo, exec_lo, s3
	s_cbranch_vccnz .LBB52_19
; %bb.18:
	scratch_load_b32 v110, v7, off
	ds_load_b32 v111, v1
	s_wait_loadcnt_dscnt 0x0
	v_mul_f32_e32 v110, v110, v111
	s_cbranch_execz .LBB52_20
	s_branch .LBB52_21
.LBB52_19:
                                        ; implicit-def: $vgpr110
.LBB52_20:
	ds_load_b32 v110, v1
.LBB52_21:
	s_and_saveexec_b32 s18, s1
	s_cbranch_execz .LBB52_25
; %bb.22:
	v_subrev_nc_u32_e32 v111, 50, v0
	s_movk_i32 s1, 0xc8
	s_movk_i32 s20, 0x1a8
	s_mov_b32 s19, 0
.LBB52_23:                              ; =>This Inner Loop Header: Depth=1
	scratch_load_b32 v112, off, s1
	v_dual_mov_b32 v113, s20 :: v_dual_add_nc_u32 v111, -1, v111
	s_add_co_i32 s20, s20, 4
	s_wait_xcnt 0x0
	s_add_co_i32 s1, s1, 4
	ds_load_b32 v113, v113
	v_cmp_eq_u32_e32 vcc_lo, 0, v111
	s_or_b32 s19, vcc_lo, s19
	s_wait_loadcnt_dscnt 0x0
	v_fmac_f32_e32 v110, v112, v113
	s_and_not1_b32 exec_lo, exec_lo, s19
	s_cbranch_execnz .LBB52_23
; %bb.24:
	s_or_b32 exec_lo, exec_lo, s19
.LBB52_25:
	s_delay_alu instid0(SALU_CYCLE_1)
	s_or_b32 exec_lo, exec_lo, s18
	v_mov_b32_e32 v111, 0
	ds_load_b32 v111, v111 offset:196
	s_wait_dscnt 0x0
	v_mul_f32_e32 v110, v110, v111
	scratch_store_b32 off, v110, off offset:196
.LBB52_26:
	s_wait_xcnt 0x0
	s_or_b32 exec_lo, exec_lo, s2
	scratch_load_b32 v110, off, off offset:192
	v_cmp_lt_u32_e64 s1, 48, v0
	s_wait_loadcnt 0x0
	ds_store_b32 v1, v110
	s_wait_storecnt_dscnt 0x0
	s_barrier_signal -1
	s_barrier_wait -1
	s_wait_xcnt 0x0
	s_and_saveexec_b32 s2, s1
	s_cbranch_execz .LBB52_36
; %bb.27:
	s_and_not1_b32 vcc_lo, exec_lo, s3
	s_cbranch_vccnz .LBB52_29
; %bb.28:
	scratch_load_b32 v110, v7, off
	ds_load_b32 v111, v1
	s_wait_loadcnt_dscnt 0x0
	v_mul_f32_e32 v110, v110, v111
	s_cbranch_execz .LBB52_30
	s_branch .LBB52_31
.LBB52_29:
                                        ; implicit-def: $vgpr110
.LBB52_30:
	ds_load_b32 v110, v1
.LBB52_31:
	s_and_saveexec_b32 s18, s0
	s_cbranch_execz .LBB52_35
; %bb.32:
	v_subrev_nc_u32_e32 v111, 49, v0
	s_movk_i32 s0, 0xc4
	s_movk_i32 s20, 0x1a4
	s_mov_b32 s19, 0
.LBB52_33:                              ; =>This Inner Loop Header: Depth=1
	scratch_load_b32 v112, off, s0
	v_dual_mov_b32 v113, s20 :: v_dual_add_nc_u32 v111, -1, v111
	s_add_co_i32 s20, s20, 4
	s_wait_xcnt 0x0
	s_add_co_i32 s0, s0, 4
	ds_load_b32 v113, v113
	v_cmp_eq_u32_e32 vcc_lo, 0, v111
	s_or_b32 s19, vcc_lo, s19
	s_wait_loadcnt_dscnt 0x0
	v_fmac_f32_e32 v110, v112, v113
	s_and_not1_b32 exec_lo, exec_lo, s19
	s_cbranch_execnz .LBB52_33
; %bb.34:
	s_or_b32 exec_lo, exec_lo, s19
.LBB52_35:
	s_delay_alu instid0(SALU_CYCLE_1)
	s_or_b32 exec_lo, exec_lo, s18
	v_mov_b32_e32 v111, 0
	ds_load_b32 v111, v111 offset:192
	s_wait_dscnt 0x0
	v_mul_f32_e32 v110, v110, v111
	scratch_store_b32 off, v110, off offset:192
.LBB52_36:
	s_wait_xcnt 0x0
	s_or_b32 exec_lo, exec_lo, s2
	scratch_load_b32 v110, off, off offset:188
	v_cmp_lt_u32_e64 s2, 47, v0
	s_wait_loadcnt 0x0
	ds_store_b32 v1, v110
	s_wait_storecnt_dscnt 0x0
	s_barrier_signal -1
	s_barrier_wait -1
	s_wait_xcnt 0x0
	s_and_saveexec_b32 s0, s2
	s_cbranch_execz .LBB52_46
; %bb.37:
	s_and_not1_b32 vcc_lo, exec_lo, s3
	s_cbranch_vccnz .LBB52_39
; %bb.38:
	scratch_load_b32 v110, v7, off
	ds_load_b32 v111, v1
	s_wait_loadcnt_dscnt 0x0
	v_mul_f32_e32 v110, v110, v111
	s_cbranch_execz .LBB52_40
	s_branch .LBB52_41
.LBB52_39:
                                        ; implicit-def: $vgpr110
.LBB52_40:
	ds_load_b32 v110, v1
.LBB52_41:
	s_and_saveexec_b32 s18, s1
	s_cbranch_execz .LBB52_45
; %bb.42:
	v_subrev_nc_u32_e32 v111, 48, v0
	s_movk_i32 s19, 0x1a0
	s_mov_b32 s1, 0
.LBB52_43:                              ; =>This Inner Loop Header: Depth=1
	scratch_load_b32 v112, off, s17
	v_dual_mov_b32 v113, s19 :: v_dual_add_nc_u32 v111, -1, v111
	s_add_co_i32 s19, s19, 4
	s_wait_xcnt 0x0
	s_add_co_i32 s17, s17, 4
	ds_load_b32 v113, v113
	v_cmp_eq_u32_e32 vcc_lo, 0, v111
	s_or_b32 s1, vcc_lo, s1
	s_wait_loadcnt_dscnt 0x0
	v_fmac_f32_e32 v110, v112, v113
	s_and_not1_b32 exec_lo, exec_lo, s1
	s_cbranch_execnz .LBB52_43
; %bb.44:
	s_or_b32 exec_lo, exec_lo, s1
.LBB52_45:
	s_delay_alu instid0(SALU_CYCLE_1)
	s_or_b32 exec_lo, exec_lo, s18
	v_mov_b32_e32 v111, 0
	ds_load_b32 v111, v111 offset:188
	s_wait_dscnt 0x0
	v_mul_f32_e32 v110, v110, v111
	scratch_store_b32 off, v110, off offset:188
.LBB52_46:
	s_wait_xcnt 0x0
	s_or_b32 exec_lo, exec_lo, s0
	scratch_load_b32 v110, off, off offset:184
	v_cmp_lt_u32_e64 s0, 46, v0
	s_wait_loadcnt 0x0
	ds_store_b32 v1, v110
	s_wait_storecnt_dscnt 0x0
	s_barrier_signal -1
	s_barrier_wait -1
	s_wait_xcnt 0x0
	s_and_saveexec_b32 s1, s0
	s_cbranch_execz .LBB52_56
; %bb.47:
	s_and_not1_b32 vcc_lo, exec_lo, s3
	s_cbranch_vccnz .LBB52_49
; %bb.48:
	scratch_load_b32 v110, v7, off
	ds_load_b32 v111, v1
	s_wait_loadcnt_dscnt 0x0
	v_mul_f32_e32 v110, v110, v111
	s_cbranch_execz .LBB52_50
	s_branch .LBB52_51
.LBB52_49:
                                        ; implicit-def: $vgpr110
.LBB52_50:
	ds_load_b32 v110, v1
.LBB52_51:
	s_and_saveexec_b32 s17, s2
	s_cbranch_execz .LBB52_55
; %bb.52:
	v_subrev_nc_u32_e32 v111, 47, v0
	s_movk_i32 s2, 0xbc
	s_movk_i32 s19, 0x19c
	s_mov_b32 s18, 0
.LBB52_53:                              ; =>This Inner Loop Header: Depth=1
	scratch_load_b32 v112, off, s2
	v_dual_mov_b32 v113, s19 :: v_dual_add_nc_u32 v111, -1, v111
	s_add_co_i32 s19, s19, 4
	s_wait_xcnt 0x0
	s_add_co_i32 s2, s2, 4
	ds_load_b32 v113, v113
	v_cmp_eq_u32_e32 vcc_lo, 0, v111
	s_or_b32 s18, vcc_lo, s18
	s_wait_loadcnt_dscnt 0x0
	v_fmac_f32_e32 v110, v112, v113
	s_and_not1_b32 exec_lo, exec_lo, s18
	s_cbranch_execnz .LBB52_53
; %bb.54:
	s_or_b32 exec_lo, exec_lo, s18
.LBB52_55:
	s_delay_alu instid0(SALU_CYCLE_1)
	s_or_b32 exec_lo, exec_lo, s17
	v_mov_b32_e32 v111, 0
	ds_load_b32 v111, v111 offset:184
	s_wait_dscnt 0x0
	v_mul_f32_e32 v110, v110, v111
	scratch_store_b32 off, v110, off offset:184
.LBB52_56:
	s_wait_xcnt 0x0
	s_or_b32 exec_lo, exec_lo, s1
	scratch_load_b32 v110, off, off offset:180
	v_cmp_lt_u32_e64 s1, 45, v0
	s_wait_loadcnt 0x0
	ds_store_b32 v1, v110
	s_wait_storecnt_dscnt 0x0
	s_barrier_signal -1
	s_barrier_wait -1
	s_wait_xcnt 0x0
	s_and_saveexec_b32 s2, s1
	s_cbranch_execz .LBB52_66
; %bb.57:
	s_and_not1_b32 vcc_lo, exec_lo, s3
	s_cbranch_vccnz .LBB52_59
; %bb.58:
	scratch_load_b32 v110, v7, off
	ds_load_b32 v111, v1
	s_wait_loadcnt_dscnt 0x0
	v_mul_f32_e32 v110, v110, v111
	s_cbranch_execz .LBB52_60
	s_branch .LBB52_61
.LBB52_59:
                                        ; implicit-def: $vgpr110
.LBB52_60:
	ds_load_b32 v110, v1
.LBB52_61:
	s_and_saveexec_b32 s17, s0
	s_cbranch_execz .LBB52_65
; %bb.62:
	v_subrev_nc_u32_e32 v111, 46, v0
	s_movk_i32 s0, 0xb8
	s_movk_i32 s19, 0x198
	s_mov_b32 s18, 0
.LBB52_63:                              ; =>This Inner Loop Header: Depth=1
	scratch_load_b32 v112, off, s0
	v_dual_mov_b32 v113, s19 :: v_dual_add_nc_u32 v111, -1, v111
	s_add_co_i32 s19, s19, 4
	s_wait_xcnt 0x0
	s_add_co_i32 s0, s0, 4
	ds_load_b32 v113, v113
	v_cmp_eq_u32_e32 vcc_lo, 0, v111
	s_or_b32 s18, vcc_lo, s18
	s_wait_loadcnt_dscnt 0x0
	v_fmac_f32_e32 v110, v112, v113
	s_and_not1_b32 exec_lo, exec_lo, s18
	s_cbranch_execnz .LBB52_63
; %bb.64:
	s_or_b32 exec_lo, exec_lo, s18
.LBB52_65:
	s_delay_alu instid0(SALU_CYCLE_1)
	s_or_b32 exec_lo, exec_lo, s17
	v_mov_b32_e32 v111, 0
	ds_load_b32 v111, v111 offset:180
	s_wait_dscnt 0x0
	v_mul_f32_e32 v110, v110, v111
	scratch_store_b32 off, v110, off offset:180
.LBB52_66:
	;; [unrolled: 58-line block ×3, first 2 shown]
	s_wait_xcnt 0x0
	s_or_b32 exec_lo, exec_lo, s2
	scratch_load_b32 v110, off, off offset:172
	v_cmp_lt_u32_e64 s1, 43, v0
	s_wait_loadcnt 0x0
	ds_store_b32 v1, v110
	s_wait_storecnt_dscnt 0x0
	s_barrier_signal -1
	s_barrier_wait -1
	s_wait_xcnt 0x0
	s_and_saveexec_b32 s2, s1
	s_cbranch_execz .LBB52_86
; %bb.77:
	s_and_not1_b32 vcc_lo, exec_lo, s3
	s_cbranch_vccnz .LBB52_79
; %bb.78:
	scratch_load_b32 v110, v7, off
	ds_load_b32 v111, v1
	s_wait_loadcnt_dscnt 0x0
	v_mul_f32_e32 v110, v110, v111
	s_cbranch_execz .LBB52_80
	s_branch .LBB52_81
.LBB52_79:
                                        ; implicit-def: $vgpr110
.LBB52_80:
	ds_load_b32 v110, v1
.LBB52_81:
	s_and_saveexec_b32 s17, s0
	s_cbranch_execz .LBB52_85
; %bb.82:
	v_subrev_nc_u32_e32 v111, 44, v0
	s_movk_i32 s18, 0x190
	s_mov_b32 s0, 0
.LBB52_83:                              ; =>This Inner Loop Header: Depth=1
	scratch_load_b32 v112, off, s16
	v_dual_mov_b32 v113, s18 :: v_dual_add_nc_u32 v111, -1, v111
	s_add_co_i32 s18, s18, 4
	s_wait_xcnt 0x0
	s_add_co_i32 s16, s16, 4
	ds_load_b32 v113, v113
	v_cmp_eq_u32_e32 vcc_lo, 0, v111
	s_or_b32 s0, vcc_lo, s0
	s_wait_loadcnt_dscnt 0x0
	v_fmac_f32_e32 v110, v112, v113
	s_and_not1_b32 exec_lo, exec_lo, s0
	s_cbranch_execnz .LBB52_83
; %bb.84:
	s_or_b32 exec_lo, exec_lo, s0
.LBB52_85:
	s_delay_alu instid0(SALU_CYCLE_1)
	s_or_b32 exec_lo, exec_lo, s17
	v_mov_b32_e32 v111, 0
	ds_load_b32 v111, v111 offset:172
	s_wait_dscnt 0x0
	v_mul_f32_e32 v110, v110, v111
	scratch_store_b32 off, v110, off offset:172
.LBB52_86:
	s_wait_xcnt 0x0
	s_or_b32 exec_lo, exec_lo, s2
	scratch_load_b32 v110, off, off offset:168
	v_cmp_lt_u32_e64 s0, 42, v0
	s_wait_loadcnt 0x0
	ds_store_b32 v1, v110
	s_wait_storecnt_dscnt 0x0
	s_barrier_signal -1
	s_barrier_wait -1
	s_wait_xcnt 0x0
	s_and_saveexec_b32 s2, s0
	s_cbranch_execz .LBB52_96
; %bb.87:
	s_and_not1_b32 vcc_lo, exec_lo, s3
	s_cbranch_vccnz .LBB52_89
; %bb.88:
	scratch_load_b32 v110, v7, off
	ds_load_b32 v111, v1
	s_wait_loadcnt_dscnt 0x0
	v_mul_f32_e32 v110, v110, v111
	s_cbranch_execz .LBB52_90
	s_branch .LBB52_91
.LBB52_89:
                                        ; implicit-def: $vgpr110
.LBB52_90:
	ds_load_b32 v110, v1
.LBB52_91:
	s_and_saveexec_b32 s16, s1
	s_cbranch_execz .LBB52_95
; %bb.92:
	v_subrev_nc_u32_e32 v111, 43, v0
	s_movk_i32 s1, 0xac
	s_movk_i32 s18, 0x18c
	s_mov_b32 s17, 0
.LBB52_93:                              ; =>This Inner Loop Header: Depth=1
	scratch_load_b32 v112, off, s1
	v_dual_mov_b32 v113, s18 :: v_dual_add_nc_u32 v111, -1, v111
	s_add_co_i32 s18, s18, 4
	s_wait_xcnt 0x0
	s_add_co_i32 s1, s1, 4
	ds_load_b32 v113, v113
	v_cmp_eq_u32_e32 vcc_lo, 0, v111
	s_or_b32 s17, vcc_lo, s17
	s_wait_loadcnt_dscnt 0x0
	v_fmac_f32_e32 v110, v112, v113
	s_and_not1_b32 exec_lo, exec_lo, s17
	s_cbranch_execnz .LBB52_93
; %bb.94:
	s_or_b32 exec_lo, exec_lo, s17
.LBB52_95:
	s_delay_alu instid0(SALU_CYCLE_1)
	s_or_b32 exec_lo, exec_lo, s16
	v_mov_b32_e32 v111, 0
	ds_load_b32 v111, v111 offset:168
	s_wait_dscnt 0x0
	v_mul_f32_e32 v110, v110, v111
	scratch_store_b32 off, v110, off offset:168
.LBB52_96:
	s_wait_xcnt 0x0
	s_or_b32 exec_lo, exec_lo, s2
	scratch_load_b32 v110, off, off offset:164
	v_cmp_lt_u32_e64 s1, 41, v0
	s_wait_loadcnt 0x0
	ds_store_b32 v1, v110
	s_wait_storecnt_dscnt 0x0
	s_barrier_signal -1
	s_barrier_wait -1
	s_wait_xcnt 0x0
	s_and_saveexec_b32 s2, s1
	s_cbranch_execz .LBB52_106
; %bb.97:
	s_and_not1_b32 vcc_lo, exec_lo, s3
	s_cbranch_vccnz .LBB52_99
; %bb.98:
	scratch_load_b32 v110, v7, off
	ds_load_b32 v111, v1
	s_wait_loadcnt_dscnt 0x0
	v_mul_f32_e32 v110, v110, v111
	s_cbranch_execz .LBB52_100
	s_branch .LBB52_101
.LBB52_99:
                                        ; implicit-def: $vgpr110
.LBB52_100:
	ds_load_b32 v110, v1
.LBB52_101:
	s_and_saveexec_b32 s16, s0
	s_cbranch_execz .LBB52_105
; %bb.102:
	v_subrev_nc_u32_e32 v111, 42, v0
	s_movk_i32 s0, 0xa8
	s_movk_i32 s18, 0x188
	s_mov_b32 s17, 0
.LBB52_103:                             ; =>This Inner Loop Header: Depth=1
	scratch_load_b32 v112, off, s0
	v_dual_mov_b32 v113, s18 :: v_dual_add_nc_u32 v111, -1, v111
	s_add_co_i32 s18, s18, 4
	s_wait_xcnt 0x0
	s_add_co_i32 s0, s0, 4
	ds_load_b32 v113, v113
	v_cmp_eq_u32_e32 vcc_lo, 0, v111
	s_or_b32 s17, vcc_lo, s17
	s_wait_loadcnt_dscnt 0x0
	v_fmac_f32_e32 v110, v112, v113
	s_and_not1_b32 exec_lo, exec_lo, s17
	s_cbranch_execnz .LBB52_103
; %bb.104:
	s_or_b32 exec_lo, exec_lo, s17
.LBB52_105:
	s_delay_alu instid0(SALU_CYCLE_1)
	s_or_b32 exec_lo, exec_lo, s16
	v_mov_b32_e32 v111, 0
	ds_load_b32 v111, v111 offset:164
	s_wait_dscnt 0x0
	v_mul_f32_e32 v110, v110, v111
	scratch_store_b32 off, v110, off offset:164
.LBB52_106:
	s_wait_xcnt 0x0
	s_or_b32 exec_lo, exec_lo, s2
	scratch_load_b32 v110, off, off offset:160
	v_cmp_lt_u32_e64 s0, 40, v0
	s_wait_loadcnt 0x0
	ds_store_b32 v1, v110
	s_wait_storecnt_dscnt 0x0
	s_barrier_signal -1
	s_barrier_wait -1
	s_wait_xcnt 0x0
	s_and_saveexec_b32 s2, s0
	s_cbranch_execz .LBB52_116
; %bb.107:
	s_and_not1_b32 vcc_lo, exec_lo, s3
	s_cbranch_vccnz .LBB52_109
; %bb.108:
	scratch_load_b32 v110, v7, off
	ds_load_b32 v111, v1
	s_wait_loadcnt_dscnt 0x0
	v_mul_f32_e32 v110, v110, v111
	s_cbranch_execz .LBB52_110
	s_branch .LBB52_111
.LBB52_109:
                                        ; implicit-def: $vgpr110
.LBB52_110:
	ds_load_b32 v110, v1
.LBB52_111:
	s_and_saveexec_b32 s16, s1
	s_cbranch_execz .LBB52_115
; %bb.112:
	v_subrev_nc_u32_e32 v111, 41, v0
	s_movk_i32 s1, 0xa4
	s_movk_i32 s18, 0x184
	s_mov_b32 s17, 0
.LBB52_113:                             ; =>This Inner Loop Header: Depth=1
	scratch_load_b32 v112, off, s1
	v_dual_mov_b32 v113, s18 :: v_dual_add_nc_u32 v111, -1, v111
	s_add_co_i32 s18, s18, 4
	s_wait_xcnt 0x0
	s_add_co_i32 s1, s1, 4
	ds_load_b32 v113, v113
	v_cmp_eq_u32_e32 vcc_lo, 0, v111
	s_or_b32 s17, vcc_lo, s17
	s_wait_loadcnt_dscnt 0x0
	v_fmac_f32_e32 v110, v112, v113
	s_and_not1_b32 exec_lo, exec_lo, s17
	s_cbranch_execnz .LBB52_113
; %bb.114:
	s_or_b32 exec_lo, exec_lo, s17
.LBB52_115:
	s_delay_alu instid0(SALU_CYCLE_1)
	s_or_b32 exec_lo, exec_lo, s16
	v_mov_b32_e32 v111, 0
	ds_load_b32 v111, v111 offset:160
	s_wait_dscnt 0x0
	v_mul_f32_e32 v110, v110, v111
	scratch_store_b32 off, v110, off offset:160
.LBB52_116:
	s_wait_xcnt 0x0
	s_or_b32 exec_lo, exec_lo, s2
	scratch_load_b32 v110, off, off offset:156
	v_cmp_lt_u32_e64 s1, 39, v0
	s_wait_loadcnt 0x0
	ds_store_b32 v1, v110
	s_wait_storecnt_dscnt 0x0
	s_barrier_signal -1
	s_barrier_wait -1
	s_wait_xcnt 0x0
	s_and_saveexec_b32 s2, s1
	s_cbranch_execz .LBB52_126
; %bb.117:
	s_and_not1_b32 vcc_lo, exec_lo, s3
	s_cbranch_vccnz .LBB52_119
; %bb.118:
	scratch_load_b32 v110, v7, off
	ds_load_b32 v111, v1
	s_wait_loadcnt_dscnt 0x0
	v_mul_f32_e32 v110, v110, v111
	s_cbranch_execz .LBB52_120
	s_branch .LBB52_121
.LBB52_119:
                                        ; implicit-def: $vgpr110
.LBB52_120:
	ds_load_b32 v110, v1
.LBB52_121:
	s_and_saveexec_b32 s16, s0
	s_cbranch_execz .LBB52_125
; %bb.122:
	v_subrev_nc_u32_e32 v111, 40, v0
	s_movk_i32 s17, 0x180
	s_mov_b32 s0, 0
.LBB52_123:                             ; =>This Inner Loop Header: Depth=1
	scratch_load_b32 v112, off, s15
	v_dual_mov_b32 v113, s17 :: v_dual_add_nc_u32 v111, -1, v111
	s_add_co_i32 s17, s17, 4
	s_wait_xcnt 0x0
	s_add_co_i32 s15, s15, 4
	ds_load_b32 v113, v113
	v_cmp_eq_u32_e32 vcc_lo, 0, v111
	s_or_b32 s0, vcc_lo, s0
	s_wait_loadcnt_dscnt 0x0
	v_fmac_f32_e32 v110, v112, v113
	s_and_not1_b32 exec_lo, exec_lo, s0
	s_cbranch_execnz .LBB52_123
; %bb.124:
	s_or_b32 exec_lo, exec_lo, s0
.LBB52_125:
	s_delay_alu instid0(SALU_CYCLE_1)
	s_or_b32 exec_lo, exec_lo, s16
	v_mov_b32_e32 v111, 0
	ds_load_b32 v111, v111 offset:156
	s_wait_dscnt 0x0
	v_mul_f32_e32 v110, v110, v111
	scratch_store_b32 off, v110, off offset:156
.LBB52_126:
	s_wait_xcnt 0x0
	s_or_b32 exec_lo, exec_lo, s2
	scratch_load_b32 v110, off, off offset:152
	v_cmp_lt_u32_e64 s0, 38, v0
	s_wait_loadcnt 0x0
	ds_store_b32 v1, v110
	s_wait_storecnt_dscnt 0x0
	s_barrier_signal -1
	s_barrier_wait -1
	s_wait_xcnt 0x0
	s_and_saveexec_b32 s2, s0
	s_cbranch_execz .LBB52_136
; %bb.127:
	s_and_not1_b32 vcc_lo, exec_lo, s3
	s_cbranch_vccnz .LBB52_129
; %bb.128:
	scratch_load_b32 v110, v7, off
	ds_load_b32 v111, v1
	s_wait_loadcnt_dscnt 0x0
	v_mul_f32_e32 v110, v110, v111
	s_cbranch_execz .LBB52_130
	s_branch .LBB52_131
.LBB52_129:
                                        ; implicit-def: $vgpr110
.LBB52_130:
	ds_load_b32 v110, v1
.LBB52_131:
	s_and_saveexec_b32 s15, s1
	s_cbranch_execz .LBB52_135
; %bb.132:
	v_subrev_nc_u32_e32 v111, 39, v0
	s_movk_i32 s1, 0x9c
	s_movk_i32 s17, 0x17c
	s_mov_b32 s16, 0
.LBB52_133:                             ; =>This Inner Loop Header: Depth=1
	scratch_load_b32 v112, off, s1
	v_dual_mov_b32 v113, s17 :: v_dual_add_nc_u32 v111, -1, v111
	s_add_co_i32 s17, s17, 4
	s_wait_xcnt 0x0
	s_add_co_i32 s1, s1, 4
	ds_load_b32 v113, v113
	v_cmp_eq_u32_e32 vcc_lo, 0, v111
	s_or_b32 s16, vcc_lo, s16
	s_wait_loadcnt_dscnt 0x0
	v_fmac_f32_e32 v110, v112, v113
	s_and_not1_b32 exec_lo, exec_lo, s16
	s_cbranch_execnz .LBB52_133
; %bb.134:
	s_or_b32 exec_lo, exec_lo, s16
.LBB52_135:
	s_delay_alu instid0(SALU_CYCLE_1)
	s_or_b32 exec_lo, exec_lo, s15
	v_mov_b32_e32 v111, 0
	ds_load_b32 v111, v111 offset:152
	s_wait_dscnt 0x0
	v_mul_f32_e32 v110, v110, v111
	scratch_store_b32 off, v110, off offset:152
.LBB52_136:
	s_wait_xcnt 0x0
	s_or_b32 exec_lo, exec_lo, s2
	scratch_load_b32 v110, off, off offset:148
	v_cmp_lt_u32_e64 s1, 37, v0
	s_wait_loadcnt 0x0
	ds_store_b32 v1, v110
	s_wait_storecnt_dscnt 0x0
	s_barrier_signal -1
	s_barrier_wait -1
	s_wait_xcnt 0x0
	s_and_saveexec_b32 s2, s1
	s_cbranch_execz .LBB52_146
; %bb.137:
	s_and_not1_b32 vcc_lo, exec_lo, s3
	s_cbranch_vccnz .LBB52_139
; %bb.138:
	scratch_load_b32 v110, v7, off
	ds_load_b32 v111, v1
	s_wait_loadcnt_dscnt 0x0
	v_mul_f32_e32 v110, v110, v111
	s_cbranch_execz .LBB52_140
	s_branch .LBB52_141
.LBB52_139:
                                        ; implicit-def: $vgpr110
.LBB52_140:
	ds_load_b32 v110, v1
.LBB52_141:
	s_and_saveexec_b32 s15, s0
	s_cbranch_execz .LBB52_145
; %bb.142:
	v_subrev_nc_u32_e32 v111, 38, v0
	s_movk_i32 s0, 0x98
	s_movk_i32 s17, 0x178
	s_mov_b32 s16, 0
.LBB52_143:                             ; =>This Inner Loop Header: Depth=1
	scratch_load_b32 v112, off, s0
	v_dual_mov_b32 v113, s17 :: v_dual_add_nc_u32 v111, -1, v111
	s_add_co_i32 s17, s17, 4
	s_wait_xcnt 0x0
	s_add_co_i32 s0, s0, 4
	ds_load_b32 v113, v113
	v_cmp_eq_u32_e32 vcc_lo, 0, v111
	s_or_b32 s16, vcc_lo, s16
	s_wait_loadcnt_dscnt 0x0
	v_fmac_f32_e32 v110, v112, v113
	s_and_not1_b32 exec_lo, exec_lo, s16
	s_cbranch_execnz .LBB52_143
; %bb.144:
	s_or_b32 exec_lo, exec_lo, s16
.LBB52_145:
	s_delay_alu instid0(SALU_CYCLE_1)
	s_or_b32 exec_lo, exec_lo, s15
	v_mov_b32_e32 v111, 0
	ds_load_b32 v111, v111 offset:148
	s_wait_dscnt 0x0
	v_mul_f32_e32 v110, v110, v111
	scratch_store_b32 off, v110, off offset:148
.LBB52_146:
	s_wait_xcnt 0x0
	s_or_b32 exec_lo, exec_lo, s2
	scratch_load_b32 v110, off, off offset:144
	v_cmp_lt_u32_e64 s0, 36, v0
	s_wait_loadcnt 0x0
	ds_store_b32 v1, v110
	s_wait_storecnt_dscnt 0x0
	s_barrier_signal -1
	s_barrier_wait -1
	s_wait_xcnt 0x0
	s_and_saveexec_b32 s2, s0
	s_cbranch_execz .LBB52_156
; %bb.147:
	s_and_not1_b32 vcc_lo, exec_lo, s3
	s_cbranch_vccnz .LBB52_149
; %bb.148:
	scratch_load_b32 v110, v7, off
	ds_load_b32 v111, v1
	s_wait_loadcnt_dscnt 0x0
	v_mul_f32_e32 v110, v110, v111
	s_cbranch_execz .LBB52_150
	s_branch .LBB52_151
.LBB52_149:
                                        ; implicit-def: $vgpr110
.LBB52_150:
	ds_load_b32 v110, v1
.LBB52_151:
	s_and_saveexec_b32 s15, s1
	s_cbranch_execz .LBB52_155
; %bb.152:
	v_subrev_nc_u32_e32 v111, 37, v0
	s_movk_i32 s1, 0x94
	s_movk_i32 s17, 0x174
	s_mov_b32 s16, 0
.LBB52_153:                             ; =>This Inner Loop Header: Depth=1
	scratch_load_b32 v112, off, s1
	v_dual_mov_b32 v113, s17 :: v_dual_add_nc_u32 v111, -1, v111
	s_add_co_i32 s17, s17, 4
	s_wait_xcnt 0x0
	s_add_co_i32 s1, s1, 4
	ds_load_b32 v113, v113
	v_cmp_eq_u32_e32 vcc_lo, 0, v111
	s_or_b32 s16, vcc_lo, s16
	s_wait_loadcnt_dscnt 0x0
	v_fmac_f32_e32 v110, v112, v113
	s_and_not1_b32 exec_lo, exec_lo, s16
	s_cbranch_execnz .LBB52_153
; %bb.154:
	s_or_b32 exec_lo, exec_lo, s16
.LBB52_155:
	s_delay_alu instid0(SALU_CYCLE_1)
	s_or_b32 exec_lo, exec_lo, s15
	v_mov_b32_e32 v111, 0
	ds_load_b32 v111, v111 offset:144
	s_wait_dscnt 0x0
	v_mul_f32_e32 v110, v110, v111
	scratch_store_b32 off, v110, off offset:144
.LBB52_156:
	s_wait_xcnt 0x0
	s_or_b32 exec_lo, exec_lo, s2
	scratch_load_b32 v110, off, off offset:140
	v_cmp_lt_u32_e64 s1, 35, v0
	s_wait_loadcnt 0x0
	ds_store_b32 v1, v110
	s_wait_storecnt_dscnt 0x0
	s_barrier_signal -1
	s_barrier_wait -1
	s_wait_xcnt 0x0
	s_and_saveexec_b32 s2, s1
	s_cbranch_execz .LBB52_166
; %bb.157:
	s_and_not1_b32 vcc_lo, exec_lo, s3
	s_cbranch_vccnz .LBB52_159
; %bb.158:
	scratch_load_b32 v110, v7, off
	ds_load_b32 v111, v1
	s_wait_loadcnt_dscnt 0x0
	v_mul_f32_e32 v110, v110, v111
	s_cbranch_execz .LBB52_160
	s_branch .LBB52_161
.LBB52_159:
                                        ; implicit-def: $vgpr110
.LBB52_160:
	ds_load_b32 v110, v1
.LBB52_161:
	s_and_saveexec_b32 s15, s0
	s_cbranch_execz .LBB52_165
; %bb.162:
	v_subrev_nc_u32_e32 v111, 36, v0
	s_movk_i32 s16, 0x170
	s_mov_b32 s0, 0
.LBB52_163:                             ; =>This Inner Loop Header: Depth=1
	scratch_load_b32 v112, off, s14
	v_dual_mov_b32 v113, s16 :: v_dual_add_nc_u32 v111, -1, v111
	s_add_co_i32 s16, s16, 4
	s_wait_xcnt 0x0
	s_add_co_i32 s14, s14, 4
	ds_load_b32 v113, v113
	v_cmp_eq_u32_e32 vcc_lo, 0, v111
	s_or_b32 s0, vcc_lo, s0
	s_wait_loadcnt_dscnt 0x0
	v_fmac_f32_e32 v110, v112, v113
	s_and_not1_b32 exec_lo, exec_lo, s0
	s_cbranch_execnz .LBB52_163
; %bb.164:
	s_or_b32 exec_lo, exec_lo, s0
.LBB52_165:
	s_delay_alu instid0(SALU_CYCLE_1)
	s_or_b32 exec_lo, exec_lo, s15
	v_mov_b32_e32 v111, 0
	ds_load_b32 v111, v111 offset:140
	s_wait_dscnt 0x0
	v_mul_f32_e32 v110, v110, v111
	scratch_store_b32 off, v110, off offset:140
.LBB52_166:
	s_wait_xcnt 0x0
	s_or_b32 exec_lo, exec_lo, s2
	scratch_load_b32 v110, off, off offset:136
	v_cmp_lt_u32_e64 s0, 34, v0
	s_wait_loadcnt 0x0
	ds_store_b32 v1, v110
	s_wait_storecnt_dscnt 0x0
	s_barrier_signal -1
	s_barrier_wait -1
	s_wait_xcnt 0x0
	s_and_saveexec_b32 s2, s0
	s_cbranch_execz .LBB52_176
; %bb.167:
	s_and_not1_b32 vcc_lo, exec_lo, s3
	s_cbranch_vccnz .LBB52_169
; %bb.168:
	scratch_load_b32 v110, v7, off
	ds_load_b32 v111, v1
	s_wait_loadcnt_dscnt 0x0
	v_mul_f32_e32 v110, v110, v111
	s_cbranch_execz .LBB52_170
	s_branch .LBB52_171
.LBB52_169:
                                        ; implicit-def: $vgpr110
.LBB52_170:
	ds_load_b32 v110, v1
.LBB52_171:
	s_and_saveexec_b32 s14, s1
	s_cbranch_execz .LBB52_175
; %bb.172:
	v_subrev_nc_u32_e32 v111, 35, v0
	s_movk_i32 s1, 0x8c
	s_movk_i32 s16, 0x16c
	s_mov_b32 s15, 0
.LBB52_173:                             ; =>This Inner Loop Header: Depth=1
	scratch_load_b32 v112, off, s1
	v_dual_mov_b32 v113, s16 :: v_dual_add_nc_u32 v111, -1, v111
	s_add_co_i32 s16, s16, 4
	s_wait_xcnt 0x0
	s_add_co_i32 s1, s1, 4
	ds_load_b32 v113, v113
	v_cmp_eq_u32_e32 vcc_lo, 0, v111
	s_or_b32 s15, vcc_lo, s15
	s_wait_loadcnt_dscnt 0x0
	v_fmac_f32_e32 v110, v112, v113
	s_and_not1_b32 exec_lo, exec_lo, s15
	s_cbranch_execnz .LBB52_173
; %bb.174:
	s_or_b32 exec_lo, exec_lo, s15
.LBB52_175:
	s_delay_alu instid0(SALU_CYCLE_1)
	s_or_b32 exec_lo, exec_lo, s14
	v_mov_b32_e32 v111, 0
	ds_load_b32 v111, v111 offset:136
	s_wait_dscnt 0x0
	v_mul_f32_e32 v110, v110, v111
	scratch_store_b32 off, v110, off offset:136
.LBB52_176:
	s_wait_xcnt 0x0
	s_or_b32 exec_lo, exec_lo, s2
	scratch_load_b32 v110, off, off offset:132
	v_cmp_lt_u32_e64 s1, 33, v0
	s_wait_loadcnt 0x0
	ds_store_b32 v1, v110
	s_wait_storecnt_dscnt 0x0
	s_barrier_signal -1
	s_barrier_wait -1
	s_wait_xcnt 0x0
	s_and_saveexec_b32 s2, s1
	s_cbranch_execz .LBB52_186
; %bb.177:
	s_and_not1_b32 vcc_lo, exec_lo, s3
	s_cbranch_vccnz .LBB52_179
; %bb.178:
	scratch_load_b32 v110, v7, off
	ds_load_b32 v111, v1
	s_wait_loadcnt_dscnt 0x0
	v_mul_f32_e32 v110, v110, v111
	s_cbranch_execz .LBB52_180
	s_branch .LBB52_181
.LBB52_179:
                                        ; implicit-def: $vgpr110
.LBB52_180:
	ds_load_b32 v110, v1
.LBB52_181:
	s_and_saveexec_b32 s14, s0
	s_cbranch_execz .LBB52_185
; %bb.182:
	v_subrev_nc_u32_e32 v111, 34, v0
	s_movk_i32 s0, 0x88
	s_movk_i32 s16, 0x168
	s_mov_b32 s15, 0
.LBB52_183:                             ; =>This Inner Loop Header: Depth=1
	scratch_load_b32 v112, off, s0
	v_dual_mov_b32 v113, s16 :: v_dual_add_nc_u32 v111, -1, v111
	s_add_co_i32 s16, s16, 4
	s_wait_xcnt 0x0
	s_add_co_i32 s0, s0, 4
	ds_load_b32 v113, v113
	v_cmp_eq_u32_e32 vcc_lo, 0, v111
	s_or_b32 s15, vcc_lo, s15
	s_wait_loadcnt_dscnt 0x0
	v_fmac_f32_e32 v110, v112, v113
	s_and_not1_b32 exec_lo, exec_lo, s15
	s_cbranch_execnz .LBB52_183
; %bb.184:
	s_or_b32 exec_lo, exec_lo, s15
.LBB52_185:
	s_delay_alu instid0(SALU_CYCLE_1)
	s_or_b32 exec_lo, exec_lo, s14
	v_mov_b32_e32 v111, 0
	ds_load_b32 v111, v111 offset:132
	s_wait_dscnt 0x0
	v_mul_f32_e32 v110, v110, v111
	scratch_store_b32 off, v110, off offset:132
.LBB52_186:
	;; [unrolled: 58-line block ×3, first 2 shown]
	s_wait_xcnt 0x0
	s_or_b32 exec_lo, exec_lo, s2
	scratch_load_b32 v110, off, off offset:124
	v_cmp_lt_u32_e64 s1, 31, v0
	s_wait_loadcnt 0x0
	ds_store_b32 v1, v110
	s_wait_storecnt_dscnt 0x0
	s_barrier_signal -1
	s_barrier_wait -1
	s_wait_xcnt 0x0
	s_and_saveexec_b32 s2, s1
	s_cbranch_execz .LBB52_206
; %bb.197:
	s_and_not1_b32 vcc_lo, exec_lo, s3
	s_cbranch_vccnz .LBB52_199
; %bb.198:
	scratch_load_b32 v110, v7, off
	ds_load_b32 v111, v1
	s_wait_loadcnt_dscnt 0x0
	v_mul_f32_e32 v110, v110, v111
	s_cbranch_execz .LBB52_200
	s_branch .LBB52_201
.LBB52_199:
                                        ; implicit-def: $vgpr110
.LBB52_200:
	ds_load_b32 v110, v1
.LBB52_201:
	s_and_saveexec_b32 s14, s0
	s_cbranch_execz .LBB52_205
; %bb.202:
	v_subrev_nc_u32_e32 v111, 32, v0
	s_movk_i32 s15, 0x160
	s_mov_b32 s0, 0
.LBB52_203:                             ; =>This Inner Loop Header: Depth=1
	scratch_load_b32 v112, off, s13
	v_dual_mov_b32 v113, s15 :: v_dual_add_nc_u32 v111, -1, v111
	s_add_co_i32 s15, s15, 4
	s_wait_xcnt 0x0
	s_add_co_i32 s13, s13, 4
	ds_load_b32 v113, v113
	v_cmp_eq_u32_e32 vcc_lo, 0, v111
	s_or_b32 s0, vcc_lo, s0
	s_wait_loadcnt_dscnt 0x0
	v_fmac_f32_e32 v110, v112, v113
	s_and_not1_b32 exec_lo, exec_lo, s0
	s_cbranch_execnz .LBB52_203
; %bb.204:
	s_or_b32 exec_lo, exec_lo, s0
.LBB52_205:
	s_delay_alu instid0(SALU_CYCLE_1)
	s_or_b32 exec_lo, exec_lo, s14
	v_mov_b32_e32 v111, 0
	ds_load_b32 v111, v111 offset:124
	s_wait_dscnt 0x0
	v_mul_f32_e32 v110, v110, v111
	scratch_store_b32 off, v110, off offset:124
.LBB52_206:
	s_wait_xcnt 0x0
	s_or_b32 exec_lo, exec_lo, s2
	scratch_load_b32 v110, off, off offset:120
	v_cmp_lt_u32_e64 s0, 30, v0
	s_wait_loadcnt 0x0
	ds_store_b32 v1, v110
	s_wait_storecnt_dscnt 0x0
	s_barrier_signal -1
	s_barrier_wait -1
	s_wait_xcnt 0x0
	s_and_saveexec_b32 s2, s0
	s_cbranch_execz .LBB52_216
; %bb.207:
	s_and_not1_b32 vcc_lo, exec_lo, s3
	s_cbranch_vccnz .LBB52_209
; %bb.208:
	scratch_load_b32 v110, v7, off
	ds_load_b32 v111, v1
	s_wait_loadcnt_dscnt 0x0
	v_mul_f32_e32 v110, v110, v111
	s_cbranch_execz .LBB52_210
	s_branch .LBB52_211
.LBB52_209:
                                        ; implicit-def: $vgpr110
.LBB52_210:
	ds_load_b32 v110, v1
.LBB52_211:
	s_and_saveexec_b32 s13, s1
	s_cbranch_execz .LBB52_215
; %bb.212:
	v_subrev_nc_u32_e32 v111, 31, v0
	s_movk_i32 s1, 0x7c
	s_movk_i32 s15, 0x15c
	s_mov_b32 s14, 0
.LBB52_213:                             ; =>This Inner Loop Header: Depth=1
	scratch_load_b32 v112, off, s1
	v_dual_mov_b32 v113, s15 :: v_dual_add_nc_u32 v111, -1, v111
	s_add_co_i32 s15, s15, 4
	s_wait_xcnt 0x0
	s_add_co_i32 s1, s1, 4
	ds_load_b32 v113, v113
	v_cmp_eq_u32_e32 vcc_lo, 0, v111
	s_or_b32 s14, vcc_lo, s14
	s_wait_loadcnt_dscnt 0x0
	v_fmac_f32_e32 v110, v112, v113
	s_and_not1_b32 exec_lo, exec_lo, s14
	s_cbranch_execnz .LBB52_213
; %bb.214:
	s_or_b32 exec_lo, exec_lo, s14
.LBB52_215:
	s_delay_alu instid0(SALU_CYCLE_1)
	s_or_b32 exec_lo, exec_lo, s13
	v_mov_b32_e32 v111, 0
	ds_load_b32 v111, v111 offset:120
	s_wait_dscnt 0x0
	v_mul_f32_e32 v110, v110, v111
	scratch_store_b32 off, v110, off offset:120
.LBB52_216:
	s_wait_xcnt 0x0
	s_or_b32 exec_lo, exec_lo, s2
	scratch_load_b32 v110, off, off offset:116
	v_cmp_lt_u32_e64 s1, 29, v0
	s_wait_loadcnt 0x0
	ds_store_b32 v1, v110
	s_wait_storecnt_dscnt 0x0
	s_barrier_signal -1
	s_barrier_wait -1
	s_wait_xcnt 0x0
	s_and_saveexec_b32 s2, s1
	s_cbranch_execz .LBB52_226
; %bb.217:
	s_and_not1_b32 vcc_lo, exec_lo, s3
	s_cbranch_vccnz .LBB52_219
; %bb.218:
	scratch_load_b32 v110, v7, off
	ds_load_b32 v111, v1
	s_wait_loadcnt_dscnt 0x0
	v_mul_f32_e32 v110, v110, v111
	s_cbranch_execz .LBB52_220
	s_branch .LBB52_221
.LBB52_219:
                                        ; implicit-def: $vgpr110
.LBB52_220:
	ds_load_b32 v110, v1
.LBB52_221:
	s_and_saveexec_b32 s13, s0
	s_cbranch_execz .LBB52_225
; %bb.222:
	v_subrev_nc_u32_e32 v111, 30, v0
	s_movk_i32 s0, 0x78
	s_movk_i32 s15, 0x158
	s_mov_b32 s14, 0
.LBB52_223:                             ; =>This Inner Loop Header: Depth=1
	scratch_load_b32 v112, off, s0
	v_dual_mov_b32 v113, s15 :: v_dual_add_nc_u32 v111, -1, v111
	s_add_co_i32 s15, s15, 4
	s_wait_xcnt 0x0
	s_add_co_i32 s0, s0, 4
	ds_load_b32 v113, v113
	v_cmp_eq_u32_e32 vcc_lo, 0, v111
	s_or_b32 s14, vcc_lo, s14
	s_wait_loadcnt_dscnt 0x0
	v_fmac_f32_e32 v110, v112, v113
	s_and_not1_b32 exec_lo, exec_lo, s14
	s_cbranch_execnz .LBB52_223
; %bb.224:
	s_or_b32 exec_lo, exec_lo, s14
.LBB52_225:
	s_delay_alu instid0(SALU_CYCLE_1)
	s_or_b32 exec_lo, exec_lo, s13
	v_mov_b32_e32 v111, 0
	ds_load_b32 v111, v111 offset:116
	s_wait_dscnt 0x0
	v_mul_f32_e32 v110, v110, v111
	scratch_store_b32 off, v110, off offset:116
.LBB52_226:
	;; [unrolled: 58-line block ×3, first 2 shown]
	s_wait_xcnt 0x0
	s_or_b32 exec_lo, exec_lo, s2
	scratch_load_b32 v110, off, off offset:108
	v_cmp_lt_u32_e64 s1, 27, v0
	s_wait_loadcnt 0x0
	ds_store_b32 v1, v110
	s_wait_storecnt_dscnt 0x0
	s_barrier_signal -1
	s_barrier_wait -1
	s_wait_xcnt 0x0
	s_and_saveexec_b32 s2, s1
	s_cbranch_execz .LBB52_246
; %bb.237:
	s_and_not1_b32 vcc_lo, exec_lo, s3
	s_cbranch_vccnz .LBB52_239
; %bb.238:
	scratch_load_b32 v110, v7, off
	ds_load_b32 v111, v1
	s_wait_loadcnt_dscnt 0x0
	v_mul_f32_e32 v110, v110, v111
	s_cbranch_execz .LBB52_240
	s_branch .LBB52_241
.LBB52_239:
                                        ; implicit-def: $vgpr110
.LBB52_240:
	ds_load_b32 v110, v1
.LBB52_241:
	s_and_saveexec_b32 s13, s0
	s_cbranch_execz .LBB52_245
; %bb.242:
	v_subrev_nc_u32_e32 v111, 28, v0
	s_movk_i32 s14, 0x150
	s_mov_b32 s0, 0
.LBB52_243:                             ; =>This Inner Loop Header: Depth=1
	scratch_load_b32 v112, off, s12
	v_dual_mov_b32 v113, s14 :: v_dual_add_nc_u32 v111, -1, v111
	s_add_co_i32 s14, s14, 4
	s_wait_xcnt 0x0
	s_add_co_i32 s12, s12, 4
	ds_load_b32 v113, v113
	v_cmp_eq_u32_e32 vcc_lo, 0, v111
	s_or_b32 s0, vcc_lo, s0
	s_wait_loadcnt_dscnt 0x0
	v_fmac_f32_e32 v110, v112, v113
	s_and_not1_b32 exec_lo, exec_lo, s0
	s_cbranch_execnz .LBB52_243
; %bb.244:
	s_or_b32 exec_lo, exec_lo, s0
.LBB52_245:
	s_delay_alu instid0(SALU_CYCLE_1)
	s_or_b32 exec_lo, exec_lo, s13
	v_mov_b32_e32 v111, 0
	ds_load_b32 v111, v111 offset:108
	s_wait_dscnt 0x0
	v_mul_f32_e32 v110, v110, v111
	scratch_store_b32 off, v110, off offset:108
.LBB52_246:
	s_wait_xcnt 0x0
	s_or_b32 exec_lo, exec_lo, s2
	scratch_load_b32 v110, off, off offset:104
	v_cmp_lt_u32_e64 s0, 26, v0
	s_wait_loadcnt 0x0
	ds_store_b32 v1, v110
	s_wait_storecnt_dscnt 0x0
	s_barrier_signal -1
	s_barrier_wait -1
	s_wait_xcnt 0x0
	s_and_saveexec_b32 s2, s0
	s_cbranch_execz .LBB52_256
; %bb.247:
	s_and_not1_b32 vcc_lo, exec_lo, s3
	s_cbranch_vccnz .LBB52_249
; %bb.248:
	scratch_load_b32 v110, v7, off
	ds_load_b32 v111, v1
	s_wait_loadcnt_dscnt 0x0
	v_mul_f32_e32 v110, v110, v111
	s_cbranch_execz .LBB52_250
	s_branch .LBB52_251
.LBB52_249:
                                        ; implicit-def: $vgpr110
.LBB52_250:
	ds_load_b32 v110, v1
.LBB52_251:
	s_and_saveexec_b32 s12, s1
	s_cbranch_execz .LBB52_255
; %bb.252:
	v_subrev_nc_u32_e32 v111, 27, v0
	s_movk_i32 s1, 0x6c
	s_movk_i32 s14, 0x14c
	s_mov_b32 s13, 0
.LBB52_253:                             ; =>This Inner Loop Header: Depth=1
	scratch_load_b32 v112, off, s1
	v_dual_mov_b32 v113, s14 :: v_dual_add_nc_u32 v111, -1, v111
	s_add_co_i32 s14, s14, 4
	s_wait_xcnt 0x0
	s_add_co_i32 s1, s1, 4
	ds_load_b32 v113, v113
	v_cmp_eq_u32_e32 vcc_lo, 0, v111
	s_or_b32 s13, vcc_lo, s13
	s_wait_loadcnt_dscnt 0x0
	v_fmac_f32_e32 v110, v112, v113
	s_and_not1_b32 exec_lo, exec_lo, s13
	s_cbranch_execnz .LBB52_253
; %bb.254:
	s_or_b32 exec_lo, exec_lo, s13
.LBB52_255:
	s_delay_alu instid0(SALU_CYCLE_1)
	s_or_b32 exec_lo, exec_lo, s12
	v_mov_b32_e32 v111, 0
	ds_load_b32 v111, v111 offset:104
	s_wait_dscnt 0x0
	v_mul_f32_e32 v110, v110, v111
	scratch_store_b32 off, v110, off offset:104
.LBB52_256:
	s_wait_xcnt 0x0
	s_or_b32 exec_lo, exec_lo, s2
	scratch_load_b32 v110, off, off offset:100
	v_cmp_lt_u32_e64 s1, 25, v0
	s_wait_loadcnt 0x0
	ds_store_b32 v1, v110
	s_wait_storecnt_dscnt 0x0
	s_barrier_signal -1
	s_barrier_wait -1
	s_wait_xcnt 0x0
	s_and_saveexec_b32 s2, s1
	s_cbranch_execz .LBB52_266
; %bb.257:
	s_and_not1_b32 vcc_lo, exec_lo, s3
	s_cbranch_vccnz .LBB52_259
; %bb.258:
	scratch_load_b32 v110, v7, off
	ds_load_b32 v111, v1
	s_wait_loadcnt_dscnt 0x0
	v_mul_f32_e32 v110, v110, v111
	s_cbranch_execz .LBB52_260
	s_branch .LBB52_261
.LBB52_259:
                                        ; implicit-def: $vgpr110
.LBB52_260:
	ds_load_b32 v110, v1
.LBB52_261:
	s_and_saveexec_b32 s12, s0
	s_cbranch_execz .LBB52_265
; %bb.262:
	v_subrev_nc_u32_e32 v111, 26, v0
	s_movk_i32 s0, 0x68
	s_movk_i32 s14, 0x148
	s_mov_b32 s13, 0
.LBB52_263:                             ; =>This Inner Loop Header: Depth=1
	scratch_load_b32 v112, off, s0
	v_dual_mov_b32 v113, s14 :: v_dual_add_nc_u32 v111, -1, v111
	s_add_co_i32 s14, s14, 4
	s_wait_xcnt 0x0
	s_add_co_i32 s0, s0, 4
	ds_load_b32 v113, v113
	v_cmp_eq_u32_e32 vcc_lo, 0, v111
	s_or_b32 s13, vcc_lo, s13
	s_wait_loadcnt_dscnt 0x0
	v_fmac_f32_e32 v110, v112, v113
	s_and_not1_b32 exec_lo, exec_lo, s13
	s_cbranch_execnz .LBB52_263
; %bb.264:
	s_or_b32 exec_lo, exec_lo, s13
.LBB52_265:
	s_delay_alu instid0(SALU_CYCLE_1)
	s_or_b32 exec_lo, exec_lo, s12
	v_mov_b32_e32 v111, 0
	ds_load_b32 v111, v111 offset:100
	s_wait_dscnt 0x0
	v_mul_f32_e32 v110, v110, v111
	scratch_store_b32 off, v110, off offset:100
.LBB52_266:
	;; [unrolled: 58-line block ×3, first 2 shown]
	s_wait_xcnt 0x0
	s_or_b32 exec_lo, exec_lo, s2
	scratch_load_b32 v110, off, off offset:92
	v_cmp_lt_u32_e64 s1, 23, v0
	s_wait_loadcnt 0x0
	ds_store_b32 v1, v110
	s_wait_storecnt_dscnt 0x0
	s_barrier_signal -1
	s_barrier_wait -1
	s_wait_xcnt 0x0
	s_and_saveexec_b32 s2, s1
	s_cbranch_execz .LBB52_286
; %bb.277:
	s_and_not1_b32 vcc_lo, exec_lo, s3
	s_cbranch_vccnz .LBB52_279
; %bb.278:
	scratch_load_b32 v110, v7, off
	ds_load_b32 v111, v1
	s_wait_loadcnt_dscnt 0x0
	v_mul_f32_e32 v110, v110, v111
	s_cbranch_execz .LBB52_280
	s_branch .LBB52_281
.LBB52_279:
                                        ; implicit-def: $vgpr110
.LBB52_280:
	ds_load_b32 v110, v1
.LBB52_281:
	s_and_saveexec_b32 s12, s0
	s_cbranch_execz .LBB52_285
; %bb.282:
	v_subrev_nc_u32_e32 v111, 24, v0
	s_movk_i32 s13, 0x140
	s_mov_b32 s0, 0
.LBB52_283:                             ; =>This Inner Loop Header: Depth=1
	scratch_load_b32 v112, off, s11
	v_dual_mov_b32 v113, s13 :: v_dual_add_nc_u32 v111, -1, v111
	s_add_co_i32 s13, s13, 4
	s_wait_xcnt 0x0
	s_add_co_i32 s11, s11, 4
	ds_load_b32 v113, v113
	v_cmp_eq_u32_e32 vcc_lo, 0, v111
	s_or_b32 s0, vcc_lo, s0
	s_wait_loadcnt_dscnt 0x0
	v_fmac_f32_e32 v110, v112, v113
	s_and_not1_b32 exec_lo, exec_lo, s0
	s_cbranch_execnz .LBB52_283
; %bb.284:
	s_or_b32 exec_lo, exec_lo, s0
.LBB52_285:
	s_delay_alu instid0(SALU_CYCLE_1)
	s_or_b32 exec_lo, exec_lo, s12
	v_mov_b32_e32 v111, 0
	ds_load_b32 v111, v111 offset:92
	s_wait_dscnt 0x0
	v_mul_f32_e32 v110, v110, v111
	scratch_store_b32 off, v110, off offset:92
.LBB52_286:
	s_wait_xcnt 0x0
	s_or_b32 exec_lo, exec_lo, s2
	scratch_load_b32 v110, off, off offset:88
	v_cmp_lt_u32_e64 s0, 22, v0
	s_wait_loadcnt 0x0
	ds_store_b32 v1, v110
	s_wait_storecnt_dscnt 0x0
	s_barrier_signal -1
	s_barrier_wait -1
	s_wait_xcnt 0x0
	s_and_saveexec_b32 s2, s0
	s_cbranch_execz .LBB52_296
; %bb.287:
	s_and_not1_b32 vcc_lo, exec_lo, s3
	s_cbranch_vccnz .LBB52_289
; %bb.288:
	scratch_load_b32 v110, v7, off
	ds_load_b32 v111, v1
	s_wait_loadcnt_dscnt 0x0
	v_mul_f32_e32 v110, v110, v111
	s_cbranch_execz .LBB52_290
	s_branch .LBB52_291
.LBB52_289:
                                        ; implicit-def: $vgpr110
.LBB52_290:
	ds_load_b32 v110, v1
.LBB52_291:
	s_and_saveexec_b32 s11, s1
	s_cbranch_execz .LBB52_295
; %bb.292:
	v_subrev_nc_u32_e32 v111, 23, v0
	s_movk_i32 s1, 0x5c
	s_movk_i32 s13, 0x13c
	s_mov_b32 s12, 0
.LBB52_293:                             ; =>This Inner Loop Header: Depth=1
	scratch_load_b32 v112, off, s1
	v_dual_mov_b32 v113, s13 :: v_dual_add_nc_u32 v111, -1, v111
	s_add_co_i32 s13, s13, 4
	s_wait_xcnt 0x0
	s_add_co_i32 s1, s1, 4
	ds_load_b32 v113, v113
	v_cmp_eq_u32_e32 vcc_lo, 0, v111
	s_or_b32 s12, vcc_lo, s12
	s_wait_loadcnt_dscnt 0x0
	v_fmac_f32_e32 v110, v112, v113
	s_and_not1_b32 exec_lo, exec_lo, s12
	s_cbranch_execnz .LBB52_293
; %bb.294:
	s_or_b32 exec_lo, exec_lo, s12
.LBB52_295:
	s_delay_alu instid0(SALU_CYCLE_1)
	s_or_b32 exec_lo, exec_lo, s11
	v_mov_b32_e32 v111, 0
	ds_load_b32 v111, v111 offset:88
	s_wait_dscnt 0x0
	v_mul_f32_e32 v110, v110, v111
	scratch_store_b32 off, v110, off offset:88
.LBB52_296:
	s_wait_xcnt 0x0
	s_or_b32 exec_lo, exec_lo, s2
	scratch_load_b32 v110, off, off offset:84
	v_cmp_lt_u32_e64 s1, 21, v0
	s_wait_loadcnt 0x0
	ds_store_b32 v1, v110
	s_wait_storecnt_dscnt 0x0
	s_barrier_signal -1
	s_barrier_wait -1
	s_wait_xcnt 0x0
	s_and_saveexec_b32 s2, s1
	s_cbranch_execz .LBB52_306
; %bb.297:
	s_and_not1_b32 vcc_lo, exec_lo, s3
	s_cbranch_vccnz .LBB52_299
; %bb.298:
	scratch_load_b32 v110, v7, off
	ds_load_b32 v111, v1
	s_wait_loadcnt_dscnt 0x0
	v_mul_f32_e32 v110, v110, v111
	s_cbranch_execz .LBB52_300
	s_branch .LBB52_301
.LBB52_299:
                                        ; implicit-def: $vgpr110
.LBB52_300:
	ds_load_b32 v110, v1
.LBB52_301:
	s_and_saveexec_b32 s11, s0
	s_cbranch_execz .LBB52_305
; %bb.302:
	v_subrev_nc_u32_e32 v111, 22, v0
	s_movk_i32 s0, 0x58
	s_movk_i32 s13, 0x138
	s_mov_b32 s12, 0
.LBB52_303:                             ; =>This Inner Loop Header: Depth=1
	scratch_load_b32 v112, off, s0
	v_dual_mov_b32 v113, s13 :: v_dual_add_nc_u32 v111, -1, v111
	s_add_co_i32 s13, s13, 4
	s_wait_xcnt 0x0
	s_add_co_i32 s0, s0, 4
	ds_load_b32 v113, v113
	v_cmp_eq_u32_e32 vcc_lo, 0, v111
	s_or_b32 s12, vcc_lo, s12
	s_wait_loadcnt_dscnt 0x0
	v_fmac_f32_e32 v110, v112, v113
	s_and_not1_b32 exec_lo, exec_lo, s12
	s_cbranch_execnz .LBB52_303
; %bb.304:
	s_or_b32 exec_lo, exec_lo, s12
.LBB52_305:
	s_delay_alu instid0(SALU_CYCLE_1)
	s_or_b32 exec_lo, exec_lo, s11
	v_mov_b32_e32 v111, 0
	ds_load_b32 v111, v111 offset:84
	s_wait_dscnt 0x0
	v_mul_f32_e32 v110, v110, v111
	scratch_store_b32 off, v110, off offset:84
.LBB52_306:
	s_wait_xcnt 0x0
	s_or_b32 exec_lo, exec_lo, s2
	scratch_load_b32 v110, off, off offset:80
	v_cmp_lt_u32_e64 s0, 20, v0
	s_wait_loadcnt 0x0
	ds_store_b32 v1, v110
	s_wait_storecnt_dscnt 0x0
	s_barrier_signal -1
	s_barrier_wait -1
	s_wait_xcnt 0x0
	s_and_saveexec_b32 s2, s0
	s_cbranch_execz .LBB52_316
; %bb.307:
	s_and_not1_b32 vcc_lo, exec_lo, s3
	s_cbranch_vccnz .LBB52_309
; %bb.308:
	scratch_load_b32 v110, v7, off
	ds_load_b32 v111, v1
	s_wait_loadcnt_dscnt 0x0
	v_mul_f32_e32 v110, v110, v111
	s_cbranch_execz .LBB52_310
	s_branch .LBB52_311
.LBB52_309:
                                        ; implicit-def: $vgpr110
.LBB52_310:
	ds_load_b32 v110, v1
.LBB52_311:
	s_and_saveexec_b32 s11, s1
	s_cbranch_execz .LBB52_315
; %bb.312:
	v_subrev_nc_u32_e32 v111, 21, v0
	s_movk_i32 s1, 0x54
	s_movk_i32 s13, 0x134
	s_mov_b32 s12, 0
.LBB52_313:                             ; =>This Inner Loop Header: Depth=1
	scratch_load_b32 v112, off, s1
	v_dual_mov_b32 v113, s13 :: v_dual_add_nc_u32 v111, -1, v111
	s_add_co_i32 s13, s13, 4
	s_wait_xcnt 0x0
	s_add_co_i32 s1, s1, 4
	ds_load_b32 v113, v113
	v_cmp_eq_u32_e32 vcc_lo, 0, v111
	s_or_b32 s12, vcc_lo, s12
	s_wait_loadcnt_dscnt 0x0
	v_fmac_f32_e32 v110, v112, v113
	s_and_not1_b32 exec_lo, exec_lo, s12
	s_cbranch_execnz .LBB52_313
; %bb.314:
	s_or_b32 exec_lo, exec_lo, s12
.LBB52_315:
	s_delay_alu instid0(SALU_CYCLE_1)
	s_or_b32 exec_lo, exec_lo, s11
	v_mov_b32_e32 v111, 0
	ds_load_b32 v111, v111 offset:80
	s_wait_dscnt 0x0
	v_mul_f32_e32 v110, v110, v111
	scratch_store_b32 off, v110, off offset:80
.LBB52_316:
	s_wait_xcnt 0x0
	s_or_b32 exec_lo, exec_lo, s2
	scratch_load_b32 v110, off, off offset:76
	v_cmp_lt_u32_e64 s1, 19, v0
	s_wait_loadcnt 0x0
	ds_store_b32 v1, v110
	s_wait_storecnt_dscnt 0x0
	s_barrier_signal -1
	s_barrier_wait -1
	s_wait_xcnt 0x0
	s_and_saveexec_b32 s2, s1
	s_cbranch_execz .LBB52_326
; %bb.317:
	s_and_not1_b32 vcc_lo, exec_lo, s3
	s_cbranch_vccnz .LBB52_319
; %bb.318:
	scratch_load_b32 v110, v7, off
	ds_load_b32 v111, v1
	s_wait_loadcnt_dscnt 0x0
	v_mul_f32_e32 v110, v110, v111
	s_cbranch_execz .LBB52_320
	s_branch .LBB52_321
.LBB52_319:
                                        ; implicit-def: $vgpr110
.LBB52_320:
	ds_load_b32 v110, v1
.LBB52_321:
	s_and_saveexec_b32 s11, s0
	s_cbranch_execz .LBB52_325
; %bb.322:
	v_subrev_nc_u32_e32 v111, 20, v0
	s_movk_i32 s12, 0x130
	s_mov_b32 s0, 0
.LBB52_323:                             ; =>This Inner Loop Header: Depth=1
	scratch_load_b32 v112, off, s10
	v_dual_mov_b32 v113, s12 :: v_dual_add_nc_u32 v111, -1, v111
	s_add_co_i32 s12, s12, 4
	s_wait_xcnt 0x0
	s_add_co_i32 s10, s10, 4
	ds_load_b32 v113, v113
	v_cmp_eq_u32_e32 vcc_lo, 0, v111
	s_or_b32 s0, vcc_lo, s0
	s_wait_loadcnt_dscnt 0x0
	v_fmac_f32_e32 v110, v112, v113
	s_and_not1_b32 exec_lo, exec_lo, s0
	s_cbranch_execnz .LBB52_323
; %bb.324:
	s_or_b32 exec_lo, exec_lo, s0
.LBB52_325:
	s_delay_alu instid0(SALU_CYCLE_1)
	s_or_b32 exec_lo, exec_lo, s11
	v_mov_b32_e32 v111, 0
	ds_load_b32 v111, v111 offset:76
	s_wait_dscnt 0x0
	v_mul_f32_e32 v110, v110, v111
	scratch_store_b32 off, v110, off offset:76
.LBB52_326:
	s_wait_xcnt 0x0
	s_or_b32 exec_lo, exec_lo, s2
	scratch_load_b32 v110, off, off offset:72
	v_cmp_lt_u32_e64 s0, 18, v0
	s_wait_loadcnt 0x0
	ds_store_b32 v1, v110
	s_wait_storecnt_dscnt 0x0
	s_barrier_signal -1
	s_barrier_wait -1
	s_wait_xcnt 0x0
	s_and_saveexec_b32 s2, s0
	s_cbranch_execz .LBB52_336
; %bb.327:
	s_and_not1_b32 vcc_lo, exec_lo, s3
	s_cbranch_vccnz .LBB52_329
; %bb.328:
	scratch_load_b32 v110, v7, off
	ds_load_b32 v111, v1
	s_wait_loadcnt_dscnt 0x0
	v_mul_f32_e32 v110, v110, v111
	s_cbranch_execz .LBB52_330
	s_branch .LBB52_331
.LBB52_329:
                                        ; implicit-def: $vgpr110
.LBB52_330:
	ds_load_b32 v110, v1
.LBB52_331:
	s_and_saveexec_b32 s10, s1
	s_cbranch_execz .LBB52_335
; %bb.332:
	v_subrev_nc_u32_e32 v111, 19, v0
	s_movk_i32 s1, 0x4c
	s_movk_i32 s12, 0x12c
	s_mov_b32 s11, 0
.LBB52_333:                             ; =>This Inner Loop Header: Depth=1
	scratch_load_b32 v112, off, s1
	v_dual_mov_b32 v113, s12 :: v_dual_add_nc_u32 v111, -1, v111
	s_add_co_i32 s12, s12, 4
	s_wait_xcnt 0x0
	s_add_co_i32 s1, s1, 4
	ds_load_b32 v113, v113
	v_cmp_eq_u32_e32 vcc_lo, 0, v111
	s_or_b32 s11, vcc_lo, s11
	s_wait_loadcnt_dscnt 0x0
	v_fmac_f32_e32 v110, v112, v113
	s_and_not1_b32 exec_lo, exec_lo, s11
	s_cbranch_execnz .LBB52_333
; %bb.334:
	s_or_b32 exec_lo, exec_lo, s11
.LBB52_335:
	s_delay_alu instid0(SALU_CYCLE_1)
	s_or_b32 exec_lo, exec_lo, s10
	v_mov_b32_e32 v111, 0
	ds_load_b32 v111, v111 offset:72
	s_wait_dscnt 0x0
	v_mul_f32_e32 v110, v110, v111
	scratch_store_b32 off, v110, off offset:72
.LBB52_336:
	s_wait_xcnt 0x0
	s_or_b32 exec_lo, exec_lo, s2
	scratch_load_b32 v110, off, off offset:68
	v_cmp_lt_u32_e64 s1, 17, v0
	s_wait_loadcnt 0x0
	ds_store_b32 v1, v110
	s_wait_storecnt_dscnt 0x0
	s_barrier_signal -1
	s_barrier_wait -1
	s_wait_xcnt 0x0
	s_and_saveexec_b32 s2, s1
	s_cbranch_execz .LBB52_346
; %bb.337:
	s_and_not1_b32 vcc_lo, exec_lo, s3
	s_cbranch_vccnz .LBB52_339
; %bb.338:
	scratch_load_b32 v110, v7, off
	ds_load_b32 v111, v1
	s_wait_loadcnt_dscnt 0x0
	v_mul_f32_e32 v110, v110, v111
	s_cbranch_execz .LBB52_340
	s_branch .LBB52_341
.LBB52_339:
                                        ; implicit-def: $vgpr110
.LBB52_340:
	ds_load_b32 v110, v1
.LBB52_341:
	s_and_saveexec_b32 s10, s0
	s_cbranch_execz .LBB52_345
; %bb.342:
	v_subrev_nc_u32_e32 v111, 18, v0
	s_movk_i32 s0, 0x48
	s_movk_i32 s12, 0x128
	s_mov_b32 s11, 0
.LBB52_343:                             ; =>This Inner Loop Header: Depth=1
	scratch_load_b32 v112, off, s0
	v_dual_mov_b32 v113, s12 :: v_dual_add_nc_u32 v111, -1, v111
	s_add_co_i32 s12, s12, 4
	s_wait_xcnt 0x0
	s_add_co_i32 s0, s0, 4
	ds_load_b32 v113, v113
	v_cmp_eq_u32_e32 vcc_lo, 0, v111
	s_or_b32 s11, vcc_lo, s11
	s_wait_loadcnt_dscnt 0x0
	v_fmac_f32_e32 v110, v112, v113
	s_and_not1_b32 exec_lo, exec_lo, s11
	s_cbranch_execnz .LBB52_343
; %bb.344:
	s_or_b32 exec_lo, exec_lo, s11
.LBB52_345:
	s_delay_alu instid0(SALU_CYCLE_1)
	s_or_b32 exec_lo, exec_lo, s10
	v_mov_b32_e32 v111, 0
	ds_load_b32 v111, v111 offset:68
	s_wait_dscnt 0x0
	v_mul_f32_e32 v110, v110, v111
	scratch_store_b32 off, v110, off offset:68
.LBB52_346:
	;; [unrolled: 58-line block ×3, first 2 shown]
	s_wait_xcnt 0x0
	s_or_b32 exec_lo, exec_lo, s2
	scratch_load_b32 v110, off, off offset:60
	v_cmp_lt_u32_e64 s1, 15, v0
	s_wait_loadcnt 0x0
	ds_store_b32 v1, v110
	s_wait_storecnt_dscnt 0x0
	s_barrier_signal -1
	s_barrier_wait -1
	s_wait_xcnt 0x0
	s_and_saveexec_b32 s2, s1
	s_cbranch_execz .LBB52_366
; %bb.357:
	s_and_not1_b32 vcc_lo, exec_lo, s3
	s_cbranch_vccnz .LBB52_359
; %bb.358:
	scratch_load_b32 v110, v7, off
	ds_load_b32 v111, v1
	s_wait_loadcnt_dscnt 0x0
	v_mul_f32_e32 v110, v110, v111
	s_cbranch_execz .LBB52_360
	s_branch .LBB52_361
.LBB52_359:
                                        ; implicit-def: $vgpr110
.LBB52_360:
	ds_load_b32 v110, v1
.LBB52_361:
	s_and_saveexec_b32 s10, s0
	s_cbranch_execz .LBB52_365
; %bb.362:
	v_add_nc_u32_e32 v111, -16, v0
	s_movk_i32 s11, 0x120
	s_mov_b32 s0, 0
.LBB52_363:                             ; =>This Inner Loop Header: Depth=1
	scratch_load_b32 v112, off, s9
	v_dual_mov_b32 v113, s11 :: v_dual_add_nc_u32 v111, -1, v111
	s_add_co_i32 s11, s11, 4
	s_wait_xcnt 0x0
	s_add_co_i32 s9, s9, 4
	ds_load_b32 v113, v113
	v_cmp_eq_u32_e32 vcc_lo, 0, v111
	s_or_b32 s0, vcc_lo, s0
	s_wait_loadcnt_dscnt 0x0
	v_fmac_f32_e32 v110, v112, v113
	s_and_not1_b32 exec_lo, exec_lo, s0
	s_cbranch_execnz .LBB52_363
; %bb.364:
	s_or_b32 exec_lo, exec_lo, s0
.LBB52_365:
	s_delay_alu instid0(SALU_CYCLE_1)
	s_or_b32 exec_lo, exec_lo, s10
	v_mov_b32_e32 v111, 0
	ds_load_b32 v111, v111 offset:60
	s_wait_dscnt 0x0
	v_mul_f32_e32 v110, v110, v111
	scratch_store_b32 off, v110, off offset:60
.LBB52_366:
	s_wait_xcnt 0x0
	s_or_b32 exec_lo, exec_lo, s2
	scratch_load_b32 v110, off, off offset:56
	v_cmp_lt_u32_e64 s0, 14, v0
	s_wait_loadcnt 0x0
	ds_store_b32 v1, v110
	s_wait_storecnt_dscnt 0x0
	s_barrier_signal -1
	s_barrier_wait -1
	s_wait_xcnt 0x0
	s_and_saveexec_b32 s2, s0
	s_cbranch_execz .LBB52_376
; %bb.367:
	s_and_not1_b32 vcc_lo, exec_lo, s3
	s_cbranch_vccnz .LBB52_369
; %bb.368:
	scratch_load_b32 v110, v7, off
	ds_load_b32 v111, v1
	s_wait_loadcnt_dscnt 0x0
	v_mul_f32_e32 v110, v110, v111
	s_cbranch_execz .LBB52_370
	s_branch .LBB52_371
.LBB52_369:
                                        ; implicit-def: $vgpr110
.LBB52_370:
	ds_load_b32 v110, v1
.LBB52_371:
	s_and_saveexec_b32 s9, s1
	s_cbranch_execz .LBB52_375
; %bb.372:
	v_add_nc_u32_e32 v111, -15, v0
	s_mov_b32 s1, 60
	s_movk_i32 s11, 0x11c
	s_mov_b32 s10, 0
.LBB52_373:                             ; =>This Inner Loop Header: Depth=1
	scratch_load_b32 v112, off, s1
	v_dual_mov_b32 v113, s11 :: v_dual_add_nc_u32 v111, -1, v111
	s_add_co_i32 s11, s11, 4
	s_wait_xcnt 0x0
	s_add_co_i32 s1, s1, 4
	ds_load_b32 v113, v113
	v_cmp_eq_u32_e32 vcc_lo, 0, v111
	s_or_b32 s10, vcc_lo, s10
	s_wait_loadcnt_dscnt 0x0
	v_fmac_f32_e32 v110, v112, v113
	s_and_not1_b32 exec_lo, exec_lo, s10
	s_cbranch_execnz .LBB52_373
; %bb.374:
	s_or_b32 exec_lo, exec_lo, s10
.LBB52_375:
	s_delay_alu instid0(SALU_CYCLE_1)
	s_or_b32 exec_lo, exec_lo, s9
	v_mov_b32_e32 v111, 0
	ds_load_b32 v111, v111 offset:56
	s_wait_dscnt 0x0
	v_mul_f32_e32 v110, v110, v111
	scratch_store_b32 off, v110, off offset:56
.LBB52_376:
	s_wait_xcnt 0x0
	s_or_b32 exec_lo, exec_lo, s2
	scratch_load_b32 v110, off, off offset:52
	v_cmp_lt_u32_e64 s1, 13, v0
	s_wait_loadcnt 0x0
	ds_store_b32 v1, v110
	s_wait_storecnt_dscnt 0x0
	s_barrier_signal -1
	s_barrier_wait -1
	s_wait_xcnt 0x0
	s_and_saveexec_b32 s2, s1
	s_cbranch_execz .LBB52_386
; %bb.377:
	s_and_not1_b32 vcc_lo, exec_lo, s3
	s_cbranch_vccnz .LBB52_379
; %bb.378:
	scratch_load_b32 v110, v7, off
	ds_load_b32 v111, v1
	s_wait_loadcnt_dscnt 0x0
	v_mul_f32_e32 v110, v110, v111
	s_cbranch_execz .LBB52_380
	s_branch .LBB52_381
.LBB52_379:
                                        ; implicit-def: $vgpr110
.LBB52_380:
	ds_load_b32 v110, v1
.LBB52_381:
	s_and_saveexec_b32 s9, s0
	s_cbranch_execz .LBB52_385
; %bb.382:
	v_add_nc_u32_e32 v111, -14, v0
	s_mov_b32 s0, 56
	s_movk_i32 s11, 0x118
	s_mov_b32 s10, 0
.LBB52_383:                             ; =>This Inner Loop Header: Depth=1
	scratch_load_b32 v112, off, s0
	v_dual_mov_b32 v113, s11 :: v_dual_add_nc_u32 v111, -1, v111
	s_add_co_i32 s11, s11, 4
	s_wait_xcnt 0x0
	s_add_co_i32 s0, s0, 4
	ds_load_b32 v113, v113
	v_cmp_eq_u32_e32 vcc_lo, 0, v111
	s_or_b32 s10, vcc_lo, s10
	s_wait_loadcnt_dscnt 0x0
	v_fmac_f32_e32 v110, v112, v113
	s_and_not1_b32 exec_lo, exec_lo, s10
	s_cbranch_execnz .LBB52_383
; %bb.384:
	s_or_b32 exec_lo, exec_lo, s10
.LBB52_385:
	s_delay_alu instid0(SALU_CYCLE_1)
	s_or_b32 exec_lo, exec_lo, s9
	v_mov_b32_e32 v111, 0
	ds_load_b32 v111, v111 offset:52
	s_wait_dscnt 0x0
	v_mul_f32_e32 v110, v110, v111
	scratch_store_b32 off, v110, off offset:52
.LBB52_386:
	;; [unrolled: 58-line block ×3, first 2 shown]
	s_wait_xcnt 0x0
	s_or_b32 exec_lo, exec_lo, s2
	scratch_load_b32 v110, off, off offset:44
	v_cmp_lt_u32_e64 s1, 11, v0
	s_wait_loadcnt 0x0
	ds_store_b32 v1, v110
	s_wait_storecnt_dscnt 0x0
	s_barrier_signal -1
	s_barrier_wait -1
	s_wait_xcnt 0x0
	s_and_saveexec_b32 s2, s1
	s_cbranch_execz .LBB52_406
; %bb.397:
	s_and_not1_b32 vcc_lo, exec_lo, s3
	s_cbranch_vccnz .LBB52_399
; %bb.398:
	scratch_load_b32 v110, v7, off
	ds_load_b32 v111, v1
	s_wait_loadcnt_dscnt 0x0
	v_mul_f32_e32 v110, v110, v111
	s_cbranch_execz .LBB52_400
	s_branch .LBB52_401
.LBB52_399:
                                        ; implicit-def: $vgpr110
.LBB52_400:
	ds_load_b32 v110, v1
.LBB52_401:
	s_and_saveexec_b32 s9, s0
	s_cbranch_execz .LBB52_405
; %bb.402:
	v_add_nc_u32_e32 v111, -12, v0
	s_movk_i32 s10, 0x110
	s_mov_b32 s0, 0
.LBB52_403:                             ; =>This Inner Loop Header: Depth=1
	scratch_load_b32 v112, off, s8
	v_dual_mov_b32 v113, s10 :: v_dual_add_nc_u32 v111, -1, v111
	s_add_co_i32 s10, s10, 4
	s_wait_xcnt 0x0
	s_add_co_i32 s8, s8, 4
	ds_load_b32 v113, v113
	v_cmp_eq_u32_e32 vcc_lo, 0, v111
	s_or_b32 s0, vcc_lo, s0
	s_wait_loadcnt_dscnt 0x0
	v_fmac_f32_e32 v110, v112, v113
	s_and_not1_b32 exec_lo, exec_lo, s0
	s_cbranch_execnz .LBB52_403
; %bb.404:
	s_or_b32 exec_lo, exec_lo, s0
.LBB52_405:
	s_delay_alu instid0(SALU_CYCLE_1)
	s_or_b32 exec_lo, exec_lo, s9
	v_mov_b32_e32 v111, 0
	ds_load_b32 v111, v111 offset:44
	s_wait_dscnt 0x0
	v_mul_f32_e32 v110, v110, v111
	scratch_store_b32 off, v110, off offset:44
.LBB52_406:
	s_wait_xcnt 0x0
	s_or_b32 exec_lo, exec_lo, s2
	scratch_load_b32 v110, off, off offset:40
	v_cmp_lt_u32_e64 s0, 10, v0
	s_wait_loadcnt 0x0
	ds_store_b32 v1, v110
	s_wait_storecnt_dscnt 0x0
	s_barrier_signal -1
	s_barrier_wait -1
	s_wait_xcnt 0x0
	s_and_saveexec_b32 s2, s0
	s_cbranch_execz .LBB52_416
; %bb.407:
	s_and_not1_b32 vcc_lo, exec_lo, s3
	s_cbranch_vccnz .LBB52_409
; %bb.408:
	scratch_load_b32 v110, v7, off
	ds_load_b32 v111, v1
	s_wait_loadcnt_dscnt 0x0
	v_mul_f32_e32 v110, v110, v111
	s_cbranch_execz .LBB52_410
	s_branch .LBB52_411
.LBB52_409:
                                        ; implicit-def: $vgpr110
.LBB52_410:
	ds_load_b32 v110, v1
.LBB52_411:
	s_and_saveexec_b32 s8, s1
	s_cbranch_execz .LBB52_415
; %bb.412:
	v_add_nc_u32_e32 v111, -11, v0
	s_mov_b32 s1, 44
	s_movk_i32 s10, 0x10c
	s_mov_b32 s9, 0
.LBB52_413:                             ; =>This Inner Loop Header: Depth=1
	scratch_load_b32 v112, off, s1
	v_dual_mov_b32 v113, s10 :: v_dual_add_nc_u32 v111, -1, v111
	s_add_co_i32 s10, s10, 4
	s_wait_xcnt 0x0
	s_add_co_i32 s1, s1, 4
	ds_load_b32 v113, v113
	v_cmp_eq_u32_e32 vcc_lo, 0, v111
	s_or_b32 s9, vcc_lo, s9
	s_wait_loadcnt_dscnt 0x0
	v_fmac_f32_e32 v110, v112, v113
	s_and_not1_b32 exec_lo, exec_lo, s9
	s_cbranch_execnz .LBB52_413
; %bb.414:
	s_or_b32 exec_lo, exec_lo, s9
.LBB52_415:
	s_delay_alu instid0(SALU_CYCLE_1)
	s_or_b32 exec_lo, exec_lo, s8
	v_mov_b32_e32 v111, 0
	ds_load_b32 v111, v111 offset:40
	s_wait_dscnt 0x0
	v_mul_f32_e32 v110, v110, v111
	scratch_store_b32 off, v110, off offset:40
.LBB52_416:
	s_wait_xcnt 0x0
	s_or_b32 exec_lo, exec_lo, s2
	scratch_load_b32 v110, off, off offset:36
	v_cmp_lt_u32_e64 s1, 9, v0
	s_wait_loadcnt 0x0
	ds_store_b32 v1, v110
	s_wait_storecnt_dscnt 0x0
	s_barrier_signal -1
	s_barrier_wait -1
	s_wait_xcnt 0x0
	s_and_saveexec_b32 s2, s1
	s_cbranch_execz .LBB52_426
; %bb.417:
	s_and_not1_b32 vcc_lo, exec_lo, s3
	s_cbranch_vccnz .LBB52_419
; %bb.418:
	scratch_load_b32 v110, v7, off
	ds_load_b32 v111, v1
	s_wait_loadcnt_dscnt 0x0
	v_mul_f32_e32 v110, v110, v111
	s_cbranch_execz .LBB52_420
	s_branch .LBB52_421
.LBB52_419:
                                        ; implicit-def: $vgpr110
.LBB52_420:
	ds_load_b32 v110, v1
.LBB52_421:
	s_and_saveexec_b32 s8, s0
	s_cbranch_execz .LBB52_425
; %bb.422:
	v_add_nc_u32_e32 v111, -10, v0
	s_mov_b32 s0, 40
	s_movk_i32 s10, 0x108
	s_mov_b32 s9, 0
.LBB52_423:                             ; =>This Inner Loop Header: Depth=1
	scratch_load_b32 v112, off, s0
	v_dual_mov_b32 v113, s10 :: v_dual_add_nc_u32 v111, -1, v111
	s_add_co_i32 s10, s10, 4
	s_wait_xcnt 0x0
	s_add_co_i32 s0, s0, 4
	ds_load_b32 v113, v113
	v_cmp_eq_u32_e32 vcc_lo, 0, v111
	s_or_b32 s9, vcc_lo, s9
	s_wait_loadcnt_dscnt 0x0
	v_fmac_f32_e32 v110, v112, v113
	s_and_not1_b32 exec_lo, exec_lo, s9
	s_cbranch_execnz .LBB52_423
; %bb.424:
	s_or_b32 exec_lo, exec_lo, s9
.LBB52_425:
	s_delay_alu instid0(SALU_CYCLE_1)
	s_or_b32 exec_lo, exec_lo, s8
	v_mov_b32_e32 v111, 0
	ds_load_b32 v111, v111 offset:36
	s_wait_dscnt 0x0
	v_mul_f32_e32 v110, v110, v111
	scratch_store_b32 off, v110, off offset:36
.LBB52_426:
	;; [unrolled: 58-line block ×3, first 2 shown]
	s_wait_xcnt 0x0
	s_or_b32 exec_lo, exec_lo, s2
	scratch_load_b32 v110, off, off offset:28
	v_cmp_lt_u32_e64 s1, 7, v0
	s_wait_loadcnt 0x0
	ds_store_b32 v1, v110
	s_wait_storecnt_dscnt 0x0
	s_barrier_signal -1
	s_barrier_wait -1
	s_wait_xcnt 0x0
	s_and_saveexec_b32 s2, s1
	s_cbranch_execz .LBB52_446
; %bb.437:
	s_and_not1_b32 vcc_lo, exec_lo, s3
	s_cbranch_vccnz .LBB52_439
; %bb.438:
	scratch_load_b32 v110, v7, off
	ds_load_b32 v111, v1
	s_wait_loadcnt_dscnt 0x0
	v_mul_f32_e32 v110, v110, v111
	s_cbranch_execz .LBB52_440
	s_branch .LBB52_441
.LBB52_439:
                                        ; implicit-def: $vgpr110
.LBB52_440:
	ds_load_b32 v110, v1
.LBB52_441:
	s_and_saveexec_b32 s8, s0
	s_cbranch_execz .LBB52_445
; %bb.442:
	v_add_nc_u32_e32 v111, -8, v0
	s_movk_i32 s9, 0x100
	s_mov_b32 s0, 0
.LBB52_443:                             ; =>This Inner Loop Header: Depth=1
	scratch_load_b32 v112, off, s5
	v_dual_mov_b32 v113, s9 :: v_dual_add_nc_u32 v111, -1, v111
	s_add_co_i32 s9, s9, 4
	s_wait_xcnt 0x0
	s_add_co_i32 s5, s5, 4
	ds_load_b32 v113, v113
	v_cmp_eq_u32_e32 vcc_lo, 0, v111
	s_or_b32 s0, vcc_lo, s0
	s_wait_loadcnt_dscnt 0x0
	v_fmac_f32_e32 v110, v112, v113
	s_and_not1_b32 exec_lo, exec_lo, s0
	s_cbranch_execnz .LBB52_443
; %bb.444:
	s_or_b32 exec_lo, exec_lo, s0
.LBB52_445:
	s_delay_alu instid0(SALU_CYCLE_1)
	s_or_b32 exec_lo, exec_lo, s8
	v_mov_b32_e32 v111, 0
	ds_load_b32 v111, v111 offset:28
	s_wait_dscnt 0x0
	v_mul_f32_e32 v110, v110, v111
	scratch_store_b32 off, v110, off offset:28
.LBB52_446:
	s_wait_xcnt 0x0
	s_or_b32 exec_lo, exec_lo, s2
	scratch_load_b32 v110, off, off offset:24
	v_cmp_lt_u32_e64 s0, 6, v0
	s_wait_loadcnt 0x0
	ds_store_b32 v1, v110
	s_wait_storecnt_dscnt 0x0
	s_barrier_signal -1
	s_barrier_wait -1
	s_wait_xcnt 0x0
	s_and_saveexec_b32 s2, s0
	s_cbranch_execz .LBB52_456
; %bb.447:
	s_and_not1_b32 vcc_lo, exec_lo, s3
	s_cbranch_vccnz .LBB52_449
; %bb.448:
	scratch_load_b32 v110, v7, off
	ds_load_b32 v111, v1
	s_wait_loadcnt_dscnt 0x0
	v_mul_f32_e32 v110, v110, v111
	s_cbranch_execz .LBB52_450
	s_branch .LBB52_451
.LBB52_449:
                                        ; implicit-def: $vgpr110
.LBB52_450:
	ds_load_b32 v110, v1
.LBB52_451:
	s_and_saveexec_b32 s5, s1
	s_cbranch_execz .LBB52_455
; %bb.452:
	v_add_nc_u32_e32 v111, -7, v0
	s_mov_b32 s1, 28
	s_movk_i32 s9, 0xfc
	s_mov_b32 s8, 0
.LBB52_453:                             ; =>This Inner Loop Header: Depth=1
	scratch_load_b32 v112, off, s1
	v_dual_mov_b32 v113, s9 :: v_dual_add_nc_u32 v111, -1, v111
	s_add_co_i32 s9, s9, 4
	s_wait_xcnt 0x0
	s_add_co_i32 s1, s1, 4
	ds_load_b32 v113, v113
	v_cmp_eq_u32_e32 vcc_lo, 0, v111
	s_or_b32 s8, vcc_lo, s8
	s_wait_loadcnt_dscnt 0x0
	v_fmac_f32_e32 v110, v112, v113
	s_and_not1_b32 exec_lo, exec_lo, s8
	s_cbranch_execnz .LBB52_453
; %bb.454:
	s_or_b32 exec_lo, exec_lo, s8
.LBB52_455:
	s_delay_alu instid0(SALU_CYCLE_1)
	s_or_b32 exec_lo, exec_lo, s5
	v_mov_b32_e32 v111, 0
	ds_load_b32 v111, v111 offset:24
	s_wait_dscnt 0x0
	v_mul_f32_e32 v110, v110, v111
	scratch_store_b32 off, v110, off offset:24
.LBB52_456:
	s_wait_xcnt 0x0
	s_or_b32 exec_lo, exec_lo, s2
	scratch_load_b32 v110, off, off offset:20
	v_cmp_lt_u32_e64 s1, 5, v0
	s_wait_loadcnt 0x0
	ds_store_b32 v1, v110
	s_wait_storecnt_dscnt 0x0
	s_barrier_signal -1
	s_barrier_wait -1
	s_wait_xcnt 0x0
	s_and_saveexec_b32 s2, s1
	s_cbranch_execz .LBB52_466
; %bb.457:
	s_and_not1_b32 vcc_lo, exec_lo, s3
	s_cbranch_vccnz .LBB52_459
; %bb.458:
	scratch_load_b32 v110, v7, off
	ds_load_b32 v111, v1
	s_wait_loadcnt_dscnt 0x0
	v_mul_f32_e32 v110, v110, v111
	s_cbranch_execz .LBB52_460
	s_branch .LBB52_461
.LBB52_459:
                                        ; implicit-def: $vgpr110
.LBB52_460:
	ds_load_b32 v110, v1
.LBB52_461:
	s_and_saveexec_b32 s5, s0
	s_cbranch_execz .LBB52_465
; %bb.462:
	v_add_nc_u32_e32 v111, -6, v0
	s_mov_b32 s0, 24
	s_movk_i32 s9, 0xf8
	s_mov_b32 s8, 0
.LBB52_463:                             ; =>This Inner Loop Header: Depth=1
	scratch_load_b32 v112, off, s0
	v_dual_mov_b32 v113, s9 :: v_dual_add_nc_u32 v111, -1, v111
	s_add_co_i32 s9, s9, 4
	s_wait_xcnt 0x0
	s_add_co_i32 s0, s0, 4
	ds_load_b32 v113, v113
	v_cmp_eq_u32_e32 vcc_lo, 0, v111
	s_or_b32 s8, vcc_lo, s8
	s_wait_loadcnt_dscnt 0x0
	v_fmac_f32_e32 v110, v112, v113
	s_and_not1_b32 exec_lo, exec_lo, s8
	s_cbranch_execnz .LBB52_463
; %bb.464:
	s_or_b32 exec_lo, exec_lo, s8
.LBB52_465:
	s_delay_alu instid0(SALU_CYCLE_1)
	s_or_b32 exec_lo, exec_lo, s5
	v_mov_b32_e32 v111, 0
	ds_load_b32 v111, v111 offset:20
	s_wait_dscnt 0x0
	v_mul_f32_e32 v110, v110, v111
	scratch_store_b32 off, v110, off offset:20
.LBB52_466:
	;; [unrolled: 58-line block ×3, first 2 shown]
	s_wait_xcnt 0x0
	s_or_b32 exec_lo, exec_lo, s2
	scratch_load_b32 v110, off, off offset:12
	v_cmp_lt_u32_e64 s2, 3, v0
	s_wait_loadcnt 0x0
	ds_store_b32 v1, v110
	s_wait_storecnt_dscnt 0x0
	s_barrier_signal -1
	s_barrier_wait -1
	s_wait_xcnt 0x0
	s_and_saveexec_b32 s1, s2
	s_cbranch_execz .LBB52_486
; %bb.477:
	s_and_not1_b32 vcc_lo, exec_lo, s3
	s_cbranch_vccnz .LBB52_479
; %bb.478:
	scratch_load_b32 v110, v7, off
	ds_load_b32 v111, v1
	s_wait_loadcnt_dscnt 0x0
	v_mul_f32_e32 v110, v110, v111
	s_cbranch_execz .LBB52_480
	s_branch .LBB52_481
.LBB52_479:
                                        ; implicit-def: $vgpr110
.LBB52_480:
	ds_load_b32 v110, v1
.LBB52_481:
	s_and_saveexec_b32 s5, s0
	s_cbranch_execz .LBB52_485
; %bb.482:
	v_add_nc_u32_e32 v111, -4, v0
	s_movk_i32 s8, 0xf0
	s_mov_b32 s0, 0
.LBB52_483:                             ; =>This Inner Loop Header: Depth=1
	scratch_load_b32 v112, off, s4
	v_dual_mov_b32 v113, s8 :: v_dual_add_nc_u32 v111, -1, v111
	s_add_co_i32 s8, s8, 4
	s_wait_xcnt 0x0
	s_add_co_i32 s4, s4, 4
	ds_load_b32 v113, v113
	v_cmp_eq_u32_e32 vcc_lo, 0, v111
	s_or_b32 s0, vcc_lo, s0
	s_wait_loadcnt_dscnt 0x0
	v_fmac_f32_e32 v110, v112, v113
	s_and_not1_b32 exec_lo, exec_lo, s0
	s_cbranch_execnz .LBB52_483
; %bb.484:
	s_or_b32 exec_lo, exec_lo, s0
.LBB52_485:
	s_delay_alu instid0(SALU_CYCLE_1)
	s_or_b32 exec_lo, exec_lo, s5
	v_mov_b32_e32 v111, 0
	ds_load_b32 v111, v111 offset:12
	s_wait_dscnt 0x0
	v_mul_f32_e32 v110, v110, v111
	scratch_store_b32 off, v110, off offset:12
.LBB52_486:
	s_wait_xcnt 0x0
	s_or_b32 exec_lo, exec_lo, s1
	scratch_load_b32 v110, off, off offset:8
	v_cmp_lt_u32_e64 s1, 2, v0
	s_wait_loadcnt 0x0
	ds_store_b32 v1, v110
	s_wait_storecnt_dscnt 0x0
	s_barrier_signal -1
	s_barrier_wait -1
	s_wait_xcnt 0x0
	s_and_saveexec_b32 s0, s1
	s_cbranch_execz .LBB52_496
; %bb.487:
	s_and_not1_b32 vcc_lo, exec_lo, s3
	s_cbranch_vccnz .LBB52_489
; %bb.488:
	scratch_load_b32 v110, v7, off
	ds_load_b32 v111, v1
	s_wait_loadcnt_dscnt 0x0
	v_mul_f32_e32 v110, v110, v111
	s_cbranch_execz .LBB52_490
	s_branch .LBB52_491
.LBB52_489:
                                        ; implicit-def: $vgpr110
.LBB52_490:
	ds_load_b32 v110, v1
.LBB52_491:
	s_and_saveexec_b32 s4, s2
	s_cbranch_execz .LBB52_495
; %bb.492:
	v_add_nc_u32_e32 v111, -3, v0
	s_or_b32 s2, 0, 12
	s_movk_i32 s8, 0xec
	s_mov_b32 s5, 0
.LBB52_493:                             ; =>This Inner Loop Header: Depth=1
	scratch_load_b32 v112, off, s2
	v_dual_mov_b32 v113, s8 :: v_dual_add_nc_u32 v111, -1, v111
	s_add_co_i32 s8, s8, 4
	s_wait_xcnt 0x0
	s_add_co_i32 s2, s2, 4
	ds_load_b32 v113, v113
	v_cmp_eq_u32_e32 vcc_lo, 0, v111
	s_or_b32 s5, vcc_lo, s5
	s_wait_loadcnt_dscnt 0x0
	v_fmac_f32_e32 v110, v112, v113
	s_and_not1_b32 exec_lo, exec_lo, s5
	s_cbranch_execnz .LBB52_493
; %bb.494:
	s_or_b32 exec_lo, exec_lo, s5
.LBB52_495:
	s_delay_alu instid0(SALU_CYCLE_1)
	s_or_b32 exec_lo, exec_lo, s4
	v_mov_b32_e32 v111, 0
	ds_load_b32 v111, v111 offset:8
	s_wait_dscnt 0x0
	v_mul_f32_e32 v110, v110, v111
	scratch_store_b32 off, v110, off offset:8
.LBB52_496:
	s_wait_xcnt 0x0
	s_or_b32 exec_lo, exec_lo, s0
	scratch_load_b32 v110, off, off offset:4
	v_cmp_lt_u32_e64 s0, 1, v0
	s_wait_loadcnt 0x0
	ds_store_b32 v1, v110
	s_wait_storecnt_dscnt 0x0
	s_barrier_signal -1
	s_barrier_wait -1
	s_wait_xcnt 0x0
	s_and_saveexec_b32 s2, s0
	s_cbranch_execz .LBB52_506
; %bb.497:
	s_and_not1_b32 vcc_lo, exec_lo, s3
	s_cbranch_vccnz .LBB52_499
; %bb.498:
	scratch_load_b32 v110, v7, off
	ds_load_b32 v111, v1
	s_wait_loadcnt_dscnt 0x0
	v_mul_f32_e32 v110, v110, v111
	s_cbranch_execz .LBB52_500
	s_branch .LBB52_501
.LBB52_499:
                                        ; implicit-def: $vgpr110
.LBB52_500:
	ds_load_b32 v110, v1
.LBB52_501:
	s_and_saveexec_b32 s4, s1
	s_cbranch_execz .LBB52_505
; %bb.502:
	v_add_nc_u32_e32 v111, -2, v0
	s_or_b32 s1, 0, 8
	s_movk_i32 s8, 0xe8
	s_mov_b32 s5, 0
.LBB52_503:                             ; =>This Inner Loop Header: Depth=1
	scratch_load_b32 v112, off, s1
	v_dual_mov_b32 v113, s8 :: v_dual_add_nc_u32 v111, -1, v111
	s_add_co_i32 s8, s8, 4
	s_wait_xcnt 0x0
	s_add_co_i32 s1, s1, 4
	ds_load_b32 v113, v113
	v_cmp_eq_u32_e32 vcc_lo, 0, v111
	s_or_b32 s5, vcc_lo, s5
	s_wait_loadcnt_dscnt 0x0
	v_fmac_f32_e32 v110, v112, v113
	s_and_not1_b32 exec_lo, exec_lo, s5
	s_cbranch_execnz .LBB52_503
; %bb.504:
	s_or_b32 exec_lo, exec_lo, s5
.LBB52_505:
	s_delay_alu instid0(SALU_CYCLE_1)
	s_or_b32 exec_lo, exec_lo, s4
	v_mov_b32_e32 v111, 0
	ds_load_b32 v111, v111 offset:4
	s_wait_dscnt 0x0
	v_mul_f32_e32 v110, v110, v111
	scratch_store_b32 off, v110, off offset:4
.LBB52_506:
	s_wait_xcnt 0x0
	s_or_b32 exec_lo, exec_lo, s2
	scratch_load_b32 v110, off, off
	s_mov_b32 s1, 0
	s_mov_b32 s2, exec_lo
	s_wait_loadcnt 0x0
	ds_store_b32 v1, v110
	s_wait_storecnt_dscnt 0x0
	s_barrier_signal -1
	s_barrier_wait -1
	s_wait_xcnt 0x0
	v_cmpx_ne_u32_e32 0, v0
	s_cbranch_execz .LBB52_516
; %bb.507:
	s_and_not1_b32 vcc_lo, exec_lo, s3
	s_cbranch_vccnz .LBB52_509
; %bb.508:
	scratch_load_b32 v110, v7, off
	ds_load_b32 v111, v1
	s_wait_loadcnt_dscnt 0x0
	v_mul_f32_e32 v110, v110, v111
	s_cbranch_execz .LBB52_510
	s_branch .LBB52_511
.LBB52_509:
                                        ; implicit-def: $vgpr110
.LBB52_510:
	ds_load_b32 v110, v1
.LBB52_511:
	s_and_saveexec_b32 s4, s0
	s_cbranch_execz .LBB52_515
; %bb.512:
	v_add_nc_u32_e32 v111, -1, v0
	s_or_b32 s0, 0, 4
	s_movk_i32 s8, 0xe4
	s_mov_b32 s5, 0
.LBB52_513:                             ; =>This Inner Loop Header: Depth=1
	scratch_load_b32 v112, off, s0
	v_dual_mov_b32 v113, s8 :: v_dual_add_nc_u32 v111, -1, v111
	s_add_co_i32 s8, s8, 4
	s_wait_xcnt 0x0
	s_add_co_i32 s0, s0, 4
	ds_load_b32 v113, v113
	v_cmp_eq_u32_e32 vcc_lo, 0, v111
	s_or_b32 s5, vcc_lo, s5
	s_wait_loadcnt_dscnt 0x0
	v_fmac_f32_e32 v110, v112, v113
	s_and_not1_b32 exec_lo, exec_lo, s5
	s_cbranch_execnz .LBB52_513
; %bb.514:
	s_or_b32 exec_lo, exec_lo, s5
.LBB52_515:
	s_delay_alu instid0(SALU_CYCLE_1)
	s_or_b32 exec_lo, exec_lo, s4
	v_mov_b32_e32 v111, 0
	ds_load_b32 v111, v111
	s_wait_dscnt 0x0
	v_mul_f32_e32 v110, v110, v111
	scratch_store_b32 off, v110, off
.LBB52_516:
	s_wait_xcnt 0x0
	s_or_b32 exec_lo, exec_lo, s2
.LBB52_517:
	v_lshl_add_u64 v[128:129], v[8:9], 2, s[6:7]
	v_lshl_add_u64 v[126:127], v[10:11], 2, s[6:7]
	;; [unrolled: 1-line block ×51, first 2 shown]
	s_and_b32 vcc_lo, exec_lo, s1
	s_cbranch_vccz .LBB52_1029
; %bb.518:
	scratch_load_b32 v90, off, off offset:4
	v_cmp_eq_u32_e64 s0, 0, v0
	s_wait_loadcnt 0x0
	ds_store_b32 v1, v90
	s_wait_storecnt_dscnt 0x0
	s_barrier_signal -1
	s_barrier_wait -1
	s_wait_xcnt 0x0
	s_and_saveexec_b32 s1, s0
	s_cbranch_execz .LBB52_524
; %bb.519:
	s_and_b32 vcc_lo, exec_lo, s3
	s_cbranch_vccz .LBB52_521
; %bb.520:
	scratch_load_b32 v90, v7, off
	ds_load_b32 v91, v1
	s_wait_loadcnt_dscnt 0x0
	v_mul_f32_e32 v90, v90, v91
	s_cbranch_execz .LBB52_522
	s_branch .LBB52_523
.LBB52_521:
                                        ; implicit-def: $vgpr90
.LBB52_522:
	ds_load_b32 v90, v1
.LBB52_523:
	v_mov_b32_e32 v91, 0
	ds_load_b32 v91, v91 offset:4
	s_wait_dscnt 0x0
	v_mul_f32_e32 v90, v90, v91
	scratch_store_b32 off, v90, off offset:4
.LBB52_524:
	s_wait_xcnt 0x0
	s_or_b32 exec_lo, exec_lo, s1
	scratch_load_b32 v91, off, off offset:8
	v_cndmask_b32_e64 v90, 0, 1, s3
	s_mov_b32 s1, exec_lo
	s_wait_loadcnt 0x0
	ds_store_b32 v1, v91
	s_wait_storecnt_dscnt 0x0
	s_barrier_signal -1
	s_barrier_wait -1
	s_wait_xcnt 0x0
	v_cmpx_gt_u32_e32 2, v0
	s_cbranch_execz .LBB52_530
; %bb.525:
	s_and_not1_b32 vcc_lo, exec_lo, s3
	s_cbranch_vccnz .LBB52_527
; %bb.526:
	scratch_load_b32 v91, v7, off
	ds_load_b32 v92, v1
	s_wait_loadcnt_dscnt 0x0
	v_mul_f32_e32 v91, v91, v92
	s_cbranch_execz .LBB52_528
	s_branch .LBB52_529
.LBB52_527:
                                        ; implicit-def: $vgpr91
.LBB52_528:
	ds_load_b32 v91, v1
.LBB52_529:
	scratch_load_b32 v94, off, off offset:4
	v_mov_b32_e32 v92, 0
	ds_load_2addr_b32 v[92:93], v92 offset0:2 offset1:57
	s_wait_loadcnt_dscnt 0x0
	v_fma_f32 v93, v94, v93, v91
	s_delay_alu instid0(VALU_DEP_1) | instskip(NEXT) | instid1(VALU_DEP_1)
	v_cndmask_b32_e64 v91, v91, v93, s0
	v_mul_f32_e32 v91, v91, v92
	scratch_store_b32 off, v91, off offset:8
.LBB52_530:
	s_wait_xcnt 0x0
	s_or_b32 exec_lo, exec_lo, s1
	scratch_load_b32 v91, off, off offset:12
	s_mov_b32 s1, exec_lo
	s_wait_loadcnt 0x0
	ds_store_b32 v1, v91
	s_wait_storecnt_dscnt 0x0
	s_barrier_signal -1
	s_barrier_wait -1
	s_wait_xcnt 0x0
	v_cmpx_gt_u32_e32 3, v0
	s_cbranch_execz .LBB52_538
; %bb.531:
	v_cmp_ne_u32_e32 vcc_lo, 1, v90
	s_cbranch_vccnz .LBB52_533
; %bb.532:
	scratch_load_b32 v91, v7, off
	ds_load_b32 v92, v1
	s_wait_loadcnt_dscnt 0x0
	v_mul_f32_e32 v91, v91, v92
	s_cbranch_execz .LBB52_534
	s_branch .LBB52_535
.LBB52_533:
                                        ; implicit-def: $vgpr91
.LBB52_534:
	ds_load_b32 v91, v1
.LBB52_535:
	s_mov_b32 s2, exec_lo
	v_cmpx_ne_u32_e32 2, v0
	s_cbranch_execz .LBB52_537
; %bb.536:
	scratch_load_b32 v92, v7, off offset:4
	scratch_load_b32 v93, off, off offset:8
	ds_load_b32 v94, v1 offset:4
	v_mov_b32_e32 v95, 0
	ds_load_b32 v95, v95 offset:232
	s_wait_loadcnt_dscnt 0x101
	v_fmac_f32_e32 v91, v92, v94
	s_wait_loadcnt_dscnt 0x0
	s_delay_alu instid0(VALU_DEP_1) | instskip(NEXT) | instid1(VALU_DEP_1)
	v_fma_f32 v92, v93, v95, v91
	v_cndmask_b32_e64 v91, v91, v92, s0
.LBB52_537:
	s_or_b32 exec_lo, exec_lo, s2
	v_mov_b32_e32 v92, 0
	ds_load_b32 v92, v92 offset:12
	s_wait_dscnt 0x0
	v_mul_f32_e32 v91, v91, v92
	scratch_store_b32 off, v91, off offset:12
.LBB52_538:
	s_wait_xcnt 0x0
	s_or_b32 exec_lo, exec_lo, s1
	scratch_load_b32 v91, off, off offset:16
	s_mov_b32 s0, exec_lo
	s_wait_loadcnt 0x0
	ds_store_b32 v1, v91
	s_wait_storecnt_dscnt 0x0
	s_barrier_signal -1
	s_barrier_wait -1
	s_wait_xcnt 0x0
	v_cmpx_gt_u32_e32 4, v0
	s_cbranch_execz .LBB52_548
; %bb.539:
	v_cmp_ne_u32_e32 vcc_lo, 1, v90
	s_cbranch_vccnz .LBB52_541
; %bb.540:
	scratch_load_b32 v91, v7, off
	ds_load_b32 v92, v1
	s_wait_loadcnt_dscnt 0x0
	v_mul_f32_e32 v91, v91, v92
	s_cbranch_execz .LBB52_542
	s_branch .LBB52_543
.LBB52_541:
                                        ; implicit-def: $vgpr91
.LBB52_542:
	ds_load_b32 v91, v1
.LBB52_543:
	s_mov_b32 s1, exec_lo
	v_cmpx_ne_u32_e32 3, v0
	s_cbranch_execz .LBB52_547
; %bb.544:
	v_add_nc_u32_e32 v92, 0xe4, v6
	v_add3_u32 v93, 0, v6, 4
	v_mov_b32_e32 v94, v0
	s_mov_b32 s2, 0
.LBB52_545:                             ; =>This Inner Loop Header: Depth=1
	scratch_load_b32 v95, v93, off
	ds_load_b32 v96, v92
	v_dual_add_nc_u32 v94, 1, v94 :: v_dual_add_nc_u32 v92, 4, v92
	s_wait_xcnt 0x0
	v_add_nc_u32_e32 v93, 4, v93
	s_delay_alu instid0(VALU_DEP_2)
	v_cmp_lt_u32_e32 vcc_lo, 2, v94
	s_or_b32 s2, vcc_lo, s2
	s_wait_loadcnt_dscnt 0x0
	v_fmac_f32_e32 v91, v95, v96
	s_and_not1_b32 exec_lo, exec_lo, s2
	s_cbranch_execnz .LBB52_545
; %bb.546:
	s_or_b32 exec_lo, exec_lo, s2
.LBB52_547:
	s_delay_alu instid0(SALU_CYCLE_1)
	s_or_b32 exec_lo, exec_lo, s1
	v_mov_b32_e32 v92, 0
	ds_load_b32 v92, v92 offset:16
	s_wait_dscnt 0x0
	v_mul_f32_e32 v91, v91, v92
	scratch_store_b32 off, v91, off offset:16
.LBB52_548:
	s_wait_xcnt 0x0
	s_or_b32 exec_lo, exec_lo, s0
	scratch_load_b32 v91, off, off offset:20
	s_mov_b32 s0, exec_lo
	s_wait_loadcnt 0x0
	ds_store_b32 v1, v91
	s_wait_storecnt_dscnt 0x0
	s_barrier_signal -1
	s_barrier_wait -1
	s_wait_xcnt 0x0
	v_cmpx_gt_u32_e32 5, v0
	s_cbranch_execz .LBB52_558
; %bb.549:
	v_cmp_ne_u32_e32 vcc_lo, 1, v90
	s_cbranch_vccnz .LBB52_551
; %bb.550:
	scratch_load_b32 v91, v7, off
	ds_load_b32 v92, v1
	s_wait_loadcnt_dscnt 0x0
	v_mul_f32_e32 v91, v91, v92
	s_cbranch_execz .LBB52_552
	s_branch .LBB52_553
.LBB52_551:
                                        ; implicit-def: $vgpr91
.LBB52_552:
	ds_load_b32 v91, v1
.LBB52_553:
	s_mov_b32 s1, exec_lo
	v_cmpx_ne_u32_e32 4, v0
	s_cbranch_execz .LBB52_557
; %bb.554:
	v_add_nc_u32_e32 v92, 0xe4, v6
	v_add3_u32 v93, 0, v6, 4
	v_mov_b32_e32 v94, v0
	s_mov_b32 s2, 0
.LBB52_555:                             ; =>This Inner Loop Header: Depth=1
	scratch_load_b32 v95, v93, off
	ds_load_b32 v96, v92
	v_dual_add_nc_u32 v94, 1, v94 :: v_dual_add_nc_u32 v92, 4, v92
	s_wait_xcnt 0x0
	v_add_nc_u32_e32 v93, 4, v93
	s_delay_alu instid0(VALU_DEP_2)
	v_cmp_lt_u32_e32 vcc_lo, 3, v94
	s_or_b32 s2, vcc_lo, s2
	s_wait_loadcnt_dscnt 0x0
	v_fmac_f32_e32 v91, v95, v96
	s_and_not1_b32 exec_lo, exec_lo, s2
	s_cbranch_execnz .LBB52_555
; %bb.556:
	s_or_b32 exec_lo, exec_lo, s2
.LBB52_557:
	s_delay_alu instid0(SALU_CYCLE_1)
	s_or_b32 exec_lo, exec_lo, s1
	v_mov_b32_e32 v92, 0
	ds_load_b32 v92, v92 offset:20
	s_wait_dscnt 0x0
	v_mul_f32_e32 v91, v91, v92
	scratch_store_b32 off, v91, off offset:20
.LBB52_558:
	s_wait_xcnt 0x0
	s_or_b32 exec_lo, exec_lo, s0
	scratch_load_b32 v91, off, off offset:24
	s_mov_b32 s0, exec_lo
	s_wait_loadcnt 0x0
	ds_store_b32 v1, v91
	s_wait_storecnt_dscnt 0x0
	s_barrier_signal -1
	s_barrier_wait -1
	s_wait_xcnt 0x0
	v_cmpx_gt_u32_e32 6, v0
	s_cbranch_execz .LBB52_568
; %bb.559:
	v_cmp_ne_u32_e32 vcc_lo, 1, v90
	s_cbranch_vccnz .LBB52_561
; %bb.560:
	scratch_load_b32 v91, v7, off
	ds_load_b32 v92, v1
	s_wait_loadcnt_dscnt 0x0
	v_mul_f32_e32 v91, v91, v92
	s_cbranch_execz .LBB52_562
	s_branch .LBB52_563
.LBB52_561:
                                        ; implicit-def: $vgpr91
.LBB52_562:
	ds_load_b32 v91, v1
.LBB52_563:
	s_mov_b32 s1, exec_lo
	v_cmpx_ne_u32_e32 5, v0
	s_cbranch_execz .LBB52_567
; %bb.564:
	v_add_nc_u32_e32 v92, 0xe4, v6
	v_add3_u32 v93, 0, v6, 4
	v_mov_b32_e32 v94, v0
	s_mov_b32 s2, 0
.LBB52_565:                             ; =>This Inner Loop Header: Depth=1
	scratch_load_b32 v95, v93, off
	ds_load_b32 v96, v92
	v_dual_add_nc_u32 v94, 1, v94 :: v_dual_add_nc_u32 v92, 4, v92
	s_wait_xcnt 0x0
	v_add_nc_u32_e32 v93, 4, v93
	s_delay_alu instid0(VALU_DEP_2)
	v_cmp_lt_u32_e32 vcc_lo, 4, v94
	s_or_b32 s2, vcc_lo, s2
	s_wait_loadcnt_dscnt 0x0
	v_fmac_f32_e32 v91, v95, v96
	s_and_not1_b32 exec_lo, exec_lo, s2
	s_cbranch_execnz .LBB52_565
; %bb.566:
	s_or_b32 exec_lo, exec_lo, s2
.LBB52_567:
	s_delay_alu instid0(SALU_CYCLE_1)
	s_or_b32 exec_lo, exec_lo, s1
	v_mov_b32_e32 v92, 0
	ds_load_b32 v92, v92 offset:24
	s_wait_dscnt 0x0
	v_mul_f32_e32 v91, v91, v92
	scratch_store_b32 off, v91, off offset:24
.LBB52_568:
	s_wait_xcnt 0x0
	s_or_b32 exec_lo, exec_lo, s0
	scratch_load_b32 v91, off, off offset:28
	s_mov_b32 s0, exec_lo
	s_wait_loadcnt 0x0
	ds_store_b32 v1, v91
	s_wait_storecnt_dscnt 0x0
	s_barrier_signal -1
	s_barrier_wait -1
	s_wait_xcnt 0x0
	v_cmpx_gt_u32_e32 7, v0
	s_cbranch_execz .LBB52_578
; %bb.569:
	v_cmp_ne_u32_e32 vcc_lo, 1, v90
	s_cbranch_vccnz .LBB52_571
; %bb.570:
	scratch_load_b32 v91, v7, off
	ds_load_b32 v92, v1
	s_wait_loadcnt_dscnt 0x0
	v_mul_f32_e32 v91, v91, v92
	s_cbranch_execz .LBB52_572
	s_branch .LBB52_573
.LBB52_571:
                                        ; implicit-def: $vgpr91
.LBB52_572:
	ds_load_b32 v91, v1
.LBB52_573:
	s_mov_b32 s1, exec_lo
	v_cmpx_ne_u32_e32 6, v0
	s_cbranch_execz .LBB52_577
; %bb.574:
	v_add_nc_u32_e32 v92, 0xe4, v6
	v_add3_u32 v93, 0, v6, 4
	v_mov_b32_e32 v94, v0
	s_mov_b32 s2, 0
.LBB52_575:                             ; =>This Inner Loop Header: Depth=1
	scratch_load_b32 v95, v93, off
	ds_load_b32 v96, v92
	v_dual_add_nc_u32 v94, 1, v94 :: v_dual_add_nc_u32 v92, 4, v92
	s_wait_xcnt 0x0
	v_add_nc_u32_e32 v93, 4, v93
	s_delay_alu instid0(VALU_DEP_2)
	v_cmp_lt_u32_e32 vcc_lo, 5, v94
	s_or_b32 s2, vcc_lo, s2
	s_wait_loadcnt_dscnt 0x0
	v_fmac_f32_e32 v91, v95, v96
	s_and_not1_b32 exec_lo, exec_lo, s2
	s_cbranch_execnz .LBB52_575
; %bb.576:
	s_or_b32 exec_lo, exec_lo, s2
.LBB52_577:
	s_delay_alu instid0(SALU_CYCLE_1)
	s_or_b32 exec_lo, exec_lo, s1
	v_mov_b32_e32 v92, 0
	ds_load_b32 v92, v92 offset:28
	s_wait_dscnt 0x0
	v_mul_f32_e32 v91, v91, v92
	scratch_store_b32 off, v91, off offset:28
.LBB52_578:
	s_wait_xcnt 0x0
	s_or_b32 exec_lo, exec_lo, s0
	scratch_load_b32 v91, off, off offset:32
	s_mov_b32 s0, exec_lo
	s_wait_loadcnt 0x0
	ds_store_b32 v1, v91
	s_wait_storecnt_dscnt 0x0
	s_barrier_signal -1
	s_barrier_wait -1
	s_wait_xcnt 0x0
	v_cmpx_gt_u32_e32 8, v0
	s_cbranch_execz .LBB52_588
; %bb.579:
	v_cmp_ne_u32_e32 vcc_lo, 1, v90
	s_cbranch_vccnz .LBB52_581
; %bb.580:
	scratch_load_b32 v91, v7, off
	ds_load_b32 v92, v1
	s_wait_loadcnt_dscnt 0x0
	v_mul_f32_e32 v91, v91, v92
	s_cbranch_execz .LBB52_582
	s_branch .LBB52_583
.LBB52_581:
                                        ; implicit-def: $vgpr91
.LBB52_582:
	ds_load_b32 v91, v1
.LBB52_583:
	s_mov_b32 s1, exec_lo
	v_cmpx_ne_u32_e32 7, v0
	s_cbranch_execz .LBB52_587
; %bb.584:
	v_add_nc_u32_e32 v92, 0xe4, v6
	v_add3_u32 v93, 0, v6, 4
	v_mov_b32_e32 v94, v0
	s_mov_b32 s2, 0
.LBB52_585:                             ; =>This Inner Loop Header: Depth=1
	scratch_load_b32 v95, v93, off
	ds_load_b32 v96, v92
	v_dual_add_nc_u32 v94, 1, v94 :: v_dual_add_nc_u32 v92, 4, v92
	s_wait_xcnt 0x0
	v_add_nc_u32_e32 v93, 4, v93
	s_delay_alu instid0(VALU_DEP_2)
	v_cmp_lt_u32_e32 vcc_lo, 6, v94
	s_or_b32 s2, vcc_lo, s2
	s_wait_loadcnt_dscnt 0x0
	v_fmac_f32_e32 v91, v95, v96
	s_and_not1_b32 exec_lo, exec_lo, s2
	s_cbranch_execnz .LBB52_585
; %bb.586:
	s_or_b32 exec_lo, exec_lo, s2
.LBB52_587:
	s_delay_alu instid0(SALU_CYCLE_1)
	s_or_b32 exec_lo, exec_lo, s1
	v_mov_b32_e32 v92, 0
	ds_load_b32 v92, v92 offset:32
	s_wait_dscnt 0x0
	v_mul_f32_e32 v91, v91, v92
	scratch_store_b32 off, v91, off offset:32
.LBB52_588:
	s_wait_xcnt 0x0
	s_or_b32 exec_lo, exec_lo, s0
	scratch_load_b32 v91, off, off offset:36
	s_mov_b32 s0, exec_lo
	s_wait_loadcnt 0x0
	ds_store_b32 v1, v91
	s_wait_storecnt_dscnt 0x0
	s_barrier_signal -1
	s_barrier_wait -1
	s_wait_xcnt 0x0
	v_cmpx_gt_u32_e32 9, v0
	s_cbranch_execz .LBB52_598
; %bb.589:
	v_cmp_ne_u32_e32 vcc_lo, 1, v90
	s_cbranch_vccnz .LBB52_591
; %bb.590:
	scratch_load_b32 v91, v7, off
	ds_load_b32 v92, v1
	s_wait_loadcnt_dscnt 0x0
	v_mul_f32_e32 v91, v91, v92
	s_cbranch_execz .LBB52_592
	s_branch .LBB52_593
.LBB52_591:
                                        ; implicit-def: $vgpr91
.LBB52_592:
	ds_load_b32 v91, v1
.LBB52_593:
	s_mov_b32 s1, exec_lo
	v_cmpx_ne_u32_e32 8, v0
	s_cbranch_execz .LBB52_597
; %bb.594:
	v_add_nc_u32_e32 v92, 0xe4, v6
	v_add3_u32 v93, 0, v6, 4
	v_mov_b32_e32 v94, v0
	s_mov_b32 s2, 0
.LBB52_595:                             ; =>This Inner Loop Header: Depth=1
	scratch_load_b32 v95, v93, off
	ds_load_b32 v96, v92
	v_dual_add_nc_u32 v94, 1, v94 :: v_dual_add_nc_u32 v92, 4, v92
	s_wait_xcnt 0x0
	v_add_nc_u32_e32 v93, 4, v93
	s_delay_alu instid0(VALU_DEP_2)
	v_cmp_lt_u32_e32 vcc_lo, 7, v94
	s_or_b32 s2, vcc_lo, s2
	s_wait_loadcnt_dscnt 0x0
	v_fmac_f32_e32 v91, v95, v96
	s_and_not1_b32 exec_lo, exec_lo, s2
	s_cbranch_execnz .LBB52_595
; %bb.596:
	s_or_b32 exec_lo, exec_lo, s2
.LBB52_597:
	s_delay_alu instid0(SALU_CYCLE_1)
	s_or_b32 exec_lo, exec_lo, s1
	v_mov_b32_e32 v92, 0
	ds_load_b32 v92, v92 offset:36
	s_wait_dscnt 0x0
	v_mul_f32_e32 v91, v91, v92
	scratch_store_b32 off, v91, off offset:36
.LBB52_598:
	s_wait_xcnt 0x0
	s_or_b32 exec_lo, exec_lo, s0
	scratch_load_b32 v91, off, off offset:40
	s_mov_b32 s0, exec_lo
	s_wait_loadcnt 0x0
	ds_store_b32 v1, v91
	s_wait_storecnt_dscnt 0x0
	s_barrier_signal -1
	s_barrier_wait -1
	s_wait_xcnt 0x0
	v_cmpx_gt_u32_e32 10, v0
	s_cbranch_execz .LBB52_608
; %bb.599:
	v_cmp_ne_u32_e32 vcc_lo, 1, v90
	s_cbranch_vccnz .LBB52_601
; %bb.600:
	scratch_load_b32 v91, v7, off
	ds_load_b32 v92, v1
	s_wait_loadcnt_dscnt 0x0
	v_mul_f32_e32 v91, v91, v92
	s_cbranch_execz .LBB52_602
	s_branch .LBB52_603
.LBB52_601:
                                        ; implicit-def: $vgpr91
.LBB52_602:
	ds_load_b32 v91, v1
.LBB52_603:
	s_mov_b32 s1, exec_lo
	v_cmpx_ne_u32_e32 9, v0
	s_cbranch_execz .LBB52_607
; %bb.604:
	v_add_nc_u32_e32 v92, 0xe4, v6
	v_add3_u32 v93, 0, v6, 4
	v_mov_b32_e32 v94, v0
	s_mov_b32 s2, 0
.LBB52_605:                             ; =>This Inner Loop Header: Depth=1
	scratch_load_b32 v95, v93, off
	ds_load_b32 v96, v92
	v_dual_add_nc_u32 v94, 1, v94 :: v_dual_add_nc_u32 v92, 4, v92
	s_wait_xcnt 0x0
	v_add_nc_u32_e32 v93, 4, v93
	s_delay_alu instid0(VALU_DEP_2)
	v_cmp_lt_u32_e32 vcc_lo, 8, v94
	s_or_b32 s2, vcc_lo, s2
	s_wait_loadcnt_dscnt 0x0
	v_fmac_f32_e32 v91, v95, v96
	s_and_not1_b32 exec_lo, exec_lo, s2
	s_cbranch_execnz .LBB52_605
; %bb.606:
	s_or_b32 exec_lo, exec_lo, s2
.LBB52_607:
	s_delay_alu instid0(SALU_CYCLE_1)
	s_or_b32 exec_lo, exec_lo, s1
	v_mov_b32_e32 v92, 0
	ds_load_b32 v92, v92 offset:40
	s_wait_dscnt 0x0
	v_mul_f32_e32 v91, v91, v92
	scratch_store_b32 off, v91, off offset:40
.LBB52_608:
	s_wait_xcnt 0x0
	s_or_b32 exec_lo, exec_lo, s0
	scratch_load_b32 v91, off, off offset:44
	s_mov_b32 s0, exec_lo
	s_wait_loadcnt 0x0
	ds_store_b32 v1, v91
	s_wait_storecnt_dscnt 0x0
	s_barrier_signal -1
	s_barrier_wait -1
	s_wait_xcnt 0x0
	v_cmpx_gt_u32_e32 11, v0
	s_cbranch_execz .LBB52_618
; %bb.609:
	v_cmp_ne_u32_e32 vcc_lo, 1, v90
	s_cbranch_vccnz .LBB52_611
; %bb.610:
	scratch_load_b32 v91, v7, off
	ds_load_b32 v92, v1
	s_wait_loadcnt_dscnt 0x0
	v_mul_f32_e32 v91, v91, v92
	s_cbranch_execz .LBB52_612
	s_branch .LBB52_613
.LBB52_611:
                                        ; implicit-def: $vgpr91
.LBB52_612:
	ds_load_b32 v91, v1
.LBB52_613:
	s_mov_b32 s1, exec_lo
	v_cmpx_ne_u32_e32 10, v0
	s_cbranch_execz .LBB52_617
; %bb.614:
	v_add_nc_u32_e32 v92, 0xe4, v6
	v_add3_u32 v93, 0, v6, 4
	v_mov_b32_e32 v94, v0
	s_mov_b32 s2, 0
.LBB52_615:                             ; =>This Inner Loop Header: Depth=1
	scratch_load_b32 v95, v93, off
	ds_load_b32 v96, v92
	v_dual_add_nc_u32 v94, 1, v94 :: v_dual_add_nc_u32 v92, 4, v92
	s_wait_xcnt 0x0
	v_add_nc_u32_e32 v93, 4, v93
	s_delay_alu instid0(VALU_DEP_2)
	v_cmp_lt_u32_e32 vcc_lo, 9, v94
	s_or_b32 s2, vcc_lo, s2
	s_wait_loadcnt_dscnt 0x0
	v_fmac_f32_e32 v91, v95, v96
	s_and_not1_b32 exec_lo, exec_lo, s2
	s_cbranch_execnz .LBB52_615
; %bb.616:
	s_or_b32 exec_lo, exec_lo, s2
.LBB52_617:
	s_delay_alu instid0(SALU_CYCLE_1)
	s_or_b32 exec_lo, exec_lo, s1
	v_mov_b32_e32 v92, 0
	ds_load_b32 v92, v92 offset:44
	s_wait_dscnt 0x0
	v_mul_f32_e32 v91, v91, v92
	scratch_store_b32 off, v91, off offset:44
.LBB52_618:
	s_wait_xcnt 0x0
	s_or_b32 exec_lo, exec_lo, s0
	scratch_load_b32 v91, off, off offset:48
	s_mov_b32 s0, exec_lo
	s_wait_loadcnt 0x0
	ds_store_b32 v1, v91
	s_wait_storecnt_dscnt 0x0
	s_barrier_signal -1
	s_barrier_wait -1
	s_wait_xcnt 0x0
	v_cmpx_gt_u32_e32 12, v0
	s_cbranch_execz .LBB52_628
; %bb.619:
	v_cmp_ne_u32_e32 vcc_lo, 1, v90
	s_cbranch_vccnz .LBB52_621
; %bb.620:
	scratch_load_b32 v91, v7, off
	ds_load_b32 v92, v1
	s_wait_loadcnt_dscnt 0x0
	v_mul_f32_e32 v91, v91, v92
	s_cbranch_execz .LBB52_622
	s_branch .LBB52_623
.LBB52_621:
                                        ; implicit-def: $vgpr91
.LBB52_622:
	ds_load_b32 v91, v1
.LBB52_623:
	s_mov_b32 s1, exec_lo
	v_cmpx_ne_u32_e32 11, v0
	s_cbranch_execz .LBB52_627
; %bb.624:
	v_add_nc_u32_e32 v92, 0xe4, v6
	v_add3_u32 v93, 0, v6, 4
	v_mov_b32_e32 v94, v0
	s_mov_b32 s2, 0
.LBB52_625:                             ; =>This Inner Loop Header: Depth=1
	scratch_load_b32 v95, v93, off
	ds_load_b32 v96, v92
	v_dual_add_nc_u32 v94, 1, v94 :: v_dual_add_nc_u32 v92, 4, v92
	s_wait_xcnt 0x0
	v_add_nc_u32_e32 v93, 4, v93
	s_delay_alu instid0(VALU_DEP_2)
	v_cmp_lt_u32_e32 vcc_lo, 10, v94
	s_or_b32 s2, vcc_lo, s2
	s_wait_loadcnt_dscnt 0x0
	v_fmac_f32_e32 v91, v95, v96
	s_and_not1_b32 exec_lo, exec_lo, s2
	s_cbranch_execnz .LBB52_625
; %bb.626:
	s_or_b32 exec_lo, exec_lo, s2
.LBB52_627:
	s_delay_alu instid0(SALU_CYCLE_1)
	s_or_b32 exec_lo, exec_lo, s1
	v_mov_b32_e32 v92, 0
	ds_load_b32 v92, v92 offset:48
	s_wait_dscnt 0x0
	v_mul_f32_e32 v91, v91, v92
	scratch_store_b32 off, v91, off offset:48
.LBB52_628:
	s_wait_xcnt 0x0
	s_or_b32 exec_lo, exec_lo, s0
	scratch_load_b32 v91, off, off offset:52
	s_mov_b32 s0, exec_lo
	s_wait_loadcnt 0x0
	ds_store_b32 v1, v91
	s_wait_storecnt_dscnt 0x0
	s_barrier_signal -1
	s_barrier_wait -1
	s_wait_xcnt 0x0
	v_cmpx_gt_u32_e32 13, v0
	s_cbranch_execz .LBB52_638
; %bb.629:
	v_cmp_ne_u32_e32 vcc_lo, 1, v90
	s_cbranch_vccnz .LBB52_631
; %bb.630:
	scratch_load_b32 v91, v7, off
	ds_load_b32 v92, v1
	s_wait_loadcnt_dscnt 0x0
	v_mul_f32_e32 v91, v91, v92
	s_cbranch_execz .LBB52_632
	s_branch .LBB52_633
.LBB52_631:
                                        ; implicit-def: $vgpr91
.LBB52_632:
	ds_load_b32 v91, v1
.LBB52_633:
	s_mov_b32 s1, exec_lo
	v_cmpx_ne_u32_e32 12, v0
	s_cbranch_execz .LBB52_637
; %bb.634:
	v_add_nc_u32_e32 v92, 0xe4, v6
	v_add3_u32 v93, 0, v6, 4
	v_mov_b32_e32 v94, v0
	s_mov_b32 s2, 0
.LBB52_635:                             ; =>This Inner Loop Header: Depth=1
	scratch_load_b32 v95, v93, off
	ds_load_b32 v96, v92
	v_dual_add_nc_u32 v94, 1, v94 :: v_dual_add_nc_u32 v92, 4, v92
	s_wait_xcnt 0x0
	v_add_nc_u32_e32 v93, 4, v93
	s_delay_alu instid0(VALU_DEP_2)
	v_cmp_lt_u32_e32 vcc_lo, 11, v94
	s_or_b32 s2, vcc_lo, s2
	s_wait_loadcnt_dscnt 0x0
	v_fmac_f32_e32 v91, v95, v96
	s_and_not1_b32 exec_lo, exec_lo, s2
	s_cbranch_execnz .LBB52_635
; %bb.636:
	s_or_b32 exec_lo, exec_lo, s2
.LBB52_637:
	s_delay_alu instid0(SALU_CYCLE_1)
	s_or_b32 exec_lo, exec_lo, s1
	v_mov_b32_e32 v92, 0
	ds_load_b32 v92, v92 offset:52
	s_wait_dscnt 0x0
	v_mul_f32_e32 v91, v91, v92
	scratch_store_b32 off, v91, off offset:52
.LBB52_638:
	s_wait_xcnt 0x0
	s_or_b32 exec_lo, exec_lo, s0
	scratch_load_b32 v91, off, off offset:56
	s_mov_b32 s0, exec_lo
	s_wait_loadcnt 0x0
	ds_store_b32 v1, v91
	s_wait_storecnt_dscnt 0x0
	s_barrier_signal -1
	s_barrier_wait -1
	s_wait_xcnt 0x0
	v_cmpx_gt_u32_e32 14, v0
	s_cbranch_execz .LBB52_648
; %bb.639:
	v_cmp_ne_u32_e32 vcc_lo, 1, v90
	s_cbranch_vccnz .LBB52_641
; %bb.640:
	scratch_load_b32 v91, v7, off
	ds_load_b32 v92, v1
	s_wait_loadcnt_dscnt 0x0
	v_mul_f32_e32 v91, v91, v92
	s_cbranch_execz .LBB52_642
	s_branch .LBB52_643
.LBB52_641:
                                        ; implicit-def: $vgpr91
.LBB52_642:
	ds_load_b32 v91, v1
.LBB52_643:
	s_mov_b32 s1, exec_lo
	v_cmpx_ne_u32_e32 13, v0
	s_cbranch_execz .LBB52_647
; %bb.644:
	v_add_nc_u32_e32 v92, 0xe4, v6
	v_add3_u32 v93, 0, v6, 4
	v_mov_b32_e32 v94, v0
	s_mov_b32 s2, 0
.LBB52_645:                             ; =>This Inner Loop Header: Depth=1
	scratch_load_b32 v95, v93, off
	ds_load_b32 v96, v92
	v_dual_add_nc_u32 v94, 1, v94 :: v_dual_add_nc_u32 v92, 4, v92
	s_wait_xcnt 0x0
	v_add_nc_u32_e32 v93, 4, v93
	s_delay_alu instid0(VALU_DEP_2)
	v_cmp_lt_u32_e32 vcc_lo, 12, v94
	s_or_b32 s2, vcc_lo, s2
	s_wait_loadcnt_dscnt 0x0
	v_fmac_f32_e32 v91, v95, v96
	s_and_not1_b32 exec_lo, exec_lo, s2
	s_cbranch_execnz .LBB52_645
; %bb.646:
	s_or_b32 exec_lo, exec_lo, s2
.LBB52_647:
	s_delay_alu instid0(SALU_CYCLE_1)
	s_or_b32 exec_lo, exec_lo, s1
	v_mov_b32_e32 v92, 0
	ds_load_b32 v92, v92 offset:56
	s_wait_dscnt 0x0
	v_mul_f32_e32 v91, v91, v92
	scratch_store_b32 off, v91, off offset:56
.LBB52_648:
	s_wait_xcnt 0x0
	s_or_b32 exec_lo, exec_lo, s0
	scratch_load_b32 v91, off, off offset:60
	s_mov_b32 s0, exec_lo
	s_wait_loadcnt 0x0
	ds_store_b32 v1, v91
	s_wait_storecnt_dscnt 0x0
	s_barrier_signal -1
	s_barrier_wait -1
	s_wait_xcnt 0x0
	v_cmpx_gt_u32_e32 15, v0
	s_cbranch_execz .LBB52_658
; %bb.649:
	v_cmp_ne_u32_e32 vcc_lo, 1, v90
	s_cbranch_vccnz .LBB52_651
; %bb.650:
	scratch_load_b32 v91, v7, off
	ds_load_b32 v92, v1
	s_wait_loadcnt_dscnt 0x0
	v_mul_f32_e32 v91, v91, v92
	s_cbranch_execz .LBB52_652
	s_branch .LBB52_653
.LBB52_651:
                                        ; implicit-def: $vgpr91
.LBB52_652:
	ds_load_b32 v91, v1
.LBB52_653:
	s_mov_b32 s1, exec_lo
	v_cmpx_ne_u32_e32 14, v0
	s_cbranch_execz .LBB52_657
; %bb.654:
	v_add_nc_u32_e32 v92, 0xe4, v6
	v_add3_u32 v93, 0, v6, 4
	v_mov_b32_e32 v94, v0
	s_mov_b32 s2, 0
.LBB52_655:                             ; =>This Inner Loop Header: Depth=1
	scratch_load_b32 v95, v93, off
	ds_load_b32 v96, v92
	v_dual_add_nc_u32 v94, 1, v94 :: v_dual_add_nc_u32 v92, 4, v92
	s_wait_xcnt 0x0
	v_add_nc_u32_e32 v93, 4, v93
	s_delay_alu instid0(VALU_DEP_2)
	v_cmp_lt_u32_e32 vcc_lo, 13, v94
	s_or_b32 s2, vcc_lo, s2
	s_wait_loadcnt_dscnt 0x0
	v_fmac_f32_e32 v91, v95, v96
	s_and_not1_b32 exec_lo, exec_lo, s2
	s_cbranch_execnz .LBB52_655
; %bb.656:
	s_or_b32 exec_lo, exec_lo, s2
.LBB52_657:
	s_delay_alu instid0(SALU_CYCLE_1)
	s_or_b32 exec_lo, exec_lo, s1
	v_mov_b32_e32 v92, 0
	ds_load_b32 v92, v92 offset:60
	s_wait_dscnt 0x0
	v_mul_f32_e32 v91, v91, v92
	scratch_store_b32 off, v91, off offset:60
.LBB52_658:
	s_wait_xcnt 0x0
	s_or_b32 exec_lo, exec_lo, s0
	scratch_load_b32 v91, off, off offset:64
	s_mov_b32 s0, exec_lo
	s_wait_loadcnt 0x0
	ds_store_b32 v1, v91
	s_wait_storecnt_dscnt 0x0
	s_barrier_signal -1
	s_barrier_wait -1
	s_wait_xcnt 0x0
	v_cmpx_gt_u32_e32 16, v0
	s_cbranch_execz .LBB52_668
; %bb.659:
	v_cmp_ne_u32_e32 vcc_lo, 1, v90
	s_cbranch_vccnz .LBB52_661
; %bb.660:
	scratch_load_b32 v91, v7, off
	ds_load_b32 v92, v1
	s_wait_loadcnt_dscnt 0x0
	v_mul_f32_e32 v91, v91, v92
	s_cbranch_execz .LBB52_662
	s_branch .LBB52_663
.LBB52_661:
                                        ; implicit-def: $vgpr91
.LBB52_662:
	ds_load_b32 v91, v1
.LBB52_663:
	s_mov_b32 s1, exec_lo
	v_cmpx_ne_u32_e32 15, v0
	s_cbranch_execz .LBB52_667
; %bb.664:
	v_add_nc_u32_e32 v92, 0xe4, v6
	v_add3_u32 v93, 0, v6, 4
	v_mov_b32_e32 v94, v0
	s_mov_b32 s2, 0
.LBB52_665:                             ; =>This Inner Loop Header: Depth=1
	scratch_load_b32 v95, v93, off
	ds_load_b32 v96, v92
	v_dual_add_nc_u32 v94, 1, v94 :: v_dual_add_nc_u32 v92, 4, v92
	s_wait_xcnt 0x0
	v_add_nc_u32_e32 v93, 4, v93
	s_delay_alu instid0(VALU_DEP_2)
	v_cmp_lt_u32_e32 vcc_lo, 14, v94
	s_or_b32 s2, vcc_lo, s2
	s_wait_loadcnt_dscnt 0x0
	v_fmac_f32_e32 v91, v95, v96
	s_and_not1_b32 exec_lo, exec_lo, s2
	s_cbranch_execnz .LBB52_665
; %bb.666:
	s_or_b32 exec_lo, exec_lo, s2
.LBB52_667:
	s_delay_alu instid0(SALU_CYCLE_1)
	s_or_b32 exec_lo, exec_lo, s1
	v_mov_b32_e32 v92, 0
	ds_load_b32 v92, v92 offset:64
	s_wait_dscnt 0x0
	v_mul_f32_e32 v91, v91, v92
	scratch_store_b32 off, v91, off offset:64
.LBB52_668:
	s_wait_xcnt 0x0
	s_or_b32 exec_lo, exec_lo, s0
	scratch_load_b32 v91, off, off offset:68
	s_mov_b32 s0, exec_lo
	s_wait_loadcnt 0x0
	ds_store_b32 v1, v91
	s_wait_storecnt_dscnt 0x0
	s_barrier_signal -1
	s_barrier_wait -1
	s_wait_xcnt 0x0
	v_cmpx_gt_u32_e32 17, v0
	s_cbranch_execz .LBB52_678
; %bb.669:
	v_cmp_ne_u32_e32 vcc_lo, 1, v90
	s_cbranch_vccnz .LBB52_671
; %bb.670:
	scratch_load_b32 v91, v7, off
	ds_load_b32 v92, v1
	s_wait_loadcnt_dscnt 0x0
	v_mul_f32_e32 v91, v91, v92
	s_cbranch_execz .LBB52_672
	s_branch .LBB52_673
.LBB52_671:
                                        ; implicit-def: $vgpr91
.LBB52_672:
	ds_load_b32 v91, v1
.LBB52_673:
	s_mov_b32 s1, exec_lo
	v_cmpx_ne_u32_e32 16, v0
	s_cbranch_execz .LBB52_677
; %bb.674:
	v_add_nc_u32_e32 v92, 0xe4, v6
	v_add3_u32 v93, 0, v6, 4
	v_mov_b32_e32 v94, v0
	s_mov_b32 s2, 0
.LBB52_675:                             ; =>This Inner Loop Header: Depth=1
	scratch_load_b32 v95, v93, off
	ds_load_b32 v96, v92
	v_dual_add_nc_u32 v94, 1, v94 :: v_dual_add_nc_u32 v92, 4, v92
	s_wait_xcnt 0x0
	v_add_nc_u32_e32 v93, 4, v93
	s_delay_alu instid0(VALU_DEP_2)
	v_cmp_lt_u32_e32 vcc_lo, 15, v94
	s_or_b32 s2, vcc_lo, s2
	s_wait_loadcnt_dscnt 0x0
	v_fmac_f32_e32 v91, v95, v96
	s_and_not1_b32 exec_lo, exec_lo, s2
	s_cbranch_execnz .LBB52_675
; %bb.676:
	s_or_b32 exec_lo, exec_lo, s2
.LBB52_677:
	s_delay_alu instid0(SALU_CYCLE_1)
	s_or_b32 exec_lo, exec_lo, s1
	v_mov_b32_e32 v92, 0
	ds_load_b32 v92, v92 offset:68
	s_wait_dscnt 0x0
	v_mul_f32_e32 v91, v91, v92
	scratch_store_b32 off, v91, off offset:68
.LBB52_678:
	s_wait_xcnt 0x0
	s_or_b32 exec_lo, exec_lo, s0
	scratch_load_b32 v91, off, off offset:72
	s_mov_b32 s0, exec_lo
	s_wait_loadcnt 0x0
	ds_store_b32 v1, v91
	s_wait_storecnt_dscnt 0x0
	s_barrier_signal -1
	s_barrier_wait -1
	s_wait_xcnt 0x0
	v_cmpx_gt_u32_e32 18, v0
	s_cbranch_execz .LBB52_688
; %bb.679:
	v_cmp_ne_u32_e32 vcc_lo, 1, v90
	s_cbranch_vccnz .LBB52_681
; %bb.680:
	scratch_load_b32 v91, v7, off
	ds_load_b32 v92, v1
	s_wait_loadcnt_dscnt 0x0
	v_mul_f32_e32 v91, v91, v92
	s_cbranch_execz .LBB52_682
	s_branch .LBB52_683
.LBB52_681:
                                        ; implicit-def: $vgpr91
.LBB52_682:
	ds_load_b32 v91, v1
.LBB52_683:
	s_mov_b32 s1, exec_lo
	v_cmpx_ne_u32_e32 17, v0
	s_cbranch_execz .LBB52_687
; %bb.684:
	v_add_nc_u32_e32 v92, 0xe4, v6
	v_add3_u32 v93, 0, v6, 4
	v_mov_b32_e32 v94, v0
	s_mov_b32 s2, 0
.LBB52_685:                             ; =>This Inner Loop Header: Depth=1
	scratch_load_b32 v95, v93, off
	ds_load_b32 v96, v92
	v_dual_add_nc_u32 v94, 1, v94 :: v_dual_add_nc_u32 v92, 4, v92
	s_wait_xcnt 0x0
	v_add_nc_u32_e32 v93, 4, v93
	s_delay_alu instid0(VALU_DEP_2)
	v_cmp_lt_u32_e32 vcc_lo, 16, v94
	s_or_b32 s2, vcc_lo, s2
	s_wait_loadcnt_dscnt 0x0
	v_fmac_f32_e32 v91, v95, v96
	s_and_not1_b32 exec_lo, exec_lo, s2
	s_cbranch_execnz .LBB52_685
; %bb.686:
	s_or_b32 exec_lo, exec_lo, s2
.LBB52_687:
	s_delay_alu instid0(SALU_CYCLE_1)
	s_or_b32 exec_lo, exec_lo, s1
	v_mov_b32_e32 v92, 0
	ds_load_b32 v92, v92 offset:72
	s_wait_dscnt 0x0
	v_mul_f32_e32 v91, v91, v92
	scratch_store_b32 off, v91, off offset:72
.LBB52_688:
	s_wait_xcnt 0x0
	s_or_b32 exec_lo, exec_lo, s0
	scratch_load_b32 v91, off, off offset:76
	s_mov_b32 s0, exec_lo
	s_wait_loadcnt 0x0
	ds_store_b32 v1, v91
	s_wait_storecnt_dscnt 0x0
	s_barrier_signal -1
	s_barrier_wait -1
	s_wait_xcnt 0x0
	v_cmpx_gt_u32_e32 19, v0
	s_cbranch_execz .LBB52_698
; %bb.689:
	v_cmp_ne_u32_e32 vcc_lo, 1, v90
	s_cbranch_vccnz .LBB52_691
; %bb.690:
	scratch_load_b32 v91, v7, off
	ds_load_b32 v92, v1
	s_wait_loadcnt_dscnt 0x0
	v_mul_f32_e32 v91, v91, v92
	s_cbranch_execz .LBB52_692
	s_branch .LBB52_693
.LBB52_691:
                                        ; implicit-def: $vgpr91
.LBB52_692:
	ds_load_b32 v91, v1
.LBB52_693:
	s_mov_b32 s1, exec_lo
	v_cmpx_ne_u32_e32 18, v0
	s_cbranch_execz .LBB52_697
; %bb.694:
	v_add_nc_u32_e32 v92, 0xe4, v6
	v_add3_u32 v93, 0, v6, 4
	v_mov_b32_e32 v94, v0
	s_mov_b32 s2, 0
.LBB52_695:                             ; =>This Inner Loop Header: Depth=1
	scratch_load_b32 v95, v93, off
	ds_load_b32 v96, v92
	v_dual_add_nc_u32 v94, 1, v94 :: v_dual_add_nc_u32 v92, 4, v92
	s_wait_xcnt 0x0
	v_add_nc_u32_e32 v93, 4, v93
	s_delay_alu instid0(VALU_DEP_2)
	v_cmp_lt_u32_e32 vcc_lo, 17, v94
	s_or_b32 s2, vcc_lo, s2
	s_wait_loadcnt_dscnt 0x0
	v_fmac_f32_e32 v91, v95, v96
	s_and_not1_b32 exec_lo, exec_lo, s2
	s_cbranch_execnz .LBB52_695
; %bb.696:
	s_or_b32 exec_lo, exec_lo, s2
.LBB52_697:
	s_delay_alu instid0(SALU_CYCLE_1)
	s_or_b32 exec_lo, exec_lo, s1
	v_mov_b32_e32 v92, 0
	ds_load_b32 v92, v92 offset:76
	s_wait_dscnt 0x0
	v_mul_f32_e32 v91, v91, v92
	scratch_store_b32 off, v91, off offset:76
.LBB52_698:
	s_wait_xcnt 0x0
	s_or_b32 exec_lo, exec_lo, s0
	scratch_load_b32 v91, off, off offset:80
	s_mov_b32 s0, exec_lo
	s_wait_loadcnt 0x0
	ds_store_b32 v1, v91
	s_wait_storecnt_dscnt 0x0
	s_barrier_signal -1
	s_barrier_wait -1
	s_wait_xcnt 0x0
	v_cmpx_gt_u32_e32 20, v0
	s_cbranch_execz .LBB52_708
; %bb.699:
	v_cmp_ne_u32_e32 vcc_lo, 1, v90
	s_cbranch_vccnz .LBB52_701
; %bb.700:
	scratch_load_b32 v91, v7, off
	ds_load_b32 v92, v1
	s_wait_loadcnt_dscnt 0x0
	v_mul_f32_e32 v91, v91, v92
	s_cbranch_execz .LBB52_702
	s_branch .LBB52_703
.LBB52_701:
                                        ; implicit-def: $vgpr91
.LBB52_702:
	ds_load_b32 v91, v1
.LBB52_703:
	s_mov_b32 s1, exec_lo
	v_cmpx_ne_u32_e32 19, v0
	s_cbranch_execz .LBB52_707
; %bb.704:
	v_add_nc_u32_e32 v92, 0xe4, v6
	v_add3_u32 v93, 0, v6, 4
	v_mov_b32_e32 v94, v0
	s_mov_b32 s2, 0
.LBB52_705:                             ; =>This Inner Loop Header: Depth=1
	scratch_load_b32 v95, v93, off
	ds_load_b32 v96, v92
	v_dual_add_nc_u32 v94, 1, v94 :: v_dual_add_nc_u32 v92, 4, v92
	s_wait_xcnt 0x0
	v_add_nc_u32_e32 v93, 4, v93
	s_delay_alu instid0(VALU_DEP_2)
	v_cmp_lt_u32_e32 vcc_lo, 18, v94
	s_or_b32 s2, vcc_lo, s2
	s_wait_loadcnt_dscnt 0x0
	v_fmac_f32_e32 v91, v95, v96
	s_and_not1_b32 exec_lo, exec_lo, s2
	s_cbranch_execnz .LBB52_705
; %bb.706:
	s_or_b32 exec_lo, exec_lo, s2
.LBB52_707:
	s_delay_alu instid0(SALU_CYCLE_1)
	s_or_b32 exec_lo, exec_lo, s1
	v_mov_b32_e32 v92, 0
	ds_load_b32 v92, v92 offset:80
	s_wait_dscnt 0x0
	v_mul_f32_e32 v91, v91, v92
	scratch_store_b32 off, v91, off offset:80
.LBB52_708:
	s_wait_xcnt 0x0
	s_or_b32 exec_lo, exec_lo, s0
	scratch_load_b32 v91, off, off offset:84
	s_mov_b32 s0, exec_lo
	s_wait_loadcnt 0x0
	ds_store_b32 v1, v91
	s_wait_storecnt_dscnt 0x0
	s_barrier_signal -1
	s_barrier_wait -1
	s_wait_xcnt 0x0
	v_cmpx_gt_u32_e32 21, v0
	s_cbranch_execz .LBB52_718
; %bb.709:
	v_cmp_ne_u32_e32 vcc_lo, 1, v90
	s_cbranch_vccnz .LBB52_711
; %bb.710:
	scratch_load_b32 v91, v7, off
	ds_load_b32 v92, v1
	s_wait_loadcnt_dscnt 0x0
	v_mul_f32_e32 v91, v91, v92
	s_cbranch_execz .LBB52_712
	s_branch .LBB52_713
.LBB52_711:
                                        ; implicit-def: $vgpr91
.LBB52_712:
	ds_load_b32 v91, v1
.LBB52_713:
	s_mov_b32 s1, exec_lo
	v_cmpx_ne_u32_e32 20, v0
	s_cbranch_execz .LBB52_717
; %bb.714:
	v_add_nc_u32_e32 v92, 0xe4, v6
	v_add3_u32 v93, 0, v6, 4
	v_mov_b32_e32 v94, v0
	s_mov_b32 s2, 0
.LBB52_715:                             ; =>This Inner Loop Header: Depth=1
	scratch_load_b32 v95, v93, off
	ds_load_b32 v96, v92
	v_dual_add_nc_u32 v94, 1, v94 :: v_dual_add_nc_u32 v92, 4, v92
	s_wait_xcnt 0x0
	v_add_nc_u32_e32 v93, 4, v93
	s_delay_alu instid0(VALU_DEP_2)
	v_cmp_lt_u32_e32 vcc_lo, 19, v94
	s_or_b32 s2, vcc_lo, s2
	s_wait_loadcnt_dscnt 0x0
	v_fmac_f32_e32 v91, v95, v96
	s_and_not1_b32 exec_lo, exec_lo, s2
	s_cbranch_execnz .LBB52_715
; %bb.716:
	s_or_b32 exec_lo, exec_lo, s2
.LBB52_717:
	s_delay_alu instid0(SALU_CYCLE_1)
	s_or_b32 exec_lo, exec_lo, s1
	v_mov_b32_e32 v92, 0
	ds_load_b32 v92, v92 offset:84
	s_wait_dscnt 0x0
	v_mul_f32_e32 v91, v91, v92
	scratch_store_b32 off, v91, off offset:84
.LBB52_718:
	s_wait_xcnt 0x0
	s_or_b32 exec_lo, exec_lo, s0
	scratch_load_b32 v91, off, off offset:88
	s_mov_b32 s0, exec_lo
	s_wait_loadcnt 0x0
	ds_store_b32 v1, v91
	s_wait_storecnt_dscnt 0x0
	s_barrier_signal -1
	s_barrier_wait -1
	s_wait_xcnt 0x0
	v_cmpx_gt_u32_e32 22, v0
	s_cbranch_execz .LBB52_728
; %bb.719:
	v_cmp_ne_u32_e32 vcc_lo, 1, v90
	s_cbranch_vccnz .LBB52_721
; %bb.720:
	scratch_load_b32 v91, v7, off
	ds_load_b32 v92, v1
	s_wait_loadcnt_dscnt 0x0
	v_mul_f32_e32 v91, v91, v92
	s_cbranch_execz .LBB52_722
	s_branch .LBB52_723
.LBB52_721:
                                        ; implicit-def: $vgpr91
.LBB52_722:
	ds_load_b32 v91, v1
.LBB52_723:
	s_mov_b32 s1, exec_lo
	v_cmpx_ne_u32_e32 21, v0
	s_cbranch_execz .LBB52_727
; %bb.724:
	v_add_nc_u32_e32 v92, 0xe4, v6
	v_add3_u32 v93, 0, v6, 4
	v_mov_b32_e32 v94, v0
	s_mov_b32 s2, 0
.LBB52_725:                             ; =>This Inner Loop Header: Depth=1
	scratch_load_b32 v95, v93, off
	ds_load_b32 v96, v92
	v_dual_add_nc_u32 v94, 1, v94 :: v_dual_add_nc_u32 v92, 4, v92
	s_wait_xcnt 0x0
	v_add_nc_u32_e32 v93, 4, v93
	s_delay_alu instid0(VALU_DEP_2)
	v_cmp_lt_u32_e32 vcc_lo, 20, v94
	s_or_b32 s2, vcc_lo, s2
	s_wait_loadcnt_dscnt 0x0
	v_fmac_f32_e32 v91, v95, v96
	s_and_not1_b32 exec_lo, exec_lo, s2
	s_cbranch_execnz .LBB52_725
; %bb.726:
	s_or_b32 exec_lo, exec_lo, s2
.LBB52_727:
	s_delay_alu instid0(SALU_CYCLE_1)
	s_or_b32 exec_lo, exec_lo, s1
	v_mov_b32_e32 v92, 0
	ds_load_b32 v92, v92 offset:88
	s_wait_dscnt 0x0
	v_mul_f32_e32 v91, v91, v92
	scratch_store_b32 off, v91, off offset:88
.LBB52_728:
	s_wait_xcnt 0x0
	s_or_b32 exec_lo, exec_lo, s0
	scratch_load_b32 v91, off, off offset:92
	s_mov_b32 s0, exec_lo
	s_wait_loadcnt 0x0
	ds_store_b32 v1, v91
	s_wait_storecnt_dscnt 0x0
	s_barrier_signal -1
	s_barrier_wait -1
	s_wait_xcnt 0x0
	v_cmpx_gt_u32_e32 23, v0
	s_cbranch_execz .LBB52_738
; %bb.729:
	v_cmp_ne_u32_e32 vcc_lo, 1, v90
	s_cbranch_vccnz .LBB52_731
; %bb.730:
	scratch_load_b32 v91, v7, off
	ds_load_b32 v92, v1
	s_wait_loadcnt_dscnt 0x0
	v_mul_f32_e32 v91, v91, v92
	s_cbranch_execz .LBB52_732
	s_branch .LBB52_733
.LBB52_731:
                                        ; implicit-def: $vgpr91
.LBB52_732:
	ds_load_b32 v91, v1
.LBB52_733:
	s_mov_b32 s1, exec_lo
	v_cmpx_ne_u32_e32 22, v0
	s_cbranch_execz .LBB52_737
; %bb.734:
	v_add_nc_u32_e32 v92, 0xe4, v6
	v_add3_u32 v93, 0, v6, 4
	v_mov_b32_e32 v94, v0
	s_mov_b32 s2, 0
.LBB52_735:                             ; =>This Inner Loop Header: Depth=1
	scratch_load_b32 v95, v93, off
	ds_load_b32 v96, v92
	v_dual_add_nc_u32 v94, 1, v94 :: v_dual_add_nc_u32 v92, 4, v92
	s_wait_xcnt 0x0
	v_add_nc_u32_e32 v93, 4, v93
	s_delay_alu instid0(VALU_DEP_2)
	v_cmp_lt_u32_e32 vcc_lo, 21, v94
	s_or_b32 s2, vcc_lo, s2
	s_wait_loadcnt_dscnt 0x0
	v_fmac_f32_e32 v91, v95, v96
	s_and_not1_b32 exec_lo, exec_lo, s2
	s_cbranch_execnz .LBB52_735
; %bb.736:
	s_or_b32 exec_lo, exec_lo, s2
.LBB52_737:
	s_delay_alu instid0(SALU_CYCLE_1)
	s_or_b32 exec_lo, exec_lo, s1
	v_mov_b32_e32 v92, 0
	ds_load_b32 v92, v92 offset:92
	s_wait_dscnt 0x0
	v_mul_f32_e32 v91, v91, v92
	scratch_store_b32 off, v91, off offset:92
.LBB52_738:
	s_wait_xcnt 0x0
	s_or_b32 exec_lo, exec_lo, s0
	scratch_load_b32 v91, off, off offset:96
	s_mov_b32 s0, exec_lo
	s_wait_loadcnt 0x0
	ds_store_b32 v1, v91
	s_wait_storecnt_dscnt 0x0
	s_barrier_signal -1
	s_barrier_wait -1
	s_wait_xcnt 0x0
	v_cmpx_gt_u32_e32 24, v0
	s_cbranch_execz .LBB52_748
; %bb.739:
	v_cmp_ne_u32_e32 vcc_lo, 1, v90
	s_cbranch_vccnz .LBB52_741
; %bb.740:
	scratch_load_b32 v91, v7, off
	ds_load_b32 v92, v1
	s_wait_loadcnt_dscnt 0x0
	v_mul_f32_e32 v91, v91, v92
	s_cbranch_execz .LBB52_742
	s_branch .LBB52_743
.LBB52_741:
                                        ; implicit-def: $vgpr91
.LBB52_742:
	ds_load_b32 v91, v1
.LBB52_743:
	s_mov_b32 s1, exec_lo
	v_cmpx_ne_u32_e32 23, v0
	s_cbranch_execz .LBB52_747
; %bb.744:
	v_add_nc_u32_e32 v92, 0xe4, v6
	v_add3_u32 v93, 0, v6, 4
	v_mov_b32_e32 v94, v0
	s_mov_b32 s2, 0
.LBB52_745:                             ; =>This Inner Loop Header: Depth=1
	scratch_load_b32 v95, v93, off
	ds_load_b32 v96, v92
	v_dual_add_nc_u32 v94, 1, v94 :: v_dual_add_nc_u32 v92, 4, v92
	s_wait_xcnt 0x0
	v_add_nc_u32_e32 v93, 4, v93
	s_delay_alu instid0(VALU_DEP_2)
	v_cmp_lt_u32_e32 vcc_lo, 22, v94
	s_or_b32 s2, vcc_lo, s2
	s_wait_loadcnt_dscnt 0x0
	v_fmac_f32_e32 v91, v95, v96
	s_and_not1_b32 exec_lo, exec_lo, s2
	s_cbranch_execnz .LBB52_745
; %bb.746:
	s_or_b32 exec_lo, exec_lo, s2
.LBB52_747:
	s_delay_alu instid0(SALU_CYCLE_1)
	s_or_b32 exec_lo, exec_lo, s1
	v_mov_b32_e32 v92, 0
	ds_load_b32 v92, v92 offset:96
	s_wait_dscnt 0x0
	v_mul_f32_e32 v91, v91, v92
	scratch_store_b32 off, v91, off offset:96
.LBB52_748:
	s_wait_xcnt 0x0
	s_or_b32 exec_lo, exec_lo, s0
	scratch_load_b32 v91, off, off offset:100
	s_mov_b32 s0, exec_lo
	s_wait_loadcnt 0x0
	ds_store_b32 v1, v91
	s_wait_storecnt_dscnt 0x0
	s_barrier_signal -1
	s_barrier_wait -1
	s_wait_xcnt 0x0
	v_cmpx_gt_u32_e32 25, v0
	s_cbranch_execz .LBB52_758
; %bb.749:
	v_cmp_ne_u32_e32 vcc_lo, 1, v90
	s_cbranch_vccnz .LBB52_751
; %bb.750:
	scratch_load_b32 v91, v7, off
	ds_load_b32 v92, v1
	s_wait_loadcnt_dscnt 0x0
	v_mul_f32_e32 v91, v91, v92
	s_cbranch_execz .LBB52_752
	s_branch .LBB52_753
.LBB52_751:
                                        ; implicit-def: $vgpr91
.LBB52_752:
	ds_load_b32 v91, v1
.LBB52_753:
	s_mov_b32 s1, exec_lo
	v_cmpx_ne_u32_e32 24, v0
	s_cbranch_execz .LBB52_757
; %bb.754:
	v_add_nc_u32_e32 v92, 0xe4, v6
	v_add3_u32 v93, 0, v6, 4
	v_mov_b32_e32 v94, v0
	s_mov_b32 s2, 0
.LBB52_755:                             ; =>This Inner Loop Header: Depth=1
	scratch_load_b32 v95, v93, off
	ds_load_b32 v96, v92
	v_dual_add_nc_u32 v94, 1, v94 :: v_dual_add_nc_u32 v92, 4, v92
	s_wait_xcnt 0x0
	v_add_nc_u32_e32 v93, 4, v93
	s_delay_alu instid0(VALU_DEP_2)
	v_cmp_lt_u32_e32 vcc_lo, 23, v94
	s_or_b32 s2, vcc_lo, s2
	s_wait_loadcnt_dscnt 0x0
	v_fmac_f32_e32 v91, v95, v96
	s_and_not1_b32 exec_lo, exec_lo, s2
	s_cbranch_execnz .LBB52_755
; %bb.756:
	s_or_b32 exec_lo, exec_lo, s2
.LBB52_757:
	s_delay_alu instid0(SALU_CYCLE_1)
	s_or_b32 exec_lo, exec_lo, s1
	v_mov_b32_e32 v92, 0
	ds_load_b32 v92, v92 offset:100
	s_wait_dscnt 0x0
	v_mul_f32_e32 v91, v91, v92
	scratch_store_b32 off, v91, off offset:100
.LBB52_758:
	s_wait_xcnt 0x0
	s_or_b32 exec_lo, exec_lo, s0
	scratch_load_b32 v91, off, off offset:104
	s_mov_b32 s0, exec_lo
	s_wait_loadcnt 0x0
	ds_store_b32 v1, v91
	s_wait_storecnt_dscnt 0x0
	s_barrier_signal -1
	s_barrier_wait -1
	s_wait_xcnt 0x0
	v_cmpx_gt_u32_e32 26, v0
	s_cbranch_execz .LBB52_768
; %bb.759:
	v_cmp_ne_u32_e32 vcc_lo, 1, v90
	s_cbranch_vccnz .LBB52_761
; %bb.760:
	scratch_load_b32 v91, v7, off
	ds_load_b32 v92, v1
	s_wait_loadcnt_dscnt 0x0
	v_mul_f32_e32 v91, v91, v92
	s_cbranch_execz .LBB52_762
	s_branch .LBB52_763
.LBB52_761:
                                        ; implicit-def: $vgpr91
.LBB52_762:
	ds_load_b32 v91, v1
.LBB52_763:
	s_mov_b32 s1, exec_lo
	v_cmpx_ne_u32_e32 25, v0
	s_cbranch_execz .LBB52_767
; %bb.764:
	v_add_nc_u32_e32 v92, 0xe4, v6
	v_add3_u32 v93, 0, v6, 4
	v_mov_b32_e32 v94, v0
	s_mov_b32 s2, 0
.LBB52_765:                             ; =>This Inner Loop Header: Depth=1
	scratch_load_b32 v95, v93, off
	ds_load_b32 v96, v92
	v_dual_add_nc_u32 v94, 1, v94 :: v_dual_add_nc_u32 v92, 4, v92
	s_wait_xcnt 0x0
	v_add_nc_u32_e32 v93, 4, v93
	s_delay_alu instid0(VALU_DEP_2)
	v_cmp_lt_u32_e32 vcc_lo, 24, v94
	s_or_b32 s2, vcc_lo, s2
	s_wait_loadcnt_dscnt 0x0
	v_fmac_f32_e32 v91, v95, v96
	s_and_not1_b32 exec_lo, exec_lo, s2
	s_cbranch_execnz .LBB52_765
; %bb.766:
	s_or_b32 exec_lo, exec_lo, s2
.LBB52_767:
	s_delay_alu instid0(SALU_CYCLE_1)
	s_or_b32 exec_lo, exec_lo, s1
	v_mov_b32_e32 v92, 0
	ds_load_b32 v92, v92 offset:104
	s_wait_dscnt 0x0
	v_mul_f32_e32 v91, v91, v92
	scratch_store_b32 off, v91, off offset:104
.LBB52_768:
	s_wait_xcnt 0x0
	s_or_b32 exec_lo, exec_lo, s0
	scratch_load_b32 v91, off, off offset:108
	s_mov_b32 s0, exec_lo
	s_wait_loadcnt 0x0
	ds_store_b32 v1, v91
	s_wait_storecnt_dscnt 0x0
	s_barrier_signal -1
	s_barrier_wait -1
	s_wait_xcnt 0x0
	v_cmpx_gt_u32_e32 27, v0
	s_cbranch_execz .LBB52_778
; %bb.769:
	v_cmp_ne_u32_e32 vcc_lo, 1, v90
	s_cbranch_vccnz .LBB52_771
; %bb.770:
	scratch_load_b32 v91, v7, off
	ds_load_b32 v92, v1
	s_wait_loadcnt_dscnt 0x0
	v_mul_f32_e32 v91, v91, v92
	s_cbranch_execz .LBB52_772
	s_branch .LBB52_773
.LBB52_771:
                                        ; implicit-def: $vgpr91
.LBB52_772:
	ds_load_b32 v91, v1
.LBB52_773:
	s_mov_b32 s1, exec_lo
	v_cmpx_ne_u32_e32 26, v0
	s_cbranch_execz .LBB52_777
; %bb.774:
	v_add_nc_u32_e32 v92, 0xe4, v6
	v_add3_u32 v93, 0, v6, 4
	v_mov_b32_e32 v94, v0
	s_mov_b32 s2, 0
.LBB52_775:                             ; =>This Inner Loop Header: Depth=1
	scratch_load_b32 v95, v93, off
	ds_load_b32 v96, v92
	v_dual_add_nc_u32 v94, 1, v94 :: v_dual_add_nc_u32 v92, 4, v92
	s_wait_xcnt 0x0
	v_add_nc_u32_e32 v93, 4, v93
	s_delay_alu instid0(VALU_DEP_2)
	v_cmp_lt_u32_e32 vcc_lo, 25, v94
	s_or_b32 s2, vcc_lo, s2
	s_wait_loadcnt_dscnt 0x0
	v_fmac_f32_e32 v91, v95, v96
	s_and_not1_b32 exec_lo, exec_lo, s2
	s_cbranch_execnz .LBB52_775
; %bb.776:
	s_or_b32 exec_lo, exec_lo, s2
.LBB52_777:
	s_delay_alu instid0(SALU_CYCLE_1)
	s_or_b32 exec_lo, exec_lo, s1
	v_mov_b32_e32 v92, 0
	ds_load_b32 v92, v92 offset:108
	s_wait_dscnt 0x0
	v_mul_f32_e32 v91, v91, v92
	scratch_store_b32 off, v91, off offset:108
.LBB52_778:
	s_wait_xcnt 0x0
	s_or_b32 exec_lo, exec_lo, s0
	scratch_load_b32 v91, off, off offset:112
	s_mov_b32 s0, exec_lo
	s_wait_loadcnt 0x0
	ds_store_b32 v1, v91
	s_wait_storecnt_dscnt 0x0
	s_barrier_signal -1
	s_barrier_wait -1
	s_wait_xcnt 0x0
	v_cmpx_gt_u32_e32 28, v0
	s_cbranch_execz .LBB52_788
; %bb.779:
	v_cmp_ne_u32_e32 vcc_lo, 1, v90
	s_cbranch_vccnz .LBB52_781
; %bb.780:
	scratch_load_b32 v91, v7, off
	ds_load_b32 v92, v1
	s_wait_loadcnt_dscnt 0x0
	v_mul_f32_e32 v91, v91, v92
	s_cbranch_execz .LBB52_782
	s_branch .LBB52_783
.LBB52_781:
                                        ; implicit-def: $vgpr91
.LBB52_782:
	ds_load_b32 v91, v1
.LBB52_783:
	s_mov_b32 s1, exec_lo
	v_cmpx_ne_u32_e32 27, v0
	s_cbranch_execz .LBB52_787
; %bb.784:
	v_add_nc_u32_e32 v92, 0xe4, v6
	v_add3_u32 v93, 0, v6, 4
	v_mov_b32_e32 v94, v0
	s_mov_b32 s2, 0
.LBB52_785:                             ; =>This Inner Loop Header: Depth=1
	scratch_load_b32 v95, v93, off
	ds_load_b32 v96, v92
	v_dual_add_nc_u32 v94, 1, v94 :: v_dual_add_nc_u32 v92, 4, v92
	s_wait_xcnt 0x0
	v_add_nc_u32_e32 v93, 4, v93
	s_delay_alu instid0(VALU_DEP_2)
	v_cmp_lt_u32_e32 vcc_lo, 26, v94
	s_or_b32 s2, vcc_lo, s2
	s_wait_loadcnt_dscnt 0x0
	v_fmac_f32_e32 v91, v95, v96
	s_and_not1_b32 exec_lo, exec_lo, s2
	s_cbranch_execnz .LBB52_785
; %bb.786:
	s_or_b32 exec_lo, exec_lo, s2
.LBB52_787:
	s_delay_alu instid0(SALU_CYCLE_1)
	s_or_b32 exec_lo, exec_lo, s1
	v_mov_b32_e32 v92, 0
	ds_load_b32 v92, v92 offset:112
	s_wait_dscnt 0x0
	v_mul_f32_e32 v91, v91, v92
	scratch_store_b32 off, v91, off offset:112
.LBB52_788:
	s_wait_xcnt 0x0
	s_or_b32 exec_lo, exec_lo, s0
	scratch_load_b32 v91, off, off offset:116
	s_mov_b32 s0, exec_lo
	s_wait_loadcnt 0x0
	ds_store_b32 v1, v91
	s_wait_storecnt_dscnt 0x0
	s_barrier_signal -1
	s_barrier_wait -1
	s_wait_xcnt 0x0
	v_cmpx_gt_u32_e32 29, v0
	s_cbranch_execz .LBB52_798
; %bb.789:
	v_cmp_ne_u32_e32 vcc_lo, 1, v90
	s_cbranch_vccnz .LBB52_791
; %bb.790:
	scratch_load_b32 v91, v7, off
	ds_load_b32 v92, v1
	s_wait_loadcnt_dscnt 0x0
	v_mul_f32_e32 v91, v91, v92
	s_cbranch_execz .LBB52_792
	s_branch .LBB52_793
.LBB52_791:
                                        ; implicit-def: $vgpr91
.LBB52_792:
	ds_load_b32 v91, v1
.LBB52_793:
	s_mov_b32 s1, exec_lo
	v_cmpx_ne_u32_e32 28, v0
	s_cbranch_execz .LBB52_797
; %bb.794:
	v_add_nc_u32_e32 v92, 0xe4, v6
	v_add3_u32 v93, 0, v6, 4
	v_mov_b32_e32 v94, v0
	s_mov_b32 s2, 0
.LBB52_795:                             ; =>This Inner Loop Header: Depth=1
	scratch_load_b32 v95, v93, off
	ds_load_b32 v96, v92
	v_dual_add_nc_u32 v94, 1, v94 :: v_dual_add_nc_u32 v92, 4, v92
	s_wait_xcnt 0x0
	v_add_nc_u32_e32 v93, 4, v93
	s_delay_alu instid0(VALU_DEP_2)
	v_cmp_lt_u32_e32 vcc_lo, 27, v94
	s_or_b32 s2, vcc_lo, s2
	s_wait_loadcnt_dscnt 0x0
	v_fmac_f32_e32 v91, v95, v96
	s_and_not1_b32 exec_lo, exec_lo, s2
	s_cbranch_execnz .LBB52_795
; %bb.796:
	s_or_b32 exec_lo, exec_lo, s2
.LBB52_797:
	s_delay_alu instid0(SALU_CYCLE_1)
	s_or_b32 exec_lo, exec_lo, s1
	v_mov_b32_e32 v92, 0
	ds_load_b32 v92, v92 offset:116
	s_wait_dscnt 0x0
	v_mul_f32_e32 v91, v91, v92
	scratch_store_b32 off, v91, off offset:116
.LBB52_798:
	s_wait_xcnt 0x0
	s_or_b32 exec_lo, exec_lo, s0
	scratch_load_b32 v91, off, off offset:120
	s_mov_b32 s0, exec_lo
	s_wait_loadcnt 0x0
	ds_store_b32 v1, v91
	s_wait_storecnt_dscnt 0x0
	s_barrier_signal -1
	s_barrier_wait -1
	s_wait_xcnt 0x0
	v_cmpx_gt_u32_e32 30, v0
	s_cbranch_execz .LBB52_808
; %bb.799:
	v_cmp_ne_u32_e32 vcc_lo, 1, v90
	s_cbranch_vccnz .LBB52_801
; %bb.800:
	scratch_load_b32 v91, v7, off
	ds_load_b32 v92, v1
	s_wait_loadcnt_dscnt 0x0
	v_mul_f32_e32 v91, v91, v92
	s_cbranch_execz .LBB52_802
	s_branch .LBB52_803
.LBB52_801:
                                        ; implicit-def: $vgpr91
.LBB52_802:
	ds_load_b32 v91, v1
.LBB52_803:
	s_mov_b32 s1, exec_lo
	v_cmpx_ne_u32_e32 29, v0
	s_cbranch_execz .LBB52_807
; %bb.804:
	v_add_nc_u32_e32 v92, 0xe4, v6
	v_add3_u32 v93, 0, v6, 4
	v_mov_b32_e32 v94, v0
	s_mov_b32 s2, 0
.LBB52_805:                             ; =>This Inner Loop Header: Depth=1
	scratch_load_b32 v95, v93, off
	ds_load_b32 v96, v92
	v_dual_add_nc_u32 v94, 1, v94 :: v_dual_add_nc_u32 v92, 4, v92
	s_wait_xcnt 0x0
	v_add_nc_u32_e32 v93, 4, v93
	s_delay_alu instid0(VALU_DEP_2)
	v_cmp_lt_u32_e32 vcc_lo, 28, v94
	s_or_b32 s2, vcc_lo, s2
	s_wait_loadcnt_dscnt 0x0
	v_fmac_f32_e32 v91, v95, v96
	s_and_not1_b32 exec_lo, exec_lo, s2
	s_cbranch_execnz .LBB52_805
; %bb.806:
	s_or_b32 exec_lo, exec_lo, s2
.LBB52_807:
	s_delay_alu instid0(SALU_CYCLE_1)
	s_or_b32 exec_lo, exec_lo, s1
	v_mov_b32_e32 v92, 0
	ds_load_b32 v92, v92 offset:120
	s_wait_dscnt 0x0
	v_mul_f32_e32 v91, v91, v92
	scratch_store_b32 off, v91, off offset:120
.LBB52_808:
	s_wait_xcnt 0x0
	s_or_b32 exec_lo, exec_lo, s0
	scratch_load_b32 v91, off, off offset:124
	s_mov_b32 s0, exec_lo
	s_wait_loadcnt 0x0
	ds_store_b32 v1, v91
	s_wait_storecnt_dscnt 0x0
	s_barrier_signal -1
	s_barrier_wait -1
	s_wait_xcnt 0x0
	v_cmpx_gt_u32_e32 31, v0
	s_cbranch_execz .LBB52_818
; %bb.809:
	v_cmp_ne_u32_e32 vcc_lo, 1, v90
	s_cbranch_vccnz .LBB52_811
; %bb.810:
	scratch_load_b32 v91, v7, off
	ds_load_b32 v92, v1
	s_wait_loadcnt_dscnt 0x0
	v_mul_f32_e32 v91, v91, v92
	s_cbranch_execz .LBB52_812
	s_branch .LBB52_813
.LBB52_811:
                                        ; implicit-def: $vgpr91
.LBB52_812:
	ds_load_b32 v91, v1
.LBB52_813:
	s_mov_b32 s1, exec_lo
	v_cmpx_ne_u32_e32 30, v0
	s_cbranch_execz .LBB52_817
; %bb.814:
	v_add_nc_u32_e32 v92, 0xe4, v6
	v_add3_u32 v93, 0, v6, 4
	v_mov_b32_e32 v94, v0
	s_mov_b32 s2, 0
.LBB52_815:                             ; =>This Inner Loop Header: Depth=1
	scratch_load_b32 v95, v93, off
	ds_load_b32 v96, v92
	v_dual_add_nc_u32 v94, 1, v94 :: v_dual_add_nc_u32 v92, 4, v92
	s_wait_xcnt 0x0
	v_add_nc_u32_e32 v93, 4, v93
	s_delay_alu instid0(VALU_DEP_2)
	v_cmp_lt_u32_e32 vcc_lo, 29, v94
	s_or_b32 s2, vcc_lo, s2
	s_wait_loadcnt_dscnt 0x0
	v_fmac_f32_e32 v91, v95, v96
	s_and_not1_b32 exec_lo, exec_lo, s2
	s_cbranch_execnz .LBB52_815
; %bb.816:
	s_or_b32 exec_lo, exec_lo, s2
.LBB52_817:
	s_delay_alu instid0(SALU_CYCLE_1)
	s_or_b32 exec_lo, exec_lo, s1
	v_mov_b32_e32 v92, 0
	ds_load_b32 v92, v92 offset:124
	s_wait_dscnt 0x0
	v_mul_f32_e32 v91, v91, v92
	scratch_store_b32 off, v91, off offset:124
.LBB52_818:
	s_wait_xcnt 0x0
	s_or_b32 exec_lo, exec_lo, s0
	scratch_load_b32 v91, off, off offset:128
	s_mov_b32 s0, exec_lo
	s_wait_loadcnt 0x0
	ds_store_b32 v1, v91
	s_wait_storecnt_dscnt 0x0
	s_barrier_signal -1
	s_barrier_wait -1
	s_wait_xcnt 0x0
	v_cmpx_gt_u32_e32 32, v0
	s_cbranch_execz .LBB52_828
; %bb.819:
	v_cmp_ne_u32_e32 vcc_lo, 1, v90
	s_cbranch_vccnz .LBB52_821
; %bb.820:
	scratch_load_b32 v91, v7, off
	ds_load_b32 v92, v1
	s_wait_loadcnt_dscnt 0x0
	v_mul_f32_e32 v91, v91, v92
	s_cbranch_execz .LBB52_822
	s_branch .LBB52_823
.LBB52_821:
                                        ; implicit-def: $vgpr91
.LBB52_822:
	ds_load_b32 v91, v1
.LBB52_823:
	s_mov_b32 s1, exec_lo
	v_cmpx_ne_u32_e32 31, v0
	s_cbranch_execz .LBB52_827
; %bb.824:
	v_add_nc_u32_e32 v92, 0xe4, v6
	v_add3_u32 v93, 0, v6, 4
	v_mov_b32_e32 v94, v0
	s_mov_b32 s2, 0
.LBB52_825:                             ; =>This Inner Loop Header: Depth=1
	scratch_load_b32 v95, v93, off
	ds_load_b32 v96, v92
	v_dual_add_nc_u32 v94, 1, v94 :: v_dual_add_nc_u32 v92, 4, v92
	s_wait_xcnt 0x0
	v_add_nc_u32_e32 v93, 4, v93
	s_delay_alu instid0(VALU_DEP_2)
	v_cmp_lt_u32_e32 vcc_lo, 30, v94
	s_or_b32 s2, vcc_lo, s2
	s_wait_loadcnt_dscnt 0x0
	v_fmac_f32_e32 v91, v95, v96
	s_and_not1_b32 exec_lo, exec_lo, s2
	s_cbranch_execnz .LBB52_825
; %bb.826:
	s_or_b32 exec_lo, exec_lo, s2
.LBB52_827:
	s_delay_alu instid0(SALU_CYCLE_1)
	s_or_b32 exec_lo, exec_lo, s1
	v_mov_b32_e32 v92, 0
	ds_load_b32 v92, v92 offset:128
	s_wait_dscnt 0x0
	v_mul_f32_e32 v91, v91, v92
	scratch_store_b32 off, v91, off offset:128
.LBB52_828:
	s_wait_xcnt 0x0
	s_or_b32 exec_lo, exec_lo, s0
	scratch_load_b32 v91, off, off offset:132
	s_mov_b32 s0, exec_lo
	s_wait_loadcnt 0x0
	ds_store_b32 v1, v91
	s_wait_storecnt_dscnt 0x0
	s_barrier_signal -1
	s_barrier_wait -1
	s_wait_xcnt 0x0
	v_cmpx_gt_u32_e32 33, v0
	s_cbranch_execz .LBB52_838
; %bb.829:
	v_cmp_ne_u32_e32 vcc_lo, 1, v90
	s_cbranch_vccnz .LBB52_831
; %bb.830:
	scratch_load_b32 v91, v7, off
	ds_load_b32 v92, v1
	s_wait_loadcnt_dscnt 0x0
	v_mul_f32_e32 v91, v91, v92
	s_cbranch_execz .LBB52_832
	s_branch .LBB52_833
.LBB52_831:
                                        ; implicit-def: $vgpr91
.LBB52_832:
	ds_load_b32 v91, v1
.LBB52_833:
	s_mov_b32 s1, exec_lo
	v_cmpx_ne_u32_e32 32, v0
	s_cbranch_execz .LBB52_837
; %bb.834:
	v_add_nc_u32_e32 v92, 0xe4, v6
	v_add3_u32 v93, 0, v6, 4
	v_mov_b32_e32 v94, v0
	s_mov_b32 s2, 0
.LBB52_835:                             ; =>This Inner Loop Header: Depth=1
	scratch_load_b32 v95, v93, off
	ds_load_b32 v96, v92
	v_dual_add_nc_u32 v94, 1, v94 :: v_dual_add_nc_u32 v92, 4, v92
	s_wait_xcnt 0x0
	v_add_nc_u32_e32 v93, 4, v93
	s_delay_alu instid0(VALU_DEP_2)
	v_cmp_lt_u32_e32 vcc_lo, 31, v94
	s_or_b32 s2, vcc_lo, s2
	s_wait_loadcnt_dscnt 0x0
	v_fmac_f32_e32 v91, v95, v96
	s_and_not1_b32 exec_lo, exec_lo, s2
	s_cbranch_execnz .LBB52_835
; %bb.836:
	s_or_b32 exec_lo, exec_lo, s2
.LBB52_837:
	s_delay_alu instid0(SALU_CYCLE_1)
	s_or_b32 exec_lo, exec_lo, s1
	v_mov_b32_e32 v92, 0
	ds_load_b32 v92, v92 offset:132
	s_wait_dscnt 0x0
	v_mul_f32_e32 v91, v91, v92
	scratch_store_b32 off, v91, off offset:132
.LBB52_838:
	s_wait_xcnt 0x0
	s_or_b32 exec_lo, exec_lo, s0
	scratch_load_b32 v91, off, off offset:136
	s_mov_b32 s0, exec_lo
	s_wait_loadcnt 0x0
	ds_store_b32 v1, v91
	s_wait_storecnt_dscnt 0x0
	s_barrier_signal -1
	s_barrier_wait -1
	s_wait_xcnt 0x0
	v_cmpx_gt_u32_e32 34, v0
	s_cbranch_execz .LBB52_848
; %bb.839:
	v_cmp_ne_u32_e32 vcc_lo, 1, v90
	s_cbranch_vccnz .LBB52_841
; %bb.840:
	scratch_load_b32 v91, v7, off
	ds_load_b32 v92, v1
	s_wait_loadcnt_dscnt 0x0
	v_mul_f32_e32 v91, v91, v92
	s_cbranch_execz .LBB52_842
	s_branch .LBB52_843
.LBB52_841:
                                        ; implicit-def: $vgpr91
.LBB52_842:
	ds_load_b32 v91, v1
.LBB52_843:
	s_mov_b32 s1, exec_lo
	v_cmpx_ne_u32_e32 33, v0
	s_cbranch_execz .LBB52_847
; %bb.844:
	v_add_nc_u32_e32 v92, 0xe4, v6
	v_add3_u32 v93, 0, v6, 4
	v_mov_b32_e32 v94, v0
	s_mov_b32 s2, 0
.LBB52_845:                             ; =>This Inner Loop Header: Depth=1
	scratch_load_b32 v95, v93, off
	ds_load_b32 v96, v92
	v_dual_add_nc_u32 v94, 1, v94 :: v_dual_add_nc_u32 v92, 4, v92
	s_wait_xcnt 0x0
	v_add_nc_u32_e32 v93, 4, v93
	s_delay_alu instid0(VALU_DEP_2)
	v_cmp_lt_u32_e32 vcc_lo, 32, v94
	s_or_b32 s2, vcc_lo, s2
	s_wait_loadcnt_dscnt 0x0
	v_fmac_f32_e32 v91, v95, v96
	s_and_not1_b32 exec_lo, exec_lo, s2
	s_cbranch_execnz .LBB52_845
; %bb.846:
	s_or_b32 exec_lo, exec_lo, s2
.LBB52_847:
	s_delay_alu instid0(SALU_CYCLE_1)
	s_or_b32 exec_lo, exec_lo, s1
	v_mov_b32_e32 v92, 0
	ds_load_b32 v92, v92 offset:136
	s_wait_dscnt 0x0
	v_mul_f32_e32 v91, v91, v92
	scratch_store_b32 off, v91, off offset:136
.LBB52_848:
	s_wait_xcnt 0x0
	s_or_b32 exec_lo, exec_lo, s0
	scratch_load_b32 v91, off, off offset:140
	s_mov_b32 s0, exec_lo
	s_wait_loadcnt 0x0
	ds_store_b32 v1, v91
	s_wait_storecnt_dscnt 0x0
	s_barrier_signal -1
	s_barrier_wait -1
	s_wait_xcnt 0x0
	v_cmpx_gt_u32_e32 35, v0
	s_cbranch_execz .LBB52_858
; %bb.849:
	v_cmp_ne_u32_e32 vcc_lo, 1, v90
	s_cbranch_vccnz .LBB52_851
; %bb.850:
	scratch_load_b32 v91, v7, off
	ds_load_b32 v92, v1
	s_wait_loadcnt_dscnt 0x0
	v_mul_f32_e32 v91, v91, v92
	s_cbranch_execz .LBB52_852
	s_branch .LBB52_853
.LBB52_851:
                                        ; implicit-def: $vgpr91
.LBB52_852:
	ds_load_b32 v91, v1
.LBB52_853:
	s_mov_b32 s1, exec_lo
	v_cmpx_ne_u32_e32 34, v0
	s_cbranch_execz .LBB52_857
; %bb.854:
	v_add_nc_u32_e32 v92, 0xe4, v6
	v_add3_u32 v93, 0, v6, 4
	v_mov_b32_e32 v94, v0
	s_mov_b32 s2, 0
.LBB52_855:                             ; =>This Inner Loop Header: Depth=1
	scratch_load_b32 v95, v93, off
	ds_load_b32 v96, v92
	v_dual_add_nc_u32 v94, 1, v94 :: v_dual_add_nc_u32 v92, 4, v92
	s_wait_xcnt 0x0
	v_add_nc_u32_e32 v93, 4, v93
	s_delay_alu instid0(VALU_DEP_2)
	v_cmp_lt_u32_e32 vcc_lo, 33, v94
	s_or_b32 s2, vcc_lo, s2
	s_wait_loadcnt_dscnt 0x0
	v_fmac_f32_e32 v91, v95, v96
	s_and_not1_b32 exec_lo, exec_lo, s2
	s_cbranch_execnz .LBB52_855
; %bb.856:
	s_or_b32 exec_lo, exec_lo, s2
.LBB52_857:
	s_delay_alu instid0(SALU_CYCLE_1)
	s_or_b32 exec_lo, exec_lo, s1
	v_mov_b32_e32 v92, 0
	ds_load_b32 v92, v92 offset:140
	s_wait_dscnt 0x0
	v_mul_f32_e32 v91, v91, v92
	scratch_store_b32 off, v91, off offset:140
.LBB52_858:
	s_wait_xcnt 0x0
	s_or_b32 exec_lo, exec_lo, s0
	scratch_load_b32 v91, off, off offset:144
	s_mov_b32 s0, exec_lo
	s_wait_loadcnt 0x0
	ds_store_b32 v1, v91
	s_wait_storecnt_dscnt 0x0
	s_barrier_signal -1
	s_barrier_wait -1
	s_wait_xcnt 0x0
	v_cmpx_gt_u32_e32 36, v0
	s_cbranch_execz .LBB52_868
; %bb.859:
	v_cmp_ne_u32_e32 vcc_lo, 1, v90
	s_cbranch_vccnz .LBB52_861
; %bb.860:
	scratch_load_b32 v91, v7, off
	ds_load_b32 v92, v1
	s_wait_loadcnt_dscnt 0x0
	v_mul_f32_e32 v91, v91, v92
	s_cbranch_execz .LBB52_862
	s_branch .LBB52_863
.LBB52_861:
                                        ; implicit-def: $vgpr91
.LBB52_862:
	ds_load_b32 v91, v1
.LBB52_863:
	s_mov_b32 s1, exec_lo
	v_cmpx_ne_u32_e32 35, v0
	s_cbranch_execz .LBB52_867
; %bb.864:
	v_add_nc_u32_e32 v92, 0xe4, v6
	v_add3_u32 v93, 0, v6, 4
	v_mov_b32_e32 v94, v0
	s_mov_b32 s2, 0
.LBB52_865:                             ; =>This Inner Loop Header: Depth=1
	scratch_load_b32 v95, v93, off
	ds_load_b32 v96, v92
	v_dual_add_nc_u32 v94, 1, v94 :: v_dual_add_nc_u32 v92, 4, v92
	s_wait_xcnt 0x0
	v_add_nc_u32_e32 v93, 4, v93
	s_delay_alu instid0(VALU_DEP_2)
	v_cmp_lt_u32_e32 vcc_lo, 34, v94
	s_or_b32 s2, vcc_lo, s2
	s_wait_loadcnt_dscnt 0x0
	v_fmac_f32_e32 v91, v95, v96
	s_and_not1_b32 exec_lo, exec_lo, s2
	s_cbranch_execnz .LBB52_865
; %bb.866:
	s_or_b32 exec_lo, exec_lo, s2
.LBB52_867:
	s_delay_alu instid0(SALU_CYCLE_1)
	s_or_b32 exec_lo, exec_lo, s1
	v_mov_b32_e32 v92, 0
	ds_load_b32 v92, v92 offset:144
	s_wait_dscnt 0x0
	v_mul_f32_e32 v91, v91, v92
	scratch_store_b32 off, v91, off offset:144
.LBB52_868:
	s_wait_xcnt 0x0
	s_or_b32 exec_lo, exec_lo, s0
	scratch_load_b32 v91, off, off offset:148
	s_mov_b32 s0, exec_lo
	s_wait_loadcnt 0x0
	ds_store_b32 v1, v91
	s_wait_storecnt_dscnt 0x0
	s_barrier_signal -1
	s_barrier_wait -1
	s_wait_xcnt 0x0
	v_cmpx_gt_u32_e32 37, v0
	s_cbranch_execz .LBB52_878
; %bb.869:
	v_cmp_ne_u32_e32 vcc_lo, 1, v90
	s_cbranch_vccnz .LBB52_871
; %bb.870:
	scratch_load_b32 v91, v7, off
	ds_load_b32 v92, v1
	s_wait_loadcnt_dscnt 0x0
	v_mul_f32_e32 v91, v91, v92
	s_cbranch_execz .LBB52_872
	s_branch .LBB52_873
.LBB52_871:
                                        ; implicit-def: $vgpr91
.LBB52_872:
	ds_load_b32 v91, v1
.LBB52_873:
	s_mov_b32 s1, exec_lo
	v_cmpx_ne_u32_e32 36, v0
	s_cbranch_execz .LBB52_877
; %bb.874:
	v_add_nc_u32_e32 v92, 0xe4, v6
	v_add3_u32 v93, 0, v6, 4
	v_mov_b32_e32 v94, v0
	s_mov_b32 s2, 0
.LBB52_875:                             ; =>This Inner Loop Header: Depth=1
	scratch_load_b32 v95, v93, off
	ds_load_b32 v96, v92
	v_dual_add_nc_u32 v94, 1, v94 :: v_dual_add_nc_u32 v92, 4, v92
	s_wait_xcnt 0x0
	v_add_nc_u32_e32 v93, 4, v93
	s_delay_alu instid0(VALU_DEP_2)
	v_cmp_lt_u32_e32 vcc_lo, 35, v94
	s_or_b32 s2, vcc_lo, s2
	s_wait_loadcnt_dscnt 0x0
	v_fmac_f32_e32 v91, v95, v96
	s_and_not1_b32 exec_lo, exec_lo, s2
	s_cbranch_execnz .LBB52_875
; %bb.876:
	s_or_b32 exec_lo, exec_lo, s2
.LBB52_877:
	s_delay_alu instid0(SALU_CYCLE_1)
	s_or_b32 exec_lo, exec_lo, s1
	v_mov_b32_e32 v92, 0
	ds_load_b32 v92, v92 offset:148
	s_wait_dscnt 0x0
	v_mul_f32_e32 v91, v91, v92
	scratch_store_b32 off, v91, off offset:148
.LBB52_878:
	s_wait_xcnt 0x0
	s_or_b32 exec_lo, exec_lo, s0
	scratch_load_b32 v91, off, off offset:152
	s_mov_b32 s0, exec_lo
	s_wait_loadcnt 0x0
	ds_store_b32 v1, v91
	s_wait_storecnt_dscnt 0x0
	s_barrier_signal -1
	s_barrier_wait -1
	s_wait_xcnt 0x0
	v_cmpx_gt_u32_e32 38, v0
	s_cbranch_execz .LBB52_888
; %bb.879:
	v_cmp_ne_u32_e32 vcc_lo, 1, v90
	s_cbranch_vccnz .LBB52_881
; %bb.880:
	scratch_load_b32 v91, v7, off
	ds_load_b32 v92, v1
	s_wait_loadcnt_dscnt 0x0
	v_mul_f32_e32 v91, v91, v92
	s_cbranch_execz .LBB52_882
	s_branch .LBB52_883
.LBB52_881:
                                        ; implicit-def: $vgpr91
.LBB52_882:
	ds_load_b32 v91, v1
.LBB52_883:
	s_mov_b32 s1, exec_lo
	v_cmpx_ne_u32_e32 37, v0
	s_cbranch_execz .LBB52_887
; %bb.884:
	v_add_nc_u32_e32 v92, 0xe4, v6
	v_add3_u32 v93, 0, v6, 4
	v_mov_b32_e32 v94, v0
	s_mov_b32 s2, 0
.LBB52_885:                             ; =>This Inner Loop Header: Depth=1
	scratch_load_b32 v95, v93, off
	ds_load_b32 v96, v92
	v_dual_add_nc_u32 v94, 1, v94 :: v_dual_add_nc_u32 v92, 4, v92
	s_wait_xcnt 0x0
	v_add_nc_u32_e32 v93, 4, v93
	s_delay_alu instid0(VALU_DEP_2)
	v_cmp_lt_u32_e32 vcc_lo, 36, v94
	s_or_b32 s2, vcc_lo, s2
	s_wait_loadcnt_dscnt 0x0
	v_fmac_f32_e32 v91, v95, v96
	s_and_not1_b32 exec_lo, exec_lo, s2
	s_cbranch_execnz .LBB52_885
; %bb.886:
	s_or_b32 exec_lo, exec_lo, s2
.LBB52_887:
	s_delay_alu instid0(SALU_CYCLE_1)
	s_or_b32 exec_lo, exec_lo, s1
	v_mov_b32_e32 v92, 0
	ds_load_b32 v92, v92 offset:152
	s_wait_dscnt 0x0
	v_mul_f32_e32 v91, v91, v92
	scratch_store_b32 off, v91, off offset:152
.LBB52_888:
	s_wait_xcnt 0x0
	s_or_b32 exec_lo, exec_lo, s0
	scratch_load_b32 v91, off, off offset:156
	s_mov_b32 s0, exec_lo
	s_wait_loadcnt 0x0
	ds_store_b32 v1, v91
	s_wait_storecnt_dscnt 0x0
	s_barrier_signal -1
	s_barrier_wait -1
	s_wait_xcnt 0x0
	v_cmpx_gt_u32_e32 39, v0
	s_cbranch_execz .LBB52_898
; %bb.889:
	v_cmp_ne_u32_e32 vcc_lo, 1, v90
	s_cbranch_vccnz .LBB52_891
; %bb.890:
	scratch_load_b32 v91, v7, off
	ds_load_b32 v92, v1
	s_wait_loadcnt_dscnt 0x0
	v_mul_f32_e32 v91, v91, v92
	s_cbranch_execz .LBB52_892
	s_branch .LBB52_893
.LBB52_891:
                                        ; implicit-def: $vgpr91
.LBB52_892:
	ds_load_b32 v91, v1
.LBB52_893:
	s_mov_b32 s1, exec_lo
	v_cmpx_ne_u32_e32 38, v0
	s_cbranch_execz .LBB52_897
; %bb.894:
	v_add_nc_u32_e32 v92, 0xe4, v6
	v_add3_u32 v93, 0, v6, 4
	v_mov_b32_e32 v94, v0
	s_mov_b32 s2, 0
.LBB52_895:                             ; =>This Inner Loop Header: Depth=1
	scratch_load_b32 v95, v93, off
	ds_load_b32 v96, v92
	v_dual_add_nc_u32 v94, 1, v94 :: v_dual_add_nc_u32 v92, 4, v92
	s_wait_xcnt 0x0
	v_add_nc_u32_e32 v93, 4, v93
	s_delay_alu instid0(VALU_DEP_2)
	v_cmp_lt_u32_e32 vcc_lo, 37, v94
	s_or_b32 s2, vcc_lo, s2
	s_wait_loadcnt_dscnt 0x0
	v_fmac_f32_e32 v91, v95, v96
	s_and_not1_b32 exec_lo, exec_lo, s2
	s_cbranch_execnz .LBB52_895
; %bb.896:
	s_or_b32 exec_lo, exec_lo, s2
.LBB52_897:
	s_delay_alu instid0(SALU_CYCLE_1)
	s_or_b32 exec_lo, exec_lo, s1
	v_mov_b32_e32 v92, 0
	ds_load_b32 v92, v92 offset:156
	s_wait_dscnt 0x0
	v_mul_f32_e32 v91, v91, v92
	scratch_store_b32 off, v91, off offset:156
.LBB52_898:
	s_wait_xcnt 0x0
	s_or_b32 exec_lo, exec_lo, s0
	scratch_load_b32 v91, off, off offset:160
	s_mov_b32 s0, exec_lo
	s_wait_loadcnt 0x0
	ds_store_b32 v1, v91
	s_wait_storecnt_dscnt 0x0
	s_barrier_signal -1
	s_barrier_wait -1
	s_wait_xcnt 0x0
	v_cmpx_gt_u32_e32 40, v0
	s_cbranch_execz .LBB52_908
; %bb.899:
	v_cmp_ne_u32_e32 vcc_lo, 1, v90
	s_cbranch_vccnz .LBB52_901
; %bb.900:
	scratch_load_b32 v91, v7, off
	ds_load_b32 v92, v1
	s_wait_loadcnt_dscnt 0x0
	v_mul_f32_e32 v91, v91, v92
	s_cbranch_execz .LBB52_902
	s_branch .LBB52_903
.LBB52_901:
                                        ; implicit-def: $vgpr91
.LBB52_902:
	ds_load_b32 v91, v1
.LBB52_903:
	s_mov_b32 s1, exec_lo
	v_cmpx_ne_u32_e32 39, v0
	s_cbranch_execz .LBB52_907
; %bb.904:
	v_add_nc_u32_e32 v92, 0xe4, v6
	v_add3_u32 v93, 0, v6, 4
	v_mov_b32_e32 v94, v0
	s_mov_b32 s2, 0
.LBB52_905:                             ; =>This Inner Loop Header: Depth=1
	scratch_load_b32 v95, v93, off
	ds_load_b32 v96, v92
	v_dual_add_nc_u32 v94, 1, v94 :: v_dual_add_nc_u32 v92, 4, v92
	s_wait_xcnt 0x0
	v_add_nc_u32_e32 v93, 4, v93
	s_delay_alu instid0(VALU_DEP_2)
	v_cmp_lt_u32_e32 vcc_lo, 38, v94
	s_or_b32 s2, vcc_lo, s2
	s_wait_loadcnt_dscnt 0x0
	v_fmac_f32_e32 v91, v95, v96
	s_and_not1_b32 exec_lo, exec_lo, s2
	s_cbranch_execnz .LBB52_905
; %bb.906:
	s_or_b32 exec_lo, exec_lo, s2
.LBB52_907:
	s_delay_alu instid0(SALU_CYCLE_1)
	s_or_b32 exec_lo, exec_lo, s1
	v_mov_b32_e32 v92, 0
	ds_load_b32 v92, v92 offset:160
	s_wait_dscnt 0x0
	v_mul_f32_e32 v91, v91, v92
	scratch_store_b32 off, v91, off offset:160
.LBB52_908:
	s_wait_xcnt 0x0
	s_or_b32 exec_lo, exec_lo, s0
	scratch_load_b32 v91, off, off offset:164
	s_mov_b32 s0, exec_lo
	s_wait_loadcnt 0x0
	ds_store_b32 v1, v91
	s_wait_storecnt_dscnt 0x0
	s_barrier_signal -1
	s_barrier_wait -1
	s_wait_xcnt 0x0
	v_cmpx_gt_u32_e32 41, v0
	s_cbranch_execz .LBB52_918
; %bb.909:
	v_cmp_ne_u32_e32 vcc_lo, 1, v90
	s_cbranch_vccnz .LBB52_911
; %bb.910:
	scratch_load_b32 v91, v7, off
	ds_load_b32 v92, v1
	s_wait_loadcnt_dscnt 0x0
	v_mul_f32_e32 v91, v91, v92
	s_cbranch_execz .LBB52_912
	s_branch .LBB52_913
.LBB52_911:
                                        ; implicit-def: $vgpr91
.LBB52_912:
	ds_load_b32 v91, v1
.LBB52_913:
	s_mov_b32 s1, exec_lo
	v_cmpx_ne_u32_e32 40, v0
	s_cbranch_execz .LBB52_917
; %bb.914:
	v_add_nc_u32_e32 v92, 0xe4, v6
	v_add3_u32 v93, 0, v6, 4
	v_mov_b32_e32 v94, v0
	s_mov_b32 s2, 0
.LBB52_915:                             ; =>This Inner Loop Header: Depth=1
	scratch_load_b32 v95, v93, off
	ds_load_b32 v96, v92
	v_dual_add_nc_u32 v94, 1, v94 :: v_dual_add_nc_u32 v92, 4, v92
	s_wait_xcnt 0x0
	v_add_nc_u32_e32 v93, 4, v93
	s_delay_alu instid0(VALU_DEP_2)
	v_cmp_lt_u32_e32 vcc_lo, 39, v94
	s_or_b32 s2, vcc_lo, s2
	s_wait_loadcnt_dscnt 0x0
	v_fmac_f32_e32 v91, v95, v96
	s_and_not1_b32 exec_lo, exec_lo, s2
	s_cbranch_execnz .LBB52_915
; %bb.916:
	s_or_b32 exec_lo, exec_lo, s2
.LBB52_917:
	s_delay_alu instid0(SALU_CYCLE_1)
	s_or_b32 exec_lo, exec_lo, s1
	v_mov_b32_e32 v92, 0
	ds_load_b32 v92, v92 offset:164
	s_wait_dscnt 0x0
	v_mul_f32_e32 v91, v91, v92
	scratch_store_b32 off, v91, off offset:164
.LBB52_918:
	s_wait_xcnt 0x0
	s_or_b32 exec_lo, exec_lo, s0
	scratch_load_b32 v91, off, off offset:168
	s_mov_b32 s0, exec_lo
	s_wait_loadcnt 0x0
	ds_store_b32 v1, v91
	s_wait_storecnt_dscnt 0x0
	s_barrier_signal -1
	s_barrier_wait -1
	s_wait_xcnt 0x0
	v_cmpx_gt_u32_e32 42, v0
	s_cbranch_execz .LBB52_928
; %bb.919:
	v_cmp_ne_u32_e32 vcc_lo, 1, v90
	s_cbranch_vccnz .LBB52_921
; %bb.920:
	scratch_load_b32 v91, v7, off
	ds_load_b32 v92, v1
	s_wait_loadcnt_dscnt 0x0
	v_mul_f32_e32 v91, v91, v92
	s_cbranch_execz .LBB52_922
	s_branch .LBB52_923
.LBB52_921:
                                        ; implicit-def: $vgpr91
.LBB52_922:
	ds_load_b32 v91, v1
.LBB52_923:
	s_mov_b32 s1, exec_lo
	v_cmpx_ne_u32_e32 41, v0
	s_cbranch_execz .LBB52_927
; %bb.924:
	v_add_nc_u32_e32 v92, 0xe4, v6
	v_add3_u32 v93, 0, v6, 4
	v_mov_b32_e32 v94, v0
	s_mov_b32 s2, 0
.LBB52_925:                             ; =>This Inner Loop Header: Depth=1
	scratch_load_b32 v95, v93, off
	ds_load_b32 v96, v92
	v_dual_add_nc_u32 v94, 1, v94 :: v_dual_add_nc_u32 v92, 4, v92
	s_wait_xcnt 0x0
	v_add_nc_u32_e32 v93, 4, v93
	s_delay_alu instid0(VALU_DEP_2)
	v_cmp_lt_u32_e32 vcc_lo, 40, v94
	s_or_b32 s2, vcc_lo, s2
	s_wait_loadcnt_dscnt 0x0
	v_fmac_f32_e32 v91, v95, v96
	s_and_not1_b32 exec_lo, exec_lo, s2
	s_cbranch_execnz .LBB52_925
; %bb.926:
	s_or_b32 exec_lo, exec_lo, s2
.LBB52_927:
	s_delay_alu instid0(SALU_CYCLE_1)
	s_or_b32 exec_lo, exec_lo, s1
	v_mov_b32_e32 v92, 0
	ds_load_b32 v92, v92 offset:168
	s_wait_dscnt 0x0
	v_mul_f32_e32 v91, v91, v92
	scratch_store_b32 off, v91, off offset:168
.LBB52_928:
	s_wait_xcnt 0x0
	s_or_b32 exec_lo, exec_lo, s0
	scratch_load_b32 v91, off, off offset:172
	s_mov_b32 s0, exec_lo
	s_wait_loadcnt 0x0
	ds_store_b32 v1, v91
	s_wait_storecnt_dscnt 0x0
	s_barrier_signal -1
	s_barrier_wait -1
	s_wait_xcnt 0x0
	v_cmpx_gt_u32_e32 43, v0
	s_cbranch_execz .LBB52_938
; %bb.929:
	v_cmp_ne_u32_e32 vcc_lo, 1, v90
	s_cbranch_vccnz .LBB52_931
; %bb.930:
	scratch_load_b32 v91, v7, off
	ds_load_b32 v92, v1
	s_wait_loadcnt_dscnt 0x0
	v_mul_f32_e32 v91, v91, v92
	s_cbranch_execz .LBB52_932
	s_branch .LBB52_933
.LBB52_931:
                                        ; implicit-def: $vgpr91
.LBB52_932:
	ds_load_b32 v91, v1
.LBB52_933:
	s_mov_b32 s1, exec_lo
	v_cmpx_ne_u32_e32 42, v0
	s_cbranch_execz .LBB52_937
; %bb.934:
	v_add_nc_u32_e32 v92, 0xe4, v6
	v_add3_u32 v93, 0, v6, 4
	v_mov_b32_e32 v94, v0
	s_mov_b32 s2, 0
.LBB52_935:                             ; =>This Inner Loop Header: Depth=1
	scratch_load_b32 v95, v93, off
	ds_load_b32 v96, v92
	v_dual_add_nc_u32 v94, 1, v94 :: v_dual_add_nc_u32 v92, 4, v92
	s_wait_xcnt 0x0
	v_add_nc_u32_e32 v93, 4, v93
	s_delay_alu instid0(VALU_DEP_2)
	v_cmp_lt_u32_e32 vcc_lo, 41, v94
	s_or_b32 s2, vcc_lo, s2
	s_wait_loadcnt_dscnt 0x0
	v_fmac_f32_e32 v91, v95, v96
	s_and_not1_b32 exec_lo, exec_lo, s2
	s_cbranch_execnz .LBB52_935
; %bb.936:
	s_or_b32 exec_lo, exec_lo, s2
.LBB52_937:
	s_delay_alu instid0(SALU_CYCLE_1)
	s_or_b32 exec_lo, exec_lo, s1
	v_mov_b32_e32 v92, 0
	ds_load_b32 v92, v92 offset:172
	s_wait_dscnt 0x0
	v_mul_f32_e32 v91, v91, v92
	scratch_store_b32 off, v91, off offset:172
.LBB52_938:
	s_wait_xcnt 0x0
	s_or_b32 exec_lo, exec_lo, s0
	scratch_load_b32 v91, off, off offset:176
	s_mov_b32 s0, exec_lo
	s_wait_loadcnt 0x0
	ds_store_b32 v1, v91
	s_wait_storecnt_dscnt 0x0
	s_barrier_signal -1
	s_barrier_wait -1
	s_wait_xcnt 0x0
	v_cmpx_gt_u32_e32 44, v0
	s_cbranch_execz .LBB52_948
; %bb.939:
	v_cmp_ne_u32_e32 vcc_lo, 1, v90
	s_cbranch_vccnz .LBB52_941
; %bb.940:
	scratch_load_b32 v91, v7, off
	ds_load_b32 v92, v1
	s_wait_loadcnt_dscnt 0x0
	v_mul_f32_e32 v91, v91, v92
	s_cbranch_execz .LBB52_942
	s_branch .LBB52_943
.LBB52_941:
                                        ; implicit-def: $vgpr91
.LBB52_942:
	ds_load_b32 v91, v1
.LBB52_943:
	s_mov_b32 s1, exec_lo
	v_cmpx_ne_u32_e32 43, v0
	s_cbranch_execz .LBB52_947
; %bb.944:
	v_add_nc_u32_e32 v92, 0xe4, v6
	v_add3_u32 v93, 0, v6, 4
	v_mov_b32_e32 v94, v0
	s_mov_b32 s2, 0
.LBB52_945:                             ; =>This Inner Loop Header: Depth=1
	scratch_load_b32 v95, v93, off
	ds_load_b32 v96, v92
	v_dual_add_nc_u32 v94, 1, v94 :: v_dual_add_nc_u32 v92, 4, v92
	s_wait_xcnt 0x0
	v_add_nc_u32_e32 v93, 4, v93
	s_delay_alu instid0(VALU_DEP_2)
	v_cmp_lt_u32_e32 vcc_lo, 42, v94
	s_or_b32 s2, vcc_lo, s2
	s_wait_loadcnt_dscnt 0x0
	v_fmac_f32_e32 v91, v95, v96
	s_and_not1_b32 exec_lo, exec_lo, s2
	s_cbranch_execnz .LBB52_945
; %bb.946:
	s_or_b32 exec_lo, exec_lo, s2
.LBB52_947:
	s_delay_alu instid0(SALU_CYCLE_1)
	s_or_b32 exec_lo, exec_lo, s1
	v_mov_b32_e32 v92, 0
	ds_load_b32 v92, v92 offset:176
	s_wait_dscnt 0x0
	v_mul_f32_e32 v91, v91, v92
	scratch_store_b32 off, v91, off offset:176
.LBB52_948:
	s_wait_xcnt 0x0
	s_or_b32 exec_lo, exec_lo, s0
	scratch_load_b32 v91, off, off offset:180
	s_mov_b32 s0, exec_lo
	s_wait_loadcnt 0x0
	ds_store_b32 v1, v91
	s_wait_storecnt_dscnt 0x0
	s_barrier_signal -1
	s_barrier_wait -1
	s_wait_xcnt 0x0
	v_cmpx_gt_u32_e32 45, v0
	s_cbranch_execz .LBB52_958
; %bb.949:
	v_cmp_ne_u32_e32 vcc_lo, 1, v90
	s_cbranch_vccnz .LBB52_951
; %bb.950:
	scratch_load_b32 v91, v7, off
	ds_load_b32 v92, v1
	s_wait_loadcnt_dscnt 0x0
	v_mul_f32_e32 v91, v91, v92
	s_cbranch_execz .LBB52_952
	s_branch .LBB52_953
.LBB52_951:
                                        ; implicit-def: $vgpr91
.LBB52_952:
	ds_load_b32 v91, v1
.LBB52_953:
	s_mov_b32 s1, exec_lo
	v_cmpx_ne_u32_e32 44, v0
	s_cbranch_execz .LBB52_957
; %bb.954:
	v_add_nc_u32_e32 v92, 0xe4, v6
	v_add3_u32 v93, 0, v6, 4
	v_mov_b32_e32 v94, v0
	s_mov_b32 s2, 0
.LBB52_955:                             ; =>This Inner Loop Header: Depth=1
	scratch_load_b32 v95, v93, off
	ds_load_b32 v96, v92
	v_dual_add_nc_u32 v94, 1, v94 :: v_dual_add_nc_u32 v92, 4, v92
	s_wait_xcnt 0x0
	v_add_nc_u32_e32 v93, 4, v93
	s_delay_alu instid0(VALU_DEP_2)
	v_cmp_lt_u32_e32 vcc_lo, 43, v94
	s_or_b32 s2, vcc_lo, s2
	s_wait_loadcnt_dscnt 0x0
	v_fmac_f32_e32 v91, v95, v96
	s_and_not1_b32 exec_lo, exec_lo, s2
	s_cbranch_execnz .LBB52_955
; %bb.956:
	s_or_b32 exec_lo, exec_lo, s2
.LBB52_957:
	s_delay_alu instid0(SALU_CYCLE_1)
	s_or_b32 exec_lo, exec_lo, s1
	v_mov_b32_e32 v92, 0
	ds_load_b32 v92, v92 offset:180
	s_wait_dscnt 0x0
	v_mul_f32_e32 v91, v91, v92
	scratch_store_b32 off, v91, off offset:180
.LBB52_958:
	s_wait_xcnt 0x0
	s_or_b32 exec_lo, exec_lo, s0
	scratch_load_b32 v91, off, off offset:184
	s_mov_b32 s0, exec_lo
	s_wait_loadcnt 0x0
	ds_store_b32 v1, v91
	s_wait_storecnt_dscnt 0x0
	s_barrier_signal -1
	s_barrier_wait -1
	s_wait_xcnt 0x0
	v_cmpx_gt_u32_e32 46, v0
	s_cbranch_execz .LBB52_968
; %bb.959:
	v_cmp_ne_u32_e32 vcc_lo, 1, v90
	s_cbranch_vccnz .LBB52_961
; %bb.960:
	scratch_load_b32 v91, v7, off
	ds_load_b32 v92, v1
	s_wait_loadcnt_dscnt 0x0
	v_mul_f32_e32 v91, v91, v92
	s_cbranch_execz .LBB52_962
	s_branch .LBB52_963
.LBB52_961:
                                        ; implicit-def: $vgpr91
.LBB52_962:
	ds_load_b32 v91, v1
.LBB52_963:
	s_mov_b32 s1, exec_lo
	v_cmpx_ne_u32_e32 45, v0
	s_cbranch_execz .LBB52_967
; %bb.964:
	v_add_nc_u32_e32 v92, 0xe4, v6
	v_add3_u32 v93, 0, v6, 4
	v_mov_b32_e32 v94, v0
	s_mov_b32 s2, 0
.LBB52_965:                             ; =>This Inner Loop Header: Depth=1
	scratch_load_b32 v95, v93, off
	ds_load_b32 v96, v92
	v_dual_add_nc_u32 v94, 1, v94 :: v_dual_add_nc_u32 v92, 4, v92
	s_wait_xcnt 0x0
	v_add_nc_u32_e32 v93, 4, v93
	s_delay_alu instid0(VALU_DEP_2)
	v_cmp_lt_u32_e32 vcc_lo, 44, v94
	s_or_b32 s2, vcc_lo, s2
	s_wait_loadcnt_dscnt 0x0
	v_fmac_f32_e32 v91, v95, v96
	s_and_not1_b32 exec_lo, exec_lo, s2
	s_cbranch_execnz .LBB52_965
; %bb.966:
	s_or_b32 exec_lo, exec_lo, s2
.LBB52_967:
	s_delay_alu instid0(SALU_CYCLE_1)
	s_or_b32 exec_lo, exec_lo, s1
	v_mov_b32_e32 v92, 0
	ds_load_b32 v92, v92 offset:184
	s_wait_dscnt 0x0
	v_mul_f32_e32 v91, v91, v92
	scratch_store_b32 off, v91, off offset:184
.LBB52_968:
	s_wait_xcnt 0x0
	s_or_b32 exec_lo, exec_lo, s0
	scratch_load_b32 v91, off, off offset:188
	s_mov_b32 s0, exec_lo
	s_wait_loadcnt 0x0
	ds_store_b32 v1, v91
	s_wait_storecnt_dscnt 0x0
	s_barrier_signal -1
	s_barrier_wait -1
	s_wait_xcnt 0x0
	v_cmpx_gt_u32_e32 47, v0
	s_cbranch_execz .LBB52_978
; %bb.969:
	v_cmp_ne_u32_e32 vcc_lo, 1, v90
	s_cbranch_vccnz .LBB52_971
; %bb.970:
	scratch_load_b32 v91, v7, off
	ds_load_b32 v92, v1
	s_wait_loadcnt_dscnt 0x0
	v_mul_f32_e32 v91, v91, v92
	s_cbranch_execz .LBB52_972
	s_branch .LBB52_973
.LBB52_971:
                                        ; implicit-def: $vgpr91
.LBB52_972:
	ds_load_b32 v91, v1
.LBB52_973:
	s_mov_b32 s1, exec_lo
	v_cmpx_ne_u32_e32 46, v0
	s_cbranch_execz .LBB52_977
; %bb.974:
	v_add_nc_u32_e32 v92, 0xe4, v6
	v_add3_u32 v93, 0, v6, 4
	v_mov_b32_e32 v94, v0
	s_mov_b32 s2, 0
.LBB52_975:                             ; =>This Inner Loop Header: Depth=1
	scratch_load_b32 v95, v93, off
	ds_load_b32 v96, v92
	v_dual_add_nc_u32 v94, 1, v94 :: v_dual_add_nc_u32 v92, 4, v92
	s_wait_xcnt 0x0
	v_add_nc_u32_e32 v93, 4, v93
	s_delay_alu instid0(VALU_DEP_2)
	v_cmp_lt_u32_e32 vcc_lo, 45, v94
	s_or_b32 s2, vcc_lo, s2
	s_wait_loadcnt_dscnt 0x0
	v_fmac_f32_e32 v91, v95, v96
	s_and_not1_b32 exec_lo, exec_lo, s2
	s_cbranch_execnz .LBB52_975
; %bb.976:
	s_or_b32 exec_lo, exec_lo, s2
.LBB52_977:
	s_delay_alu instid0(SALU_CYCLE_1)
	s_or_b32 exec_lo, exec_lo, s1
	v_mov_b32_e32 v92, 0
	ds_load_b32 v92, v92 offset:188
	s_wait_dscnt 0x0
	v_mul_f32_e32 v91, v91, v92
	scratch_store_b32 off, v91, off offset:188
.LBB52_978:
	s_wait_xcnt 0x0
	s_or_b32 exec_lo, exec_lo, s0
	scratch_load_b32 v91, off, off offset:192
	s_mov_b32 s0, exec_lo
	s_wait_loadcnt 0x0
	ds_store_b32 v1, v91
	s_wait_storecnt_dscnt 0x0
	s_barrier_signal -1
	s_barrier_wait -1
	s_wait_xcnt 0x0
	v_cmpx_gt_u32_e32 48, v0
	s_cbranch_execz .LBB52_988
; %bb.979:
	v_cmp_ne_u32_e32 vcc_lo, 1, v90
	s_cbranch_vccnz .LBB52_981
; %bb.980:
	scratch_load_b32 v91, v7, off
	ds_load_b32 v92, v1
	s_wait_loadcnt_dscnt 0x0
	v_mul_f32_e32 v91, v91, v92
	s_cbranch_execz .LBB52_982
	s_branch .LBB52_983
.LBB52_981:
                                        ; implicit-def: $vgpr91
.LBB52_982:
	ds_load_b32 v91, v1
.LBB52_983:
	s_mov_b32 s1, exec_lo
	v_cmpx_ne_u32_e32 47, v0
	s_cbranch_execz .LBB52_987
; %bb.984:
	v_add_nc_u32_e32 v92, 0xe4, v6
	v_add3_u32 v93, 0, v6, 4
	v_mov_b32_e32 v94, v0
	s_mov_b32 s2, 0
.LBB52_985:                             ; =>This Inner Loop Header: Depth=1
	scratch_load_b32 v95, v93, off
	ds_load_b32 v96, v92
	v_dual_add_nc_u32 v94, 1, v94 :: v_dual_add_nc_u32 v92, 4, v92
	s_wait_xcnt 0x0
	v_add_nc_u32_e32 v93, 4, v93
	s_delay_alu instid0(VALU_DEP_2)
	v_cmp_lt_u32_e32 vcc_lo, 46, v94
	s_or_b32 s2, vcc_lo, s2
	s_wait_loadcnt_dscnt 0x0
	v_fmac_f32_e32 v91, v95, v96
	s_and_not1_b32 exec_lo, exec_lo, s2
	s_cbranch_execnz .LBB52_985
; %bb.986:
	s_or_b32 exec_lo, exec_lo, s2
.LBB52_987:
	s_delay_alu instid0(SALU_CYCLE_1)
	s_or_b32 exec_lo, exec_lo, s1
	v_mov_b32_e32 v92, 0
	ds_load_b32 v92, v92 offset:192
	s_wait_dscnt 0x0
	v_mul_f32_e32 v91, v91, v92
	scratch_store_b32 off, v91, off offset:192
.LBB52_988:
	s_wait_xcnt 0x0
	s_or_b32 exec_lo, exec_lo, s0
	scratch_load_b32 v91, off, off offset:196
	s_mov_b32 s0, exec_lo
	s_wait_loadcnt 0x0
	ds_store_b32 v1, v91
	s_wait_storecnt_dscnt 0x0
	s_barrier_signal -1
	s_barrier_wait -1
	s_wait_xcnt 0x0
	v_cmpx_gt_u32_e32 49, v0
	s_cbranch_execz .LBB52_998
; %bb.989:
	v_cmp_ne_u32_e32 vcc_lo, 1, v90
	s_cbranch_vccnz .LBB52_991
; %bb.990:
	scratch_load_b32 v91, v7, off
	ds_load_b32 v92, v1
	s_wait_loadcnt_dscnt 0x0
	v_mul_f32_e32 v91, v91, v92
	s_cbranch_execz .LBB52_992
	s_branch .LBB52_993
.LBB52_991:
                                        ; implicit-def: $vgpr91
.LBB52_992:
	ds_load_b32 v91, v1
.LBB52_993:
	s_mov_b32 s1, exec_lo
	v_cmpx_ne_u32_e32 48, v0
	s_cbranch_execz .LBB52_997
; %bb.994:
	v_add_nc_u32_e32 v92, 0xe4, v6
	v_add3_u32 v93, 0, v6, 4
	v_mov_b32_e32 v94, v0
	s_mov_b32 s2, 0
.LBB52_995:                             ; =>This Inner Loop Header: Depth=1
	scratch_load_b32 v95, v93, off
	ds_load_b32 v96, v92
	v_dual_add_nc_u32 v94, 1, v94 :: v_dual_add_nc_u32 v92, 4, v92
	s_wait_xcnt 0x0
	v_add_nc_u32_e32 v93, 4, v93
	s_delay_alu instid0(VALU_DEP_2)
	v_cmp_lt_u32_e32 vcc_lo, 47, v94
	s_or_b32 s2, vcc_lo, s2
	s_wait_loadcnt_dscnt 0x0
	v_fmac_f32_e32 v91, v95, v96
	s_and_not1_b32 exec_lo, exec_lo, s2
	s_cbranch_execnz .LBB52_995
; %bb.996:
	s_or_b32 exec_lo, exec_lo, s2
.LBB52_997:
	s_delay_alu instid0(SALU_CYCLE_1)
	s_or_b32 exec_lo, exec_lo, s1
	v_mov_b32_e32 v92, 0
	ds_load_b32 v92, v92 offset:196
	s_wait_dscnt 0x0
	v_mul_f32_e32 v91, v91, v92
	scratch_store_b32 off, v91, off offset:196
.LBB52_998:
	s_wait_xcnt 0x0
	s_or_b32 exec_lo, exec_lo, s0
	scratch_load_b32 v91, off, off offset:200
	s_mov_b32 s0, exec_lo
	s_wait_loadcnt 0x0
	ds_store_b32 v1, v91
	s_wait_storecnt_dscnt 0x0
	s_barrier_signal -1
	s_barrier_wait -1
	s_wait_xcnt 0x0
	v_cmpx_gt_u32_e32 50, v0
	s_cbranch_execz .LBB52_1008
; %bb.999:
	v_cmp_ne_u32_e32 vcc_lo, 1, v90
	s_cbranch_vccnz .LBB52_1001
; %bb.1000:
	scratch_load_b32 v91, v7, off
	ds_load_b32 v92, v1
	s_wait_loadcnt_dscnt 0x0
	v_mul_f32_e32 v91, v91, v92
	s_cbranch_execz .LBB52_1002
	s_branch .LBB52_1003
.LBB52_1001:
                                        ; implicit-def: $vgpr91
.LBB52_1002:
	ds_load_b32 v91, v1
.LBB52_1003:
	s_mov_b32 s1, exec_lo
	v_cmpx_ne_u32_e32 49, v0
	s_cbranch_execz .LBB52_1007
; %bb.1004:
	v_add_nc_u32_e32 v92, 0xe4, v6
	v_add3_u32 v93, 0, v6, 4
	v_mov_b32_e32 v94, v0
	s_mov_b32 s2, 0
.LBB52_1005:                            ; =>This Inner Loop Header: Depth=1
	scratch_load_b32 v95, v93, off
	ds_load_b32 v96, v92
	v_dual_add_nc_u32 v94, 1, v94 :: v_dual_add_nc_u32 v92, 4, v92
	s_wait_xcnt 0x0
	v_add_nc_u32_e32 v93, 4, v93
	s_delay_alu instid0(VALU_DEP_2)
	v_cmp_lt_u32_e32 vcc_lo, 48, v94
	s_or_b32 s2, vcc_lo, s2
	s_wait_loadcnt_dscnt 0x0
	v_fmac_f32_e32 v91, v95, v96
	s_and_not1_b32 exec_lo, exec_lo, s2
	s_cbranch_execnz .LBB52_1005
; %bb.1006:
	s_or_b32 exec_lo, exec_lo, s2
.LBB52_1007:
	s_delay_alu instid0(SALU_CYCLE_1)
	s_or_b32 exec_lo, exec_lo, s1
	v_mov_b32_e32 v92, 0
	ds_load_b32 v92, v92 offset:200
	s_wait_dscnt 0x0
	v_mul_f32_e32 v91, v91, v92
	scratch_store_b32 off, v91, off offset:200
.LBB52_1008:
	s_wait_xcnt 0x0
	s_or_b32 exec_lo, exec_lo, s0
	scratch_load_b32 v91, off, off offset:204
	v_cmp_gt_u32_e64 s0, 51, v0
	s_wait_loadcnt 0x0
	ds_store_b32 v1, v91
	s_wait_storecnt_dscnt 0x0
	s_barrier_signal -1
	s_barrier_wait -1
	s_wait_xcnt 0x0
	s_and_saveexec_b32 s1, s0
	s_cbranch_execz .LBB52_1018
; %bb.1009:
	v_cmp_ne_u32_e32 vcc_lo, 1, v90
	s_cbranch_vccnz .LBB52_1011
; %bb.1010:
	scratch_load_b32 v91, v7, off
	ds_load_b32 v92, v1
	s_wait_loadcnt_dscnt 0x0
	v_mul_f32_e32 v91, v91, v92
	s_cbranch_execz .LBB52_1012
	s_branch .LBB52_1013
.LBB52_1011:
                                        ; implicit-def: $vgpr91
.LBB52_1012:
	ds_load_b32 v91, v1
.LBB52_1013:
	s_mov_b32 s2, exec_lo
	v_cmpx_ne_u32_e32 50, v0
	s_cbranch_execz .LBB52_1017
; %bb.1014:
	v_add_nc_u32_e32 v92, 0xe4, v6
	v_add3_u32 v93, 0, v6, 4
	v_mov_b32_e32 v94, v0
	s_mov_b32 s3, 0
.LBB52_1015:                            ; =>This Inner Loop Header: Depth=1
	scratch_load_b32 v95, v93, off
	ds_load_b32 v96, v92
	v_dual_add_nc_u32 v94, 1, v94 :: v_dual_add_nc_u32 v92, 4, v92
	s_wait_xcnt 0x0
	v_add_nc_u32_e32 v93, 4, v93
	s_delay_alu instid0(VALU_DEP_2)
	v_cmp_lt_u32_e32 vcc_lo, 49, v94
	s_or_b32 s3, vcc_lo, s3
	s_wait_loadcnt_dscnt 0x0
	v_fmac_f32_e32 v91, v95, v96
	s_and_not1_b32 exec_lo, exec_lo, s3
	s_cbranch_execnz .LBB52_1015
; %bb.1016:
	s_or_b32 exec_lo, exec_lo, s3
.LBB52_1017:
	s_delay_alu instid0(SALU_CYCLE_1)
	s_or_b32 exec_lo, exec_lo, s2
	v_mov_b32_e32 v92, 0
	ds_load_b32 v92, v92 offset:204
	s_wait_dscnt 0x0
	v_mul_f32_e32 v91, v91, v92
	scratch_store_b32 off, v91, off offset:204
.LBB52_1018:
	s_wait_xcnt 0x0
	s_or_b32 exec_lo, exec_lo, s1
	scratch_load_b32 v91, off, off offset:208
	s_mov_b32 s1, exec_lo
	s_wait_loadcnt 0x0
	ds_store_b32 v1, v91
	s_wait_storecnt_dscnt 0x0
	s_barrier_signal -1
	s_barrier_wait -1
	s_wait_xcnt 0x0
	v_cmpx_ne_u32_e32 52, v0
	s_cbranch_execz .LBB52_1028
; %bb.1019:
	v_cmp_ne_u32_e32 vcc_lo, 1, v90
	s_cbranch_vccnz .LBB52_1021
; %bb.1020:
	scratch_load_b32 v7, v7, off
	ds_load_b32 v90, v1
	s_wait_loadcnt_dscnt 0x0
	v_mul_f32_e32 v7, v7, v90
	s_cbranch_execz .LBB52_1022
	s_branch .LBB52_1023
.LBB52_1021:
                                        ; implicit-def: $vgpr7
.LBB52_1022:
	ds_load_b32 v7, v1
.LBB52_1023:
	s_and_saveexec_b32 s2, s0
	s_cbranch_execz .LBB52_1027
; %bb.1024:
	v_add_nc_u32_e32 v1, 0xe4, v6
	v_add3_u32 v6, 0, v6, 4
	s_mov_b32 s0, 0
.LBB52_1025:                            ; =>This Inner Loop Header: Depth=1
	scratch_load_b32 v90, v6, off
	ds_load_b32 v91, v1
	v_dual_add_nc_u32 v0, 1, v0 :: v_dual_add_nc_u32 v1, 4, v1
	s_wait_xcnt 0x0
	v_add_nc_u32_e32 v6, 4, v6
	s_delay_alu instid0(VALU_DEP_2)
	v_cmp_lt_u32_e32 vcc_lo, 50, v0
	s_or_b32 s0, vcc_lo, s0
	s_wait_loadcnt_dscnt 0x0
	v_fmac_f32_e32 v7, v90, v91
	s_and_not1_b32 exec_lo, exec_lo, s0
	s_cbranch_execnz .LBB52_1025
; %bb.1026:
	s_or_b32 exec_lo, exec_lo, s0
.LBB52_1027:
	s_delay_alu instid0(SALU_CYCLE_1)
	s_or_b32 exec_lo, exec_lo, s2
	v_mov_b32_e32 v0, 0
	ds_load_b32 v0, v0 offset:208
	s_wait_dscnt 0x0
	v_mul_f32_e32 v0, v7, v0
	scratch_store_b32 off, v0, off offset:208
.LBB52_1028:
	s_wait_xcnt 0x0
	s_or_b32 exec_lo, exec_lo, s1
.LBB52_1029:
	s_clause 0x3
	scratch_load_b128 v[90:93], off, off
	scratch_load_b128 v[94:97], off, off offset:16
	scratch_load_b128 v[98:101], off, off offset:32
	;; [unrolled: 1-line block ×3, first 2 shown]
	s_wait_loadcnt 0x3
	global_store_b32 v[2:3], v90, off
	scratch_load_b128 v[0:3], off, off offset:64
	s_clause 0x1
	global_store_b32 v[4:5], v91, off
	global_store_b32 v[128:129], v92, off
	scratch_load_b128 v[4:7], off, off offset:80
	global_store_b32 v[126:127], v93, off
	scratch_load_b128 v[90:93], off, off offset:96
	s_wait_loadcnt 0x5
	global_store_b32 v[124:125], v94, off
	scratch_load_b128 v[106:109], off, off offset:112
	s_clause 0x1
	global_store_b32 v[120:121], v95, off
	global_store_b32 v[122:123], v96, off
	scratch_load_b128 v[120:123], off, off offset:128
	global_store_b32 v[118:119], v97, off
	scratch_load_b128 v[94:97], off, off offset:144
	s_wait_loadcnt 0x7
	global_store_b32 v[116:117], v98, off
	scratch_load_b128 v[116:119], off, off offset:160
	s_clause 0x2
	global_store_b32 v[112:113], v99, off
	global_store_b32 v[114:115], v100, off
	;; [unrolled: 1-line block ×3, first 2 shown]
	s_clause 0x2
	scratch_load_b128 v[112:115], off, off offset:176
	scratch_load_b128 v[98:101], off, off offset:192
	scratch_load_b32 v110, off, off offset:208
	s_wait_loadcnt 0xa
	s_clause 0x3
	global_store_b32 v[8:9], v102, off
	global_store_b32 v[10:11], v103, off
	global_store_b32 v[12:13], v104, off
	global_store_b32 v[14:15], v105, off
	s_wait_loadcnt 0x9
	s_clause 0x3
	global_store_b32 v[16:17], v0, off
	global_store_b32 v[18:19], v1, off
	global_store_b32 v[20:21], v2, off
	global_store_b32 v[22:23], v3, off
	;; [unrolled: 6-line block ×10, first 2 shown]
	s_wait_loadcnt 0x0
	global_store_b32 v[88:89], v110, off
.LBB52_1030:
	s_sendmsg sendmsg(MSG_DEALLOC_VGPRS)
	s_endpgm
	.section	.rodata,"a",@progbits
	.p2align	6, 0x0
	.amdhsa_kernel _ZN9rocsolver6v33100L18trti2_kernel_smallILi53EfPfEEv13rocblas_fill_17rocblas_diagonal_T1_iil
		.amdhsa_group_segment_fixed_size 436
		.amdhsa_private_segment_fixed_size 224
		.amdhsa_kernarg_size 32
		.amdhsa_user_sgpr_count 2
		.amdhsa_user_sgpr_dispatch_ptr 0
		.amdhsa_user_sgpr_queue_ptr 0
		.amdhsa_user_sgpr_kernarg_segment_ptr 1
		.amdhsa_user_sgpr_dispatch_id 0
		.amdhsa_user_sgpr_kernarg_preload_length 0
		.amdhsa_user_sgpr_kernarg_preload_offset 0
		.amdhsa_user_sgpr_private_segment_size 0
		.amdhsa_wavefront_size32 1
		.amdhsa_uses_dynamic_stack 0
		.amdhsa_enable_private_segment 1
		.amdhsa_system_sgpr_workgroup_id_x 1
		.amdhsa_system_sgpr_workgroup_id_y 0
		.amdhsa_system_sgpr_workgroup_id_z 0
		.amdhsa_system_sgpr_workgroup_info 0
		.amdhsa_system_vgpr_workitem_id 0
		.amdhsa_next_free_vgpr 132
		.amdhsa_next_free_sgpr 21
		.amdhsa_named_barrier_count 0
		.amdhsa_reserve_vcc 1
		.amdhsa_float_round_mode_32 0
		.amdhsa_float_round_mode_16_64 0
		.amdhsa_float_denorm_mode_32 3
		.amdhsa_float_denorm_mode_16_64 3
		.amdhsa_fp16_overflow 0
		.amdhsa_memory_ordered 1
		.amdhsa_forward_progress 1
		.amdhsa_inst_pref_size 231
		.amdhsa_round_robin_scheduling 0
		.amdhsa_exception_fp_ieee_invalid_op 0
		.amdhsa_exception_fp_denorm_src 0
		.amdhsa_exception_fp_ieee_div_zero 0
		.amdhsa_exception_fp_ieee_overflow 0
		.amdhsa_exception_fp_ieee_underflow 0
		.amdhsa_exception_fp_ieee_inexact 0
		.amdhsa_exception_int_div_zero 0
	.end_amdhsa_kernel
	.section	.text._ZN9rocsolver6v33100L18trti2_kernel_smallILi53EfPfEEv13rocblas_fill_17rocblas_diagonal_T1_iil,"axG",@progbits,_ZN9rocsolver6v33100L18trti2_kernel_smallILi53EfPfEEv13rocblas_fill_17rocblas_diagonal_T1_iil,comdat
.Lfunc_end52:
	.size	_ZN9rocsolver6v33100L18trti2_kernel_smallILi53EfPfEEv13rocblas_fill_17rocblas_diagonal_T1_iil, .Lfunc_end52-_ZN9rocsolver6v33100L18trti2_kernel_smallILi53EfPfEEv13rocblas_fill_17rocblas_diagonal_T1_iil
                                        ; -- End function
	.set _ZN9rocsolver6v33100L18trti2_kernel_smallILi53EfPfEEv13rocblas_fill_17rocblas_diagonal_T1_iil.num_vgpr, 132
	.set _ZN9rocsolver6v33100L18trti2_kernel_smallILi53EfPfEEv13rocblas_fill_17rocblas_diagonal_T1_iil.num_agpr, 0
	.set _ZN9rocsolver6v33100L18trti2_kernel_smallILi53EfPfEEv13rocblas_fill_17rocblas_diagonal_T1_iil.numbered_sgpr, 21
	.set _ZN9rocsolver6v33100L18trti2_kernel_smallILi53EfPfEEv13rocblas_fill_17rocblas_diagonal_T1_iil.num_named_barrier, 0
	.set _ZN9rocsolver6v33100L18trti2_kernel_smallILi53EfPfEEv13rocblas_fill_17rocblas_diagonal_T1_iil.private_seg_size, 224
	.set _ZN9rocsolver6v33100L18trti2_kernel_smallILi53EfPfEEv13rocblas_fill_17rocblas_diagonal_T1_iil.uses_vcc, 1
	.set _ZN9rocsolver6v33100L18trti2_kernel_smallILi53EfPfEEv13rocblas_fill_17rocblas_diagonal_T1_iil.uses_flat_scratch, 1
	.set _ZN9rocsolver6v33100L18trti2_kernel_smallILi53EfPfEEv13rocblas_fill_17rocblas_diagonal_T1_iil.has_dyn_sized_stack, 0
	.set _ZN9rocsolver6v33100L18trti2_kernel_smallILi53EfPfEEv13rocblas_fill_17rocblas_diagonal_T1_iil.has_recursion, 0
	.set _ZN9rocsolver6v33100L18trti2_kernel_smallILi53EfPfEEv13rocblas_fill_17rocblas_diagonal_T1_iil.has_indirect_call, 0
	.section	.AMDGPU.csdata,"",@progbits
; Kernel info:
; codeLenInByte = 29472
; TotalNumSgprs: 23
; NumVgprs: 132
; ScratchSize: 224
; MemoryBound: 0
; FloatMode: 240
; IeeeMode: 1
; LDSByteSize: 436 bytes/workgroup (compile time only)
; SGPRBlocks: 0
; VGPRBlocks: 8
; NumSGPRsForWavesPerEU: 23
; NumVGPRsForWavesPerEU: 132
; NamedBarCnt: 0
; Occupancy: 7
; WaveLimiterHint : 0
; COMPUTE_PGM_RSRC2:SCRATCH_EN: 1
; COMPUTE_PGM_RSRC2:USER_SGPR: 2
; COMPUTE_PGM_RSRC2:TRAP_HANDLER: 0
; COMPUTE_PGM_RSRC2:TGID_X_EN: 1
; COMPUTE_PGM_RSRC2:TGID_Y_EN: 0
; COMPUTE_PGM_RSRC2:TGID_Z_EN: 0
; COMPUTE_PGM_RSRC2:TIDIG_COMP_CNT: 0
	.section	.text._ZN9rocsolver6v33100L18trti2_kernel_smallILi54EfPfEEv13rocblas_fill_17rocblas_diagonal_T1_iil,"axG",@progbits,_ZN9rocsolver6v33100L18trti2_kernel_smallILi54EfPfEEv13rocblas_fill_17rocblas_diagonal_T1_iil,comdat
	.globl	_ZN9rocsolver6v33100L18trti2_kernel_smallILi54EfPfEEv13rocblas_fill_17rocblas_diagonal_T1_iil ; -- Begin function _ZN9rocsolver6v33100L18trti2_kernel_smallILi54EfPfEEv13rocblas_fill_17rocblas_diagonal_T1_iil
	.p2align	8
	.type	_ZN9rocsolver6v33100L18trti2_kernel_smallILi54EfPfEEv13rocblas_fill_17rocblas_diagonal_T1_iil,@function
_ZN9rocsolver6v33100L18trti2_kernel_smallILi54EfPfEEv13rocblas_fill_17rocblas_diagonal_T1_iil: ; @_ZN9rocsolver6v33100L18trti2_kernel_smallILi54EfPfEEv13rocblas_fill_17rocblas_diagonal_T1_iil
; %bb.0:
	s_mov_b32 s2, exec_lo
	v_cmpx_gt_u32_e32 54, v0
	s_cbranch_execz .LBB53_1050
; %bb.1:
	s_load_b256 s[4:11], s[0:1], 0x0
	s_wait_xcnt 0x0
	s_bfe_u32 s0, ttmp6, 0x4000c
	s_and_b32 s1, ttmp6, 15
	s_add_co_i32 s0, s0, 1
	s_getreg_b32 s2, hwreg(HW_REG_IB_STS2, 6, 4)
	s_mul_i32 s0, ttmp9, s0
	v_mov_b32_e32 v7, 0
	s_add_co_i32 s0, s1, s0
	v_lshlrev_b32_e32 v6, 2, v0
	s_wait_kmcnt 0x0
	v_add3_u32 v8, s9, s9, v0
	s_ashr_i32 s1, s8, 31
	s_cmp_eq_u32 s2, 0
	s_cselect_b32 s2, ttmp9, s0
	s_delay_alu instid0(VALU_DEP_1)
	v_add_nc_u32_e32 v10, s9, v8
	s_ashr_i32 s3, s2, 31
	s_mov_b32 s0, s8
	s_mul_u64 s[2:3], s[10:11], s[2:3]
	s_lshl_b64 s[0:1], s[0:1], 2
	v_add_nc_u32_e32 v12, s9, v10
	s_lshl_b64 s[2:3], s[2:3], 2
	v_ashrrev_i32_e32 v11, 31, v10
	s_add_nc_u64 s[2:3], s[6:7], s[2:3]
	s_delay_alu instid0(VALU_DEP_2)
	v_add_nc_u32_e32 v14, s9, v12
	s_add_nc_u64 s[6:7], s[2:3], s[0:1]
	s_mov_b32 s0, s9
	v_add_nc_u64_e32 v[2:3], s[6:7], v[6:7]
	s_ashr_i32 s1, s9, 31
	v_add_nc_u32_e32 v16, s9, v14
	s_cmp_lg_u32 s5, 0x84
	s_cselect_b32 s3, -1, 0
	s_cmp_eq_u32 s5, 0x84
	s_delay_alu instid0(VALU_DEP_1) | instskip(SKIP_1) | instid1(VALU_DEP_2)
	v_add_nc_u32_e32 v18, s9, v16
	v_lshl_add_u64 v[4:5], s[0:1], 2, v[2:3]
	v_dual_add_nc_u32 v20, s9, v18 :: v_dual_ashrrev_i32 v9, 31, v8
	s_delay_alu instid0(VALU_DEP_1) | instskip(NEXT) | instid1(VALU_DEP_1)
	v_dual_ashrrev_i32 v15, 31, v14 :: v_dual_add_nc_u32 v22, s9, v20
	v_dual_ashrrev_i32 v17, 31, v16 :: v_dual_ashrrev_i32 v23, 31, v22
	v_add_nc_u32_e32 v24, s9, v22
	s_clause 0x7
	global_load_b32 v90, v0, s[6:7] scale_offset
	global_load_b32 v91, v[4:5], off
	global_load_b32 v92, v8, s[6:7] scale_offset
	global_load_b32 v93, v10, s[6:7] scale_offset
	;; [unrolled: 1-line block ×6, first 2 shown]
	v_dual_ashrrev_i32 v13, 31, v12 :: v_dual_ashrrev_i32 v19, 31, v18
	v_add_nc_u32_e32 v26, s9, v24
	s_delay_alu instid0(VALU_DEP_1) | instskip(NEXT) | instid1(VALU_DEP_1)
	v_add_nc_u32_e32 v28, s9, v26
	v_add_nc_u32_e32 v30, s9, v28
	s_delay_alu instid0(VALU_DEP_1)
	v_add_nc_u32_e32 v32, s9, v30
	s_clause 0x3
	global_load_b32 v98, v20, s[6:7] scale_offset
	global_load_b32 v99, v22, s[6:7] scale_offset
	;; [unrolled: 1-line block ×4, first 2 shown]
	v_dual_ashrrev_i32 v21, 31, v20 :: v_dual_ashrrev_i32 v27, 31, v26
	v_add_nc_u32_e32 v34, s9, v32
	s_delay_alu instid0(VALU_DEP_1)
	v_dual_ashrrev_i32 v29, 31, v28 :: v_dual_ashrrev_i32 v35, 31, v34
	v_add_nc_u32_e32 v36, s9, v34
	s_clause 0x3
	global_load_b32 v102, v28, s[6:7] scale_offset
	global_load_b32 v103, v30, s[6:7] scale_offset
	;; [unrolled: 1-line block ×4, first 2 shown]
	v_dual_ashrrev_i32 v25, 31, v24 :: v_dual_ashrrev_i32 v31, 31, v30
	v_add_nc_u32_e32 v38, s9, v36
	s_delay_alu instid0(VALU_DEP_1) | instskip(NEXT) | instid1(VALU_DEP_1)
	v_add_nc_u32_e32 v40, s9, v38
	v_add_nc_u32_e32 v42, s9, v40
	s_delay_alu instid0(VALU_DEP_1) | instskip(NEXT) | instid1(VALU_DEP_1)
	v_dual_add_nc_u32 v44, s9, v42 :: v_dual_ashrrev_i32 v33, 31, v32
	v_dual_ashrrev_i32 v39, 31, v38 :: v_dual_add_nc_u32 v46, s9, v44
	s_delay_alu instid0(VALU_DEP_1)
	v_dual_ashrrev_i32 v41, 31, v40 :: v_dual_ashrrev_i32 v47, 31, v46
	v_add_nc_u32_e32 v48, s9, v46
	s_clause 0x3
	global_load_b32 v106, v36, s[6:7] scale_offset
	global_load_b32 v107, v38, s[6:7] scale_offset
	;; [unrolled: 1-line block ×4, first 2 shown]
	v_dual_ashrrev_i32 v37, 31, v36 :: v_dual_ashrrev_i32 v43, 31, v42
	v_add_nc_u32_e32 v50, s9, v48
	s_delay_alu instid0(VALU_DEP_1) | instskip(NEXT) | instid1(VALU_DEP_1)
	v_add_nc_u32_e32 v52, s9, v50
	v_add_nc_u32_e32 v54, s9, v52
	s_delay_alu instid0(VALU_DEP_1)
	v_add_nc_u32_e32 v56, s9, v54
	s_clause 0x3
	global_load_b32 v110, v44, s[6:7] scale_offset
	global_load_b32 v111, v46, s[6:7] scale_offset
	;; [unrolled: 1-line block ×4, first 2 shown]
	v_dual_ashrrev_i32 v45, 31, v44 :: v_dual_ashrrev_i32 v51, 31, v50
	v_add_nc_u32_e32 v58, s9, v56
	s_delay_alu instid0(VALU_DEP_1)
	v_dual_ashrrev_i32 v53, 31, v52 :: v_dual_ashrrev_i32 v59, 31, v58
	v_add_nc_u32_e32 v60, s9, v58
	s_clause 0x3
	global_load_b32 v114, v52, s[6:7] scale_offset
	global_load_b32 v115, v54, s[6:7] scale_offset
	;; [unrolled: 1-line block ×4, first 2 shown]
	v_dual_ashrrev_i32 v49, 31, v48 :: v_dual_ashrrev_i32 v55, 31, v54
	v_add_nc_u32_e32 v62, s9, v60
	s_delay_alu instid0(VALU_DEP_1) | instskip(NEXT) | instid1(VALU_DEP_1)
	v_add_nc_u32_e32 v64, s9, v62
	v_add_nc_u32_e32 v66, s9, v64
	s_delay_alu instid0(VALU_DEP_1) | instskip(NEXT) | instid1(VALU_DEP_1)
	v_dual_add_nc_u32 v68, s9, v66 :: v_dual_ashrrev_i32 v57, 31, v56
	v_dual_ashrrev_i32 v63, 31, v62 :: v_dual_add_nc_u32 v70, s9, v68
	s_delay_alu instid0(VALU_DEP_1)
	v_dual_ashrrev_i32 v65, 31, v64 :: v_dual_ashrrev_i32 v71, 31, v70
	v_add_nc_u32_e32 v72, s9, v70
	s_clause 0x3
	global_load_b32 v118, v60, s[6:7] scale_offset
	global_load_b32 v119, v62, s[6:7] scale_offset
	;; [unrolled: 1-line block ×4, first 2 shown]
	s_wait_loadcnt 0x1c
	scratch_store_b128 off, v[90:93], off
	s_wait_loadcnt 0x18
	scratch_store_b128 off, v[94:97], off offset:16
	v_add_nc_u32_e32 v74, s9, v72
	v_dual_ashrrev_i32 v61, 31, v60 :: v_dual_ashrrev_i32 v67, 31, v66
	s_delay_alu instid0(VALU_DEP_2) | instskip(NEXT) | instid1(VALU_DEP_1)
	v_add_nc_u32_e32 v76, s9, v74
	v_add_nc_u32_e32 v78, s9, v76
	s_delay_alu instid0(VALU_DEP_1) | instskip(NEXT) | instid1(VALU_DEP_1)
	v_dual_add_nc_u32 v80, s9, v78 :: v_dual_ashrrev_i32 v69, 31, v68
	v_dual_ashrrev_i32 v75, 31, v74 :: v_dual_add_nc_u32 v82, s9, v80
	s_delay_alu instid0(VALU_DEP_1)
	v_dual_ashrrev_i32 v77, 31, v76 :: v_dual_ashrrev_i32 v83, 31, v82
	v_add_nc_u32_e32 v84, s9, v82
	s_clause 0x7
	global_load_b32 v122, v68, s[6:7] scale_offset
	global_load_b32 v123, v70, s[6:7] scale_offset
	;; [unrolled: 1-line block ×8, first 2 shown]
	s_wait_loadcnt 0x1c
	scratch_store_b128 off, v[98:101], off offset:32
	v_dual_ashrrev_i32 v73, 31, v72 :: v_dual_ashrrev_i32 v79, 31, v78
	v_add_nc_u32_e32 v86, s9, v84
	s_delay_alu instid0(VALU_DEP_1) | instskip(SKIP_1) | instid1(VALU_DEP_1)
	v_add_nc_u32_e32 v88, s9, v86
	s_wait_xcnt 0xa
	v_add_nc_u32_e32 v90, s9, v88
	s_delay_alu instid0(VALU_DEP_1) | instskip(SKIP_1) | instid1(VALU_DEP_1)
	v_dual_add_nc_u32 v92, s9, v90 :: v_dual_ashrrev_i32 v81, 31, v80
	s_wait_xcnt 0x9
	v_dual_ashrrev_i32 v87, 31, v86 :: v_dual_add_nc_u32 v94, s9, v92
	s_delay_alu instid0(VALU_DEP_1)
	v_dual_ashrrev_i32 v89, 31, v88 :: v_dual_ashrrev_i32 v95, 31, v94
	v_add_nc_u32_e32 v96, s9, v94
	s_clause 0x3
	global_load_b32 v130, v84, s[6:7] scale_offset
	global_load_b32 v131, v86, s[6:7] scale_offset
	global_load_b32 v132, v88, s[6:7] scale_offset
	global_load_b32 v133, v90, s[6:7] scale_offset
	s_wait_loadcnt 0x1c
	scratch_store_b128 off, v[102:105], off offset:48
	v_dual_ashrrev_i32 v85, 31, v84 :: v_dual_ashrrev_i32 v91, 31, v90
	s_wait_xcnt 0x5
	v_add_nc_u32_e32 v98, s9, v96
	s_wait_loadcnt 0x18
	scratch_store_b128 off, v[106:109], off offset:64
	v_add_nc_u32_e32 v100, s9, v98
	s_wait_xcnt 0x1
	s_delay_alu instid0(VALU_DEP_1) | instskip(NEXT) | instid1(VALU_DEP_1)
	v_add_nc_u32_e32 v102, s9, v100
	v_dual_add_nc_u32 v104, s9, v102 :: v_dual_ashrrev_i32 v93, 31, v92
	v_ashrrev_i32_e32 v99, 31, v98
	s_wait_loadcnt 0x14
	scratch_store_b128 off, v[110:113], off offset:80
	s_wait_xcnt 0x1
	v_add_nc_u32_e32 v106, s9, v104
	s_delay_alu instid0(VALU_DEP_1)
	v_dual_ashrrev_i32 v101, 31, v100 :: v_dual_ashrrev_i32 v107, 31, v106
	v_dual_add_nc_u32 v108, s9, v106 :: v_dual_ashrrev_i32 v97, 31, v96
	v_ashrrev_i32_e32 v103, 31, v102
	s_wait_loadcnt 0x10
	scratch_store_b128 off, v[114:117], off offset:96
	s_clause 0x3
	global_load_b32 v112, v92, s[6:7] scale_offset
	global_load_b32 v113, v94, s[6:7] scale_offset
	;; [unrolled: 1-line block ×4, first 2 shown]
	v_add_nc_u32_e32 v110, s9, v108
	v_ashrrev_i32_e32 v105, 31, v104
	s_delay_alu instid0(VALU_DEP_2)
	v_dual_ashrrev_i32 v109, 31, v108 :: v_dual_ashrrev_i32 v111, 31, v110
	s_wait_loadcnt 0x10
	scratch_store_b128 off, v[118:121], off offset:112
	s_wait_loadcnt 0xc
	scratch_store_b128 off, v[122:125], off offset:128
	;; [unrolled: 2-line block ×4, first 2 shown]
	s_clause 0x5
	global_load_b32 v116, v100, s[6:7] scale_offset
	global_load_b32 v117, v102, s[6:7] scale_offset
	;; [unrolled: 1-line block ×6, first 2 shown]
	s_wait_loadcnt 0x6
	scratch_store_b128 off, v[112:115], off offset:176
	s_wait_xcnt 0x0
	v_mov_b32_e32 v112, -1.0
	s_wait_loadcnt 0x2
	scratch_store_b128 off, v[116:119], off offset:192
	s_wait_loadcnt 0x0
	scratch_store_b64 off, v[120:121], off offset:208
	s_cbranch_scc1 .LBB53_3
; %bb.2:
	scratch_load_b32 v1, v0, off scale_offset
	s_wait_loadcnt 0x0
	v_div_scale_f32 v7, null, v1, v1, 1.0
	s_delay_alu instid0(VALU_DEP_1) | instskip(SKIP_1) | instid1(TRANS32_DEP_1)
	v_rcp_f32_e32 v112, v7
	v_nop
	v_fma_f32 v113, -v7, v112, 1.0
	s_delay_alu instid0(VALU_DEP_1) | instskip(SKIP_1) | instid1(VALU_DEP_1)
	v_fmac_f32_e32 v112, v113, v112
	v_div_scale_f32 v113, vcc_lo, 1.0, v1, 1.0
	v_mul_f32_e32 v114, v113, v112
	s_delay_alu instid0(VALU_DEP_1) | instskip(NEXT) | instid1(VALU_DEP_1)
	v_fma_f32 v115, -v7, v114, v113
	v_fmac_f32_e32 v114, v115, v112
	s_delay_alu instid0(VALU_DEP_1) | instskip(NEXT) | instid1(VALU_DEP_1)
	v_fma_f32 v7, -v7, v114, v113
	v_div_fmas_f32 v7, v7, v112, v114
	s_delay_alu instid0(VALU_DEP_1) | instskip(NEXT) | instid1(VALU_DEP_1)
	v_div_fixup_f32 v1, v7, v1, 1.0
	v_xor_b32_e32 v112, 0x80000000, v1
	scratch_store_b32 v0, v1, off scale_offset
.LBB53_3:
	s_wait_xcnt 0x0
	v_add_nc_u32_e32 v1, 0xe0, v6
	v_mov_b32_e32 v7, v6
	s_cmp_eq_u32 s4, 0x79
	s_mov_b32 s1, -1
	ds_store_b32 v6, v112
	s_cbranch_scc1 .LBB53_527
; %bb.4:
	scratch_load_b32 v112, off, off offset:208
	v_cmp_eq_u32_e64 s0, 53, v0
	s_movk_i32 s1, 0x50
	s_movk_i32 s10, 0x60
	;; [unrolled: 1-line block ×8, first 2 shown]
	s_wait_loadcnt 0x0
	ds_store_b32 v1, v112
	s_wait_storecnt_dscnt 0x0
	s_barrier_signal -1
	s_barrier_wait -1
	s_wait_xcnt 0x0
	s_and_saveexec_b32 s2, s0
	s_cbranch_execz .LBB53_10
; %bb.5:
	s_and_b32 vcc_lo, exec_lo, s3
	s_cbranch_vccz .LBB53_7
; %bb.6:
	scratch_load_b32 v112, v7, off
	ds_load_b32 v113, v1
	s_wait_loadcnt_dscnt 0x0
	v_mul_f32_e32 v112, v112, v113
	s_cbranch_execz .LBB53_8
	s_branch .LBB53_9
.LBB53_7:
                                        ; implicit-def: $vgpr112
.LBB53_8:
	ds_load_b32 v112, v1
.LBB53_9:
	v_mov_b32_e32 v113, 0
	ds_load_b32 v113, v113 offset:208
	s_wait_dscnt 0x0
	v_mul_f32_e32 v112, v112, v113
	scratch_store_b32 off, v112, off offset:208
.LBB53_10:
	s_wait_xcnt 0x0
	s_or_b32 exec_lo, exec_lo, s2
	scratch_load_b32 v112, off, off offset:204
	s_mov_b32 s9, s1
	v_cmp_lt_u32_e64 s1, 51, v0
	s_mov_b32 s4, 16
	s_mov_b32 s2, 32
	;; [unrolled: 1-line block ×4, first 2 shown]
	s_wait_loadcnt 0x0
	ds_store_b32 v1, v112
	s_wait_storecnt_dscnt 0x0
	s_barrier_signal -1
	s_barrier_wait -1
	s_wait_xcnt 0x0
	s_and_saveexec_b32 s17, s1
	s_cbranch_execz .LBB53_16
; %bb.11:
	s_and_not1_b32 vcc_lo, exec_lo, s3
	s_cbranch_vccnz .LBB53_13
; %bb.12:
	scratch_load_b32 v112, v7, off
	ds_load_b32 v113, v1
	s_wait_loadcnt_dscnt 0x0
	v_mul_f32_e32 v112, v112, v113
	s_cbranch_execz .LBB53_14
	s_branch .LBB53_15
.LBB53_13:
                                        ; implicit-def: $vgpr112
.LBB53_14:
	ds_load_b32 v112, v1
.LBB53_15:
	scratch_load_b32 v113, off, off offset:208
	v_mov_b32_e32 v114, 0
	ds_load_2addr_b32 v[114:115], v114 offset0:51 offset1:108
	s_wait_loadcnt_dscnt 0x0
	v_fma_f32 v113, v113, v115, v112
	s_delay_alu instid0(VALU_DEP_1) | instskip(NEXT) | instid1(VALU_DEP_1)
	v_cndmask_b32_e64 v112, v112, v113, s0
	v_mul_f32_e32 v112, v112, v114
	scratch_store_b32 off, v112, off offset:204
.LBB53_16:
	s_wait_xcnt 0x0
	s_or_b32 exec_lo, exec_lo, s17
	scratch_load_b32 v112, off, off offset:200
	v_cmp_lt_u32_e64 s0, 50, v0
	s_wait_loadcnt 0x0
	ds_store_b32 v1, v112
	s_wait_storecnt_dscnt 0x0
	s_barrier_signal -1
	s_barrier_wait -1
	s_wait_xcnt 0x0
	s_and_saveexec_b32 s17, s0
	s_cbranch_execz .LBB53_26
; %bb.17:
	s_and_not1_b32 vcc_lo, exec_lo, s3
	s_cbranch_vccnz .LBB53_19
; %bb.18:
	scratch_load_b32 v112, v7, off
	ds_load_b32 v113, v1
	s_wait_loadcnt_dscnt 0x0
	v_mul_f32_e32 v112, v112, v113
	s_cbranch_execz .LBB53_20
	s_branch .LBB53_21
.LBB53_19:
                                        ; implicit-def: $vgpr112
.LBB53_20:
	ds_load_b32 v112, v1
.LBB53_21:
	s_and_saveexec_b32 s18, s1
	s_cbranch_execz .LBB53_25
; %bb.22:
	v_subrev_nc_u32_e32 v113, 51, v0
	s_movk_i32 s1, 0xcc
	s_movk_i32 s20, 0x1ac
	s_mov_b32 s19, 0
.LBB53_23:                              ; =>This Inner Loop Header: Depth=1
	scratch_load_b32 v114, off, s1
	v_dual_mov_b32 v115, s20 :: v_dual_add_nc_u32 v113, -1, v113
	s_add_co_i32 s20, s20, 4
	s_wait_xcnt 0x0
	s_add_co_i32 s1, s1, 4
	ds_load_b32 v115, v115
	v_cmp_eq_u32_e32 vcc_lo, 0, v113
	s_or_b32 s19, vcc_lo, s19
	s_wait_loadcnt_dscnt 0x0
	v_fmac_f32_e32 v112, v114, v115
	s_and_not1_b32 exec_lo, exec_lo, s19
	s_cbranch_execnz .LBB53_23
; %bb.24:
	s_or_b32 exec_lo, exec_lo, s19
.LBB53_25:
	s_delay_alu instid0(SALU_CYCLE_1)
	s_or_b32 exec_lo, exec_lo, s18
	v_mov_b32_e32 v113, 0
	ds_load_b32 v113, v113 offset:200
	s_wait_dscnt 0x0
	v_mul_f32_e32 v112, v112, v113
	scratch_store_b32 off, v112, off offset:200
.LBB53_26:
	s_wait_xcnt 0x0
	s_or_b32 exec_lo, exec_lo, s17
	scratch_load_b32 v112, off, off offset:196
	v_cmp_lt_u32_e64 s1, 49, v0
	s_wait_loadcnt 0x0
	ds_store_b32 v1, v112
	s_wait_storecnt_dscnt 0x0
	s_barrier_signal -1
	s_barrier_wait -1
	s_wait_xcnt 0x0
	s_and_saveexec_b32 s17, s1
	s_cbranch_execz .LBB53_36
; %bb.27:
	s_and_not1_b32 vcc_lo, exec_lo, s3
	s_cbranch_vccnz .LBB53_29
; %bb.28:
	scratch_load_b32 v112, v7, off
	ds_load_b32 v113, v1
	s_wait_loadcnt_dscnt 0x0
	v_mul_f32_e32 v112, v112, v113
	s_cbranch_execz .LBB53_30
	s_branch .LBB53_31
.LBB53_29:
                                        ; implicit-def: $vgpr112
.LBB53_30:
	ds_load_b32 v112, v1
.LBB53_31:
	s_and_saveexec_b32 s18, s0
	s_cbranch_execz .LBB53_35
; %bb.32:
	v_subrev_nc_u32_e32 v113, 50, v0
	s_movk_i32 s0, 0xc8
	s_movk_i32 s20, 0x1a8
	s_mov_b32 s19, 0
.LBB53_33:                              ; =>This Inner Loop Header: Depth=1
	scratch_load_b32 v114, off, s0
	v_dual_mov_b32 v115, s20 :: v_dual_add_nc_u32 v113, -1, v113
	s_add_co_i32 s20, s20, 4
	s_wait_xcnt 0x0
	s_add_co_i32 s0, s0, 4
	ds_load_b32 v115, v115
	v_cmp_eq_u32_e32 vcc_lo, 0, v113
	s_or_b32 s19, vcc_lo, s19
	s_wait_loadcnt_dscnt 0x0
	v_fmac_f32_e32 v112, v114, v115
	s_and_not1_b32 exec_lo, exec_lo, s19
	s_cbranch_execnz .LBB53_33
; %bb.34:
	s_or_b32 exec_lo, exec_lo, s19
.LBB53_35:
	s_delay_alu instid0(SALU_CYCLE_1)
	s_or_b32 exec_lo, exec_lo, s18
	v_mov_b32_e32 v113, 0
	ds_load_b32 v113, v113 offset:196
	s_wait_dscnt 0x0
	v_mul_f32_e32 v112, v112, v113
	scratch_store_b32 off, v112, off offset:196
.LBB53_36:
	s_wait_xcnt 0x0
	s_or_b32 exec_lo, exec_lo, s17
	scratch_load_b32 v112, off, off offset:192
	v_cmp_lt_u32_e64 s0, 48, v0
	s_wait_loadcnt 0x0
	ds_store_b32 v1, v112
	s_wait_storecnt_dscnt 0x0
	s_barrier_signal -1
	s_barrier_wait -1
	s_wait_xcnt 0x0
	s_and_saveexec_b32 s17, s0
	s_cbranch_execz .LBB53_46
; %bb.37:
	s_and_not1_b32 vcc_lo, exec_lo, s3
	s_cbranch_vccnz .LBB53_39
; %bb.38:
	scratch_load_b32 v112, v7, off
	ds_load_b32 v113, v1
	s_wait_loadcnt_dscnt 0x0
	v_mul_f32_e32 v112, v112, v113
	s_cbranch_execz .LBB53_40
	s_branch .LBB53_41
.LBB53_39:
                                        ; implicit-def: $vgpr112
.LBB53_40:
	ds_load_b32 v112, v1
.LBB53_41:
	s_and_saveexec_b32 s18, s1
	s_cbranch_execz .LBB53_45
; %bb.42:
	v_subrev_nc_u32_e32 v113, 49, v0
	s_movk_i32 s1, 0xc4
	s_movk_i32 s20, 0x1a4
	s_mov_b32 s19, 0
.LBB53_43:                              ; =>This Inner Loop Header: Depth=1
	scratch_load_b32 v114, off, s1
	v_dual_mov_b32 v115, s20 :: v_dual_add_nc_u32 v113, -1, v113
	s_add_co_i32 s20, s20, 4
	s_wait_xcnt 0x0
	s_add_co_i32 s1, s1, 4
	ds_load_b32 v115, v115
	v_cmp_eq_u32_e32 vcc_lo, 0, v113
	s_or_b32 s19, vcc_lo, s19
	s_wait_loadcnt_dscnt 0x0
	v_fmac_f32_e32 v112, v114, v115
	s_and_not1_b32 exec_lo, exec_lo, s19
	s_cbranch_execnz .LBB53_43
; %bb.44:
	s_or_b32 exec_lo, exec_lo, s19
.LBB53_45:
	s_delay_alu instid0(SALU_CYCLE_1)
	s_or_b32 exec_lo, exec_lo, s18
	v_mov_b32_e32 v113, 0
	ds_load_b32 v113, v113 offset:192
	s_wait_dscnt 0x0
	v_mul_f32_e32 v112, v112, v113
	scratch_store_b32 off, v112, off offset:192
.LBB53_46:
	s_wait_xcnt 0x0
	s_or_b32 exec_lo, exec_lo, s17
	scratch_load_b32 v112, off, off offset:188
	v_cmp_lt_u32_e64 s1, 47, v0
	s_wait_loadcnt 0x0
	ds_store_b32 v1, v112
	s_wait_storecnt_dscnt 0x0
	s_barrier_signal -1
	s_barrier_wait -1
	s_wait_xcnt 0x0
	s_and_saveexec_b32 s17, s1
	s_cbranch_execz .LBB53_56
; %bb.47:
	s_and_not1_b32 vcc_lo, exec_lo, s3
	s_cbranch_vccnz .LBB53_49
; %bb.48:
	scratch_load_b32 v112, v7, off
	ds_load_b32 v113, v1
	s_wait_loadcnt_dscnt 0x0
	v_mul_f32_e32 v112, v112, v113
	s_cbranch_execz .LBB53_50
	s_branch .LBB53_51
.LBB53_49:
                                        ; implicit-def: $vgpr112
.LBB53_50:
	ds_load_b32 v112, v1
.LBB53_51:
	s_and_saveexec_b32 s18, s0
	s_cbranch_execz .LBB53_55
; %bb.52:
	v_subrev_nc_u32_e32 v113, 48, v0
	s_movk_i32 s19, 0x1a0
	s_mov_b32 s0, 0
.LBB53_53:                              ; =>This Inner Loop Header: Depth=1
	scratch_load_b32 v114, off, s16
	v_dual_mov_b32 v115, s19 :: v_dual_add_nc_u32 v113, -1, v113
	s_add_co_i32 s19, s19, 4
	s_wait_xcnt 0x0
	s_add_co_i32 s16, s16, 4
	ds_load_b32 v115, v115
	v_cmp_eq_u32_e32 vcc_lo, 0, v113
	s_or_b32 s0, vcc_lo, s0
	s_wait_loadcnt_dscnt 0x0
	v_fmac_f32_e32 v112, v114, v115
	s_and_not1_b32 exec_lo, exec_lo, s0
	s_cbranch_execnz .LBB53_53
; %bb.54:
	s_or_b32 exec_lo, exec_lo, s0
.LBB53_55:
	s_delay_alu instid0(SALU_CYCLE_1)
	s_or_b32 exec_lo, exec_lo, s18
	v_mov_b32_e32 v113, 0
	ds_load_b32 v113, v113 offset:188
	s_wait_dscnt 0x0
	v_mul_f32_e32 v112, v112, v113
	scratch_store_b32 off, v112, off offset:188
.LBB53_56:
	s_wait_xcnt 0x0
	s_or_b32 exec_lo, exec_lo, s17
	scratch_load_b32 v112, off, off offset:184
	v_cmp_lt_u32_e64 s0, 46, v0
	s_wait_loadcnt 0x0
	ds_store_b32 v1, v112
	s_wait_storecnt_dscnt 0x0
	s_barrier_signal -1
	s_barrier_wait -1
	s_wait_xcnt 0x0
	s_and_saveexec_b32 s16, s0
	s_cbranch_execz .LBB53_66
; %bb.57:
	s_and_not1_b32 vcc_lo, exec_lo, s3
	s_cbranch_vccnz .LBB53_59
; %bb.58:
	scratch_load_b32 v112, v7, off
	ds_load_b32 v113, v1
	s_wait_loadcnt_dscnt 0x0
	v_mul_f32_e32 v112, v112, v113
	s_cbranch_execz .LBB53_60
	s_branch .LBB53_61
.LBB53_59:
                                        ; implicit-def: $vgpr112
.LBB53_60:
	ds_load_b32 v112, v1
.LBB53_61:
	s_and_saveexec_b32 s17, s1
	s_cbranch_execz .LBB53_65
; %bb.62:
	v_subrev_nc_u32_e32 v113, 47, v0
	s_movk_i32 s1, 0xbc
	s_movk_i32 s19, 0x19c
	s_mov_b32 s18, 0
.LBB53_63:                              ; =>This Inner Loop Header: Depth=1
	scratch_load_b32 v114, off, s1
	v_dual_mov_b32 v115, s19 :: v_dual_add_nc_u32 v113, -1, v113
	s_add_co_i32 s19, s19, 4
	s_wait_xcnt 0x0
	s_add_co_i32 s1, s1, 4
	ds_load_b32 v115, v115
	v_cmp_eq_u32_e32 vcc_lo, 0, v113
	s_or_b32 s18, vcc_lo, s18
	s_wait_loadcnt_dscnt 0x0
	v_fmac_f32_e32 v112, v114, v115
	s_and_not1_b32 exec_lo, exec_lo, s18
	s_cbranch_execnz .LBB53_63
; %bb.64:
	s_or_b32 exec_lo, exec_lo, s18
.LBB53_65:
	s_delay_alu instid0(SALU_CYCLE_1)
	s_or_b32 exec_lo, exec_lo, s17
	v_mov_b32_e32 v113, 0
	ds_load_b32 v113, v113 offset:184
	s_wait_dscnt 0x0
	v_mul_f32_e32 v112, v112, v113
	scratch_store_b32 off, v112, off offset:184
.LBB53_66:
	s_wait_xcnt 0x0
	s_or_b32 exec_lo, exec_lo, s16
	scratch_load_b32 v112, off, off offset:180
	v_cmp_lt_u32_e64 s1, 45, v0
	s_wait_loadcnt 0x0
	ds_store_b32 v1, v112
	s_wait_storecnt_dscnt 0x0
	s_barrier_signal -1
	s_barrier_wait -1
	s_wait_xcnt 0x0
	s_and_saveexec_b32 s16, s1
	s_cbranch_execz .LBB53_76
; %bb.67:
	s_and_not1_b32 vcc_lo, exec_lo, s3
	s_cbranch_vccnz .LBB53_69
; %bb.68:
	scratch_load_b32 v112, v7, off
	ds_load_b32 v113, v1
	s_wait_loadcnt_dscnt 0x0
	v_mul_f32_e32 v112, v112, v113
	s_cbranch_execz .LBB53_70
	s_branch .LBB53_71
.LBB53_69:
                                        ; implicit-def: $vgpr112
.LBB53_70:
	ds_load_b32 v112, v1
.LBB53_71:
	s_and_saveexec_b32 s17, s0
	s_cbranch_execz .LBB53_75
; %bb.72:
	v_subrev_nc_u32_e32 v113, 46, v0
	s_movk_i32 s0, 0xb8
	s_movk_i32 s19, 0x198
	s_mov_b32 s18, 0
.LBB53_73:                              ; =>This Inner Loop Header: Depth=1
	scratch_load_b32 v114, off, s0
	v_dual_mov_b32 v115, s19 :: v_dual_add_nc_u32 v113, -1, v113
	s_add_co_i32 s19, s19, 4
	s_wait_xcnt 0x0
	s_add_co_i32 s0, s0, 4
	ds_load_b32 v115, v115
	v_cmp_eq_u32_e32 vcc_lo, 0, v113
	s_or_b32 s18, vcc_lo, s18
	s_wait_loadcnt_dscnt 0x0
	v_fmac_f32_e32 v112, v114, v115
	s_and_not1_b32 exec_lo, exec_lo, s18
	s_cbranch_execnz .LBB53_73
; %bb.74:
	s_or_b32 exec_lo, exec_lo, s18
.LBB53_75:
	s_delay_alu instid0(SALU_CYCLE_1)
	s_or_b32 exec_lo, exec_lo, s17
	v_mov_b32_e32 v113, 0
	ds_load_b32 v113, v113 offset:180
	s_wait_dscnt 0x0
	v_mul_f32_e32 v112, v112, v113
	scratch_store_b32 off, v112, off offset:180
.LBB53_76:
	;; [unrolled: 58-line block ×3, first 2 shown]
	s_wait_xcnt 0x0
	s_or_b32 exec_lo, exec_lo, s16
	scratch_load_b32 v112, off, off offset:172
	v_cmp_lt_u32_e64 s1, 43, v0
	s_wait_loadcnt 0x0
	ds_store_b32 v1, v112
	s_wait_storecnt_dscnt 0x0
	s_barrier_signal -1
	s_barrier_wait -1
	s_wait_xcnt 0x0
	s_and_saveexec_b32 s16, s1
	s_cbranch_execz .LBB53_96
; %bb.87:
	s_and_not1_b32 vcc_lo, exec_lo, s3
	s_cbranch_vccnz .LBB53_89
; %bb.88:
	scratch_load_b32 v112, v7, off
	ds_load_b32 v113, v1
	s_wait_loadcnt_dscnt 0x0
	v_mul_f32_e32 v112, v112, v113
	s_cbranch_execz .LBB53_90
	s_branch .LBB53_91
.LBB53_89:
                                        ; implicit-def: $vgpr112
.LBB53_90:
	ds_load_b32 v112, v1
.LBB53_91:
	s_and_saveexec_b32 s17, s0
	s_cbranch_execz .LBB53_95
; %bb.92:
	v_subrev_nc_u32_e32 v113, 44, v0
	s_movk_i32 s18, 0x190
	s_mov_b32 s0, 0
.LBB53_93:                              ; =>This Inner Loop Header: Depth=1
	scratch_load_b32 v114, off, s15
	v_dual_mov_b32 v115, s18 :: v_dual_add_nc_u32 v113, -1, v113
	s_add_co_i32 s18, s18, 4
	s_wait_xcnt 0x0
	s_add_co_i32 s15, s15, 4
	ds_load_b32 v115, v115
	v_cmp_eq_u32_e32 vcc_lo, 0, v113
	s_or_b32 s0, vcc_lo, s0
	s_wait_loadcnt_dscnt 0x0
	v_fmac_f32_e32 v112, v114, v115
	s_and_not1_b32 exec_lo, exec_lo, s0
	s_cbranch_execnz .LBB53_93
; %bb.94:
	s_or_b32 exec_lo, exec_lo, s0
.LBB53_95:
	s_delay_alu instid0(SALU_CYCLE_1)
	s_or_b32 exec_lo, exec_lo, s17
	v_mov_b32_e32 v113, 0
	ds_load_b32 v113, v113 offset:172
	s_wait_dscnt 0x0
	v_mul_f32_e32 v112, v112, v113
	scratch_store_b32 off, v112, off offset:172
.LBB53_96:
	s_wait_xcnt 0x0
	s_or_b32 exec_lo, exec_lo, s16
	scratch_load_b32 v112, off, off offset:168
	v_cmp_lt_u32_e64 s0, 42, v0
	s_wait_loadcnt 0x0
	ds_store_b32 v1, v112
	s_wait_storecnt_dscnt 0x0
	s_barrier_signal -1
	s_barrier_wait -1
	s_wait_xcnt 0x0
	s_and_saveexec_b32 s15, s0
	s_cbranch_execz .LBB53_106
; %bb.97:
	s_and_not1_b32 vcc_lo, exec_lo, s3
	s_cbranch_vccnz .LBB53_99
; %bb.98:
	scratch_load_b32 v112, v7, off
	ds_load_b32 v113, v1
	s_wait_loadcnt_dscnt 0x0
	v_mul_f32_e32 v112, v112, v113
	s_cbranch_execz .LBB53_100
	s_branch .LBB53_101
.LBB53_99:
                                        ; implicit-def: $vgpr112
.LBB53_100:
	ds_load_b32 v112, v1
.LBB53_101:
	s_and_saveexec_b32 s16, s1
	s_cbranch_execz .LBB53_105
; %bb.102:
	v_subrev_nc_u32_e32 v113, 43, v0
	s_movk_i32 s1, 0xac
	s_movk_i32 s18, 0x18c
	s_mov_b32 s17, 0
.LBB53_103:                             ; =>This Inner Loop Header: Depth=1
	scratch_load_b32 v114, off, s1
	v_dual_mov_b32 v115, s18 :: v_dual_add_nc_u32 v113, -1, v113
	s_add_co_i32 s18, s18, 4
	s_wait_xcnt 0x0
	s_add_co_i32 s1, s1, 4
	ds_load_b32 v115, v115
	v_cmp_eq_u32_e32 vcc_lo, 0, v113
	s_or_b32 s17, vcc_lo, s17
	s_wait_loadcnt_dscnt 0x0
	v_fmac_f32_e32 v112, v114, v115
	s_and_not1_b32 exec_lo, exec_lo, s17
	s_cbranch_execnz .LBB53_103
; %bb.104:
	s_or_b32 exec_lo, exec_lo, s17
.LBB53_105:
	s_delay_alu instid0(SALU_CYCLE_1)
	s_or_b32 exec_lo, exec_lo, s16
	v_mov_b32_e32 v113, 0
	ds_load_b32 v113, v113 offset:168
	s_wait_dscnt 0x0
	v_mul_f32_e32 v112, v112, v113
	scratch_store_b32 off, v112, off offset:168
.LBB53_106:
	s_wait_xcnt 0x0
	s_or_b32 exec_lo, exec_lo, s15
	scratch_load_b32 v112, off, off offset:164
	v_cmp_lt_u32_e64 s1, 41, v0
	s_wait_loadcnt 0x0
	ds_store_b32 v1, v112
	s_wait_storecnt_dscnt 0x0
	s_barrier_signal -1
	s_barrier_wait -1
	s_wait_xcnt 0x0
	s_and_saveexec_b32 s15, s1
	s_cbranch_execz .LBB53_116
; %bb.107:
	s_and_not1_b32 vcc_lo, exec_lo, s3
	s_cbranch_vccnz .LBB53_109
; %bb.108:
	scratch_load_b32 v112, v7, off
	ds_load_b32 v113, v1
	s_wait_loadcnt_dscnt 0x0
	v_mul_f32_e32 v112, v112, v113
	s_cbranch_execz .LBB53_110
	s_branch .LBB53_111
.LBB53_109:
                                        ; implicit-def: $vgpr112
.LBB53_110:
	ds_load_b32 v112, v1
.LBB53_111:
	s_and_saveexec_b32 s16, s0
	s_cbranch_execz .LBB53_115
; %bb.112:
	v_subrev_nc_u32_e32 v113, 42, v0
	s_movk_i32 s0, 0xa8
	s_movk_i32 s18, 0x188
	s_mov_b32 s17, 0
.LBB53_113:                             ; =>This Inner Loop Header: Depth=1
	scratch_load_b32 v114, off, s0
	v_dual_mov_b32 v115, s18 :: v_dual_add_nc_u32 v113, -1, v113
	s_add_co_i32 s18, s18, 4
	s_wait_xcnt 0x0
	s_add_co_i32 s0, s0, 4
	ds_load_b32 v115, v115
	v_cmp_eq_u32_e32 vcc_lo, 0, v113
	s_or_b32 s17, vcc_lo, s17
	s_wait_loadcnt_dscnt 0x0
	v_fmac_f32_e32 v112, v114, v115
	s_and_not1_b32 exec_lo, exec_lo, s17
	s_cbranch_execnz .LBB53_113
; %bb.114:
	s_or_b32 exec_lo, exec_lo, s17
.LBB53_115:
	s_delay_alu instid0(SALU_CYCLE_1)
	s_or_b32 exec_lo, exec_lo, s16
	v_mov_b32_e32 v113, 0
	ds_load_b32 v113, v113 offset:164
	s_wait_dscnt 0x0
	v_mul_f32_e32 v112, v112, v113
	scratch_store_b32 off, v112, off offset:164
.LBB53_116:
	s_wait_xcnt 0x0
	s_or_b32 exec_lo, exec_lo, s15
	scratch_load_b32 v112, off, off offset:160
	v_cmp_lt_u32_e64 s0, 40, v0
	s_wait_loadcnt 0x0
	ds_store_b32 v1, v112
	s_wait_storecnt_dscnt 0x0
	s_barrier_signal -1
	s_barrier_wait -1
	s_wait_xcnt 0x0
	s_and_saveexec_b32 s15, s0
	s_cbranch_execz .LBB53_126
; %bb.117:
	s_and_not1_b32 vcc_lo, exec_lo, s3
	s_cbranch_vccnz .LBB53_119
; %bb.118:
	scratch_load_b32 v112, v7, off
	ds_load_b32 v113, v1
	s_wait_loadcnt_dscnt 0x0
	v_mul_f32_e32 v112, v112, v113
	s_cbranch_execz .LBB53_120
	s_branch .LBB53_121
.LBB53_119:
                                        ; implicit-def: $vgpr112
.LBB53_120:
	ds_load_b32 v112, v1
.LBB53_121:
	s_and_saveexec_b32 s16, s1
	s_cbranch_execz .LBB53_125
; %bb.122:
	v_subrev_nc_u32_e32 v113, 41, v0
	s_movk_i32 s1, 0xa4
	s_movk_i32 s18, 0x184
	s_mov_b32 s17, 0
.LBB53_123:                             ; =>This Inner Loop Header: Depth=1
	scratch_load_b32 v114, off, s1
	v_dual_mov_b32 v115, s18 :: v_dual_add_nc_u32 v113, -1, v113
	s_add_co_i32 s18, s18, 4
	s_wait_xcnt 0x0
	s_add_co_i32 s1, s1, 4
	ds_load_b32 v115, v115
	v_cmp_eq_u32_e32 vcc_lo, 0, v113
	s_or_b32 s17, vcc_lo, s17
	s_wait_loadcnt_dscnt 0x0
	v_fmac_f32_e32 v112, v114, v115
	s_and_not1_b32 exec_lo, exec_lo, s17
	s_cbranch_execnz .LBB53_123
; %bb.124:
	s_or_b32 exec_lo, exec_lo, s17
.LBB53_125:
	s_delay_alu instid0(SALU_CYCLE_1)
	s_or_b32 exec_lo, exec_lo, s16
	v_mov_b32_e32 v113, 0
	ds_load_b32 v113, v113 offset:160
	s_wait_dscnt 0x0
	v_mul_f32_e32 v112, v112, v113
	scratch_store_b32 off, v112, off offset:160
.LBB53_126:
	s_wait_xcnt 0x0
	s_or_b32 exec_lo, exec_lo, s15
	scratch_load_b32 v112, off, off offset:156
	v_cmp_lt_u32_e64 s1, 39, v0
	s_wait_loadcnt 0x0
	ds_store_b32 v1, v112
	s_wait_storecnt_dscnt 0x0
	s_barrier_signal -1
	s_barrier_wait -1
	s_wait_xcnt 0x0
	s_and_saveexec_b32 s15, s1
	s_cbranch_execz .LBB53_136
; %bb.127:
	s_and_not1_b32 vcc_lo, exec_lo, s3
	s_cbranch_vccnz .LBB53_129
; %bb.128:
	scratch_load_b32 v112, v7, off
	ds_load_b32 v113, v1
	s_wait_loadcnt_dscnt 0x0
	v_mul_f32_e32 v112, v112, v113
	s_cbranch_execz .LBB53_130
	s_branch .LBB53_131
.LBB53_129:
                                        ; implicit-def: $vgpr112
.LBB53_130:
	ds_load_b32 v112, v1
.LBB53_131:
	s_and_saveexec_b32 s16, s0
	s_cbranch_execz .LBB53_135
; %bb.132:
	v_subrev_nc_u32_e32 v113, 40, v0
	s_movk_i32 s17, 0x180
	s_mov_b32 s0, 0
.LBB53_133:                             ; =>This Inner Loop Header: Depth=1
	scratch_load_b32 v114, off, s14
	v_dual_mov_b32 v115, s17 :: v_dual_add_nc_u32 v113, -1, v113
	s_add_co_i32 s17, s17, 4
	s_wait_xcnt 0x0
	s_add_co_i32 s14, s14, 4
	ds_load_b32 v115, v115
	v_cmp_eq_u32_e32 vcc_lo, 0, v113
	s_or_b32 s0, vcc_lo, s0
	s_wait_loadcnt_dscnt 0x0
	v_fmac_f32_e32 v112, v114, v115
	s_and_not1_b32 exec_lo, exec_lo, s0
	s_cbranch_execnz .LBB53_133
; %bb.134:
	s_or_b32 exec_lo, exec_lo, s0
.LBB53_135:
	s_delay_alu instid0(SALU_CYCLE_1)
	s_or_b32 exec_lo, exec_lo, s16
	v_mov_b32_e32 v113, 0
	ds_load_b32 v113, v113 offset:156
	s_wait_dscnt 0x0
	v_mul_f32_e32 v112, v112, v113
	scratch_store_b32 off, v112, off offset:156
.LBB53_136:
	s_wait_xcnt 0x0
	s_or_b32 exec_lo, exec_lo, s15
	scratch_load_b32 v112, off, off offset:152
	v_cmp_lt_u32_e64 s0, 38, v0
	s_wait_loadcnt 0x0
	ds_store_b32 v1, v112
	s_wait_storecnt_dscnt 0x0
	s_barrier_signal -1
	s_barrier_wait -1
	s_wait_xcnt 0x0
	s_and_saveexec_b32 s14, s0
	s_cbranch_execz .LBB53_146
; %bb.137:
	s_and_not1_b32 vcc_lo, exec_lo, s3
	s_cbranch_vccnz .LBB53_139
; %bb.138:
	scratch_load_b32 v112, v7, off
	ds_load_b32 v113, v1
	s_wait_loadcnt_dscnt 0x0
	v_mul_f32_e32 v112, v112, v113
	s_cbranch_execz .LBB53_140
	s_branch .LBB53_141
.LBB53_139:
                                        ; implicit-def: $vgpr112
.LBB53_140:
	ds_load_b32 v112, v1
.LBB53_141:
	s_and_saveexec_b32 s15, s1
	s_cbranch_execz .LBB53_145
; %bb.142:
	v_subrev_nc_u32_e32 v113, 39, v0
	s_movk_i32 s1, 0x9c
	s_movk_i32 s17, 0x17c
	s_mov_b32 s16, 0
.LBB53_143:                             ; =>This Inner Loop Header: Depth=1
	scratch_load_b32 v114, off, s1
	v_dual_mov_b32 v115, s17 :: v_dual_add_nc_u32 v113, -1, v113
	s_add_co_i32 s17, s17, 4
	s_wait_xcnt 0x0
	s_add_co_i32 s1, s1, 4
	ds_load_b32 v115, v115
	v_cmp_eq_u32_e32 vcc_lo, 0, v113
	s_or_b32 s16, vcc_lo, s16
	s_wait_loadcnt_dscnt 0x0
	v_fmac_f32_e32 v112, v114, v115
	s_and_not1_b32 exec_lo, exec_lo, s16
	s_cbranch_execnz .LBB53_143
; %bb.144:
	s_or_b32 exec_lo, exec_lo, s16
.LBB53_145:
	s_delay_alu instid0(SALU_CYCLE_1)
	s_or_b32 exec_lo, exec_lo, s15
	v_mov_b32_e32 v113, 0
	ds_load_b32 v113, v113 offset:152
	s_wait_dscnt 0x0
	v_mul_f32_e32 v112, v112, v113
	scratch_store_b32 off, v112, off offset:152
.LBB53_146:
	s_wait_xcnt 0x0
	s_or_b32 exec_lo, exec_lo, s14
	scratch_load_b32 v112, off, off offset:148
	v_cmp_lt_u32_e64 s1, 37, v0
	s_wait_loadcnt 0x0
	ds_store_b32 v1, v112
	s_wait_storecnt_dscnt 0x0
	s_barrier_signal -1
	s_barrier_wait -1
	s_wait_xcnt 0x0
	s_and_saveexec_b32 s14, s1
	s_cbranch_execz .LBB53_156
; %bb.147:
	s_and_not1_b32 vcc_lo, exec_lo, s3
	s_cbranch_vccnz .LBB53_149
; %bb.148:
	scratch_load_b32 v112, v7, off
	ds_load_b32 v113, v1
	s_wait_loadcnt_dscnt 0x0
	v_mul_f32_e32 v112, v112, v113
	s_cbranch_execz .LBB53_150
	s_branch .LBB53_151
.LBB53_149:
                                        ; implicit-def: $vgpr112
.LBB53_150:
	ds_load_b32 v112, v1
.LBB53_151:
	s_and_saveexec_b32 s15, s0
	s_cbranch_execz .LBB53_155
; %bb.152:
	v_subrev_nc_u32_e32 v113, 38, v0
	s_movk_i32 s0, 0x98
	s_movk_i32 s17, 0x178
	s_mov_b32 s16, 0
.LBB53_153:                             ; =>This Inner Loop Header: Depth=1
	scratch_load_b32 v114, off, s0
	v_dual_mov_b32 v115, s17 :: v_dual_add_nc_u32 v113, -1, v113
	s_add_co_i32 s17, s17, 4
	s_wait_xcnt 0x0
	s_add_co_i32 s0, s0, 4
	ds_load_b32 v115, v115
	v_cmp_eq_u32_e32 vcc_lo, 0, v113
	s_or_b32 s16, vcc_lo, s16
	s_wait_loadcnt_dscnt 0x0
	v_fmac_f32_e32 v112, v114, v115
	s_and_not1_b32 exec_lo, exec_lo, s16
	s_cbranch_execnz .LBB53_153
; %bb.154:
	s_or_b32 exec_lo, exec_lo, s16
.LBB53_155:
	s_delay_alu instid0(SALU_CYCLE_1)
	s_or_b32 exec_lo, exec_lo, s15
	v_mov_b32_e32 v113, 0
	ds_load_b32 v113, v113 offset:148
	s_wait_dscnt 0x0
	v_mul_f32_e32 v112, v112, v113
	scratch_store_b32 off, v112, off offset:148
.LBB53_156:
	;; [unrolled: 58-line block ×3, first 2 shown]
	s_wait_xcnt 0x0
	s_or_b32 exec_lo, exec_lo, s14
	scratch_load_b32 v112, off, off offset:140
	v_cmp_lt_u32_e64 s1, 35, v0
	s_wait_loadcnt 0x0
	ds_store_b32 v1, v112
	s_wait_storecnt_dscnt 0x0
	s_barrier_signal -1
	s_barrier_wait -1
	s_wait_xcnt 0x0
	s_and_saveexec_b32 s14, s1
	s_cbranch_execz .LBB53_176
; %bb.167:
	s_and_not1_b32 vcc_lo, exec_lo, s3
	s_cbranch_vccnz .LBB53_169
; %bb.168:
	scratch_load_b32 v112, v7, off
	ds_load_b32 v113, v1
	s_wait_loadcnt_dscnt 0x0
	v_mul_f32_e32 v112, v112, v113
	s_cbranch_execz .LBB53_170
	s_branch .LBB53_171
.LBB53_169:
                                        ; implicit-def: $vgpr112
.LBB53_170:
	ds_load_b32 v112, v1
.LBB53_171:
	s_and_saveexec_b32 s15, s0
	s_cbranch_execz .LBB53_175
; %bb.172:
	v_subrev_nc_u32_e32 v113, 36, v0
	s_movk_i32 s16, 0x170
	s_mov_b32 s0, 0
.LBB53_173:                             ; =>This Inner Loop Header: Depth=1
	scratch_load_b32 v114, off, s13
	v_dual_mov_b32 v115, s16 :: v_dual_add_nc_u32 v113, -1, v113
	s_add_co_i32 s16, s16, 4
	s_wait_xcnt 0x0
	s_add_co_i32 s13, s13, 4
	ds_load_b32 v115, v115
	v_cmp_eq_u32_e32 vcc_lo, 0, v113
	s_or_b32 s0, vcc_lo, s0
	s_wait_loadcnt_dscnt 0x0
	v_fmac_f32_e32 v112, v114, v115
	s_and_not1_b32 exec_lo, exec_lo, s0
	s_cbranch_execnz .LBB53_173
; %bb.174:
	s_or_b32 exec_lo, exec_lo, s0
.LBB53_175:
	s_delay_alu instid0(SALU_CYCLE_1)
	s_or_b32 exec_lo, exec_lo, s15
	v_mov_b32_e32 v113, 0
	ds_load_b32 v113, v113 offset:140
	s_wait_dscnt 0x0
	v_mul_f32_e32 v112, v112, v113
	scratch_store_b32 off, v112, off offset:140
.LBB53_176:
	s_wait_xcnt 0x0
	s_or_b32 exec_lo, exec_lo, s14
	scratch_load_b32 v112, off, off offset:136
	v_cmp_lt_u32_e64 s0, 34, v0
	s_wait_loadcnt 0x0
	ds_store_b32 v1, v112
	s_wait_storecnt_dscnt 0x0
	s_barrier_signal -1
	s_barrier_wait -1
	s_wait_xcnt 0x0
	s_and_saveexec_b32 s13, s0
	s_cbranch_execz .LBB53_186
; %bb.177:
	s_and_not1_b32 vcc_lo, exec_lo, s3
	s_cbranch_vccnz .LBB53_179
; %bb.178:
	scratch_load_b32 v112, v7, off
	ds_load_b32 v113, v1
	s_wait_loadcnt_dscnt 0x0
	v_mul_f32_e32 v112, v112, v113
	s_cbranch_execz .LBB53_180
	s_branch .LBB53_181
.LBB53_179:
                                        ; implicit-def: $vgpr112
.LBB53_180:
	ds_load_b32 v112, v1
.LBB53_181:
	s_and_saveexec_b32 s14, s1
	s_cbranch_execz .LBB53_185
; %bb.182:
	v_subrev_nc_u32_e32 v113, 35, v0
	s_movk_i32 s1, 0x8c
	s_movk_i32 s16, 0x16c
	s_mov_b32 s15, 0
.LBB53_183:                             ; =>This Inner Loop Header: Depth=1
	scratch_load_b32 v114, off, s1
	v_dual_mov_b32 v115, s16 :: v_dual_add_nc_u32 v113, -1, v113
	s_add_co_i32 s16, s16, 4
	s_wait_xcnt 0x0
	s_add_co_i32 s1, s1, 4
	ds_load_b32 v115, v115
	v_cmp_eq_u32_e32 vcc_lo, 0, v113
	s_or_b32 s15, vcc_lo, s15
	s_wait_loadcnt_dscnt 0x0
	v_fmac_f32_e32 v112, v114, v115
	s_and_not1_b32 exec_lo, exec_lo, s15
	s_cbranch_execnz .LBB53_183
; %bb.184:
	s_or_b32 exec_lo, exec_lo, s15
.LBB53_185:
	s_delay_alu instid0(SALU_CYCLE_1)
	s_or_b32 exec_lo, exec_lo, s14
	v_mov_b32_e32 v113, 0
	ds_load_b32 v113, v113 offset:136
	s_wait_dscnt 0x0
	v_mul_f32_e32 v112, v112, v113
	scratch_store_b32 off, v112, off offset:136
.LBB53_186:
	s_wait_xcnt 0x0
	s_or_b32 exec_lo, exec_lo, s13
	scratch_load_b32 v112, off, off offset:132
	v_cmp_lt_u32_e64 s1, 33, v0
	s_wait_loadcnt 0x0
	ds_store_b32 v1, v112
	s_wait_storecnt_dscnt 0x0
	s_barrier_signal -1
	s_barrier_wait -1
	s_wait_xcnt 0x0
	s_and_saveexec_b32 s13, s1
	s_cbranch_execz .LBB53_196
; %bb.187:
	s_and_not1_b32 vcc_lo, exec_lo, s3
	s_cbranch_vccnz .LBB53_189
; %bb.188:
	scratch_load_b32 v112, v7, off
	ds_load_b32 v113, v1
	s_wait_loadcnt_dscnt 0x0
	v_mul_f32_e32 v112, v112, v113
	s_cbranch_execz .LBB53_190
	s_branch .LBB53_191
.LBB53_189:
                                        ; implicit-def: $vgpr112
.LBB53_190:
	ds_load_b32 v112, v1
.LBB53_191:
	s_and_saveexec_b32 s14, s0
	s_cbranch_execz .LBB53_195
; %bb.192:
	v_subrev_nc_u32_e32 v113, 34, v0
	s_movk_i32 s0, 0x88
	s_movk_i32 s16, 0x168
	s_mov_b32 s15, 0
.LBB53_193:                             ; =>This Inner Loop Header: Depth=1
	scratch_load_b32 v114, off, s0
	v_dual_mov_b32 v115, s16 :: v_dual_add_nc_u32 v113, -1, v113
	s_add_co_i32 s16, s16, 4
	s_wait_xcnt 0x0
	s_add_co_i32 s0, s0, 4
	ds_load_b32 v115, v115
	v_cmp_eq_u32_e32 vcc_lo, 0, v113
	s_or_b32 s15, vcc_lo, s15
	s_wait_loadcnt_dscnt 0x0
	v_fmac_f32_e32 v112, v114, v115
	s_and_not1_b32 exec_lo, exec_lo, s15
	s_cbranch_execnz .LBB53_193
; %bb.194:
	s_or_b32 exec_lo, exec_lo, s15
.LBB53_195:
	s_delay_alu instid0(SALU_CYCLE_1)
	s_or_b32 exec_lo, exec_lo, s14
	v_mov_b32_e32 v113, 0
	ds_load_b32 v113, v113 offset:132
	s_wait_dscnt 0x0
	v_mul_f32_e32 v112, v112, v113
	scratch_store_b32 off, v112, off offset:132
.LBB53_196:
	;; [unrolled: 58-line block ×3, first 2 shown]
	s_wait_xcnt 0x0
	s_or_b32 exec_lo, exec_lo, s13
	scratch_load_b32 v112, off, off offset:124
	v_cmp_lt_u32_e64 s1, 31, v0
	s_wait_loadcnt 0x0
	ds_store_b32 v1, v112
	s_wait_storecnt_dscnt 0x0
	s_barrier_signal -1
	s_barrier_wait -1
	s_wait_xcnt 0x0
	s_and_saveexec_b32 s13, s1
	s_cbranch_execz .LBB53_216
; %bb.207:
	s_and_not1_b32 vcc_lo, exec_lo, s3
	s_cbranch_vccnz .LBB53_209
; %bb.208:
	scratch_load_b32 v112, v7, off
	ds_load_b32 v113, v1
	s_wait_loadcnt_dscnt 0x0
	v_mul_f32_e32 v112, v112, v113
	s_cbranch_execz .LBB53_210
	s_branch .LBB53_211
.LBB53_209:
                                        ; implicit-def: $vgpr112
.LBB53_210:
	ds_load_b32 v112, v1
.LBB53_211:
	s_and_saveexec_b32 s14, s0
	s_cbranch_execz .LBB53_215
; %bb.212:
	v_subrev_nc_u32_e32 v113, 32, v0
	s_movk_i32 s15, 0x160
	s_mov_b32 s0, 0
.LBB53_213:                             ; =>This Inner Loop Header: Depth=1
	scratch_load_b32 v114, off, s12
	v_dual_mov_b32 v115, s15 :: v_dual_add_nc_u32 v113, -1, v113
	s_add_co_i32 s15, s15, 4
	s_wait_xcnt 0x0
	s_add_co_i32 s12, s12, 4
	ds_load_b32 v115, v115
	v_cmp_eq_u32_e32 vcc_lo, 0, v113
	s_or_b32 s0, vcc_lo, s0
	s_wait_loadcnt_dscnt 0x0
	v_fmac_f32_e32 v112, v114, v115
	s_and_not1_b32 exec_lo, exec_lo, s0
	s_cbranch_execnz .LBB53_213
; %bb.214:
	s_or_b32 exec_lo, exec_lo, s0
.LBB53_215:
	s_delay_alu instid0(SALU_CYCLE_1)
	s_or_b32 exec_lo, exec_lo, s14
	v_mov_b32_e32 v113, 0
	ds_load_b32 v113, v113 offset:124
	s_wait_dscnt 0x0
	v_mul_f32_e32 v112, v112, v113
	scratch_store_b32 off, v112, off offset:124
.LBB53_216:
	s_wait_xcnt 0x0
	s_or_b32 exec_lo, exec_lo, s13
	scratch_load_b32 v112, off, off offset:120
	v_cmp_lt_u32_e64 s0, 30, v0
	s_wait_loadcnt 0x0
	ds_store_b32 v1, v112
	s_wait_storecnt_dscnt 0x0
	s_barrier_signal -1
	s_barrier_wait -1
	s_wait_xcnt 0x0
	s_and_saveexec_b32 s12, s0
	s_cbranch_execz .LBB53_226
; %bb.217:
	s_and_not1_b32 vcc_lo, exec_lo, s3
	s_cbranch_vccnz .LBB53_219
; %bb.218:
	scratch_load_b32 v112, v7, off
	ds_load_b32 v113, v1
	s_wait_loadcnt_dscnt 0x0
	v_mul_f32_e32 v112, v112, v113
	s_cbranch_execz .LBB53_220
	s_branch .LBB53_221
.LBB53_219:
                                        ; implicit-def: $vgpr112
.LBB53_220:
	ds_load_b32 v112, v1
.LBB53_221:
	s_and_saveexec_b32 s13, s1
	s_cbranch_execz .LBB53_225
; %bb.222:
	v_subrev_nc_u32_e32 v113, 31, v0
	s_movk_i32 s1, 0x7c
	s_movk_i32 s15, 0x15c
	s_mov_b32 s14, 0
.LBB53_223:                             ; =>This Inner Loop Header: Depth=1
	scratch_load_b32 v114, off, s1
	v_dual_mov_b32 v115, s15 :: v_dual_add_nc_u32 v113, -1, v113
	s_add_co_i32 s15, s15, 4
	s_wait_xcnt 0x0
	s_add_co_i32 s1, s1, 4
	ds_load_b32 v115, v115
	v_cmp_eq_u32_e32 vcc_lo, 0, v113
	s_or_b32 s14, vcc_lo, s14
	s_wait_loadcnt_dscnt 0x0
	v_fmac_f32_e32 v112, v114, v115
	s_and_not1_b32 exec_lo, exec_lo, s14
	s_cbranch_execnz .LBB53_223
; %bb.224:
	s_or_b32 exec_lo, exec_lo, s14
.LBB53_225:
	s_delay_alu instid0(SALU_CYCLE_1)
	s_or_b32 exec_lo, exec_lo, s13
	v_mov_b32_e32 v113, 0
	ds_load_b32 v113, v113 offset:120
	s_wait_dscnt 0x0
	v_mul_f32_e32 v112, v112, v113
	scratch_store_b32 off, v112, off offset:120
.LBB53_226:
	s_wait_xcnt 0x0
	s_or_b32 exec_lo, exec_lo, s12
	scratch_load_b32 v112, off, off offset:116
	v_cmp_lt_u32_e64 s1, 29, v0
	s_wait_loadcnt 0x0
	ds_store_b32 v1, v112
	s_wait_storecnt_dscnt 0x0
	s_barrier_signal -1
	s_barrier_wait -1
	s_wait_xcnt 0x0
	s_and_saveexec_b32 s12, s1
	s_cbranch_execz .LBB53_236
; %bb.227:
	s_and_not1_b32 vcc_lo, exec_lo, s3
	s_cbranch_vccnz .LBB53_229
; %bb.228:
	scratch_load_b32 v112, v7, off
	ds_load_b32 v113, v1
	s_wait_loadcnt_dscnt 0x0
	v_mul_f32_e32 v112, v112, v113
	s_cbranch_execz .LBB53_230
	s_branch .LBB53_231
.LBB53_229:
                                        ; implicit-def: $vgpr112
.LBB53_230:
	ds_load_b32 v112, v1
.LBB53_231:
	s_and_saveexec_b32 s13, s0
	s_cbranch_execz .LBB53_235
; %bb.232:
	v_subrev_nc_u32_e32 v113, 30, v0
	s_movk_i32 s0, 0x78
	s_movk_i32 s15, 0x158
	s_mov_b32 s14, 0
.LBB53_233:                             ; =>This Inner Loop Header: Depth=1
	scratch_load_b32 v114, off, s0
	v_dual_mov_b32 v115, s15 :: v_dual_add_nc_u32 v113, -1, v113
	s_add_co_i32 s15, s15, 4
	s_wait_xcnt 0x0
	s_add_co_i32 s0, s0, 4
	ds_load_b32 v115, v115
	v_cmp_eq_u32_e32 vcc_lo, 0, v113
	s_or_b32 s14, vcc_lo, s14
	s_wait_loadcnt_dscnt 0x0
	v_fmac_f32_e32 v112, v114, v115
	s_and_not1_b32 exec_lo, exec_lo, s14
	s_cbranch_execnz .LBB53_233
; %bb.234:
	s_or_b32 exec_lo, exec_lo, s14
.LBB53_235:
	s_delay_alu instid0(SALU_CYCLE_1)
	s_or_b32 exec_lo, exec_lo, s13
	v_mov_b32_e32 v113, 0
	ds_load_b32 v113, v113 offset:116
	s_wait_dscnt 0x0
	v_mul_f32_e32 v112, v112, v113
	scratch_store_b32 off, v112, off offset:116
.LBB53_236:
	;; [unrolled: 58-line block ×3, first 2 shown]
	s_wait_xcnt 0x0
	s_or_b32 exec_lo, exec_lo, s12
	scratch_load_b32 v112, off, off offset:108
	v_cmp_lt_u32_e64 s1, 27, v0
	s_wait_loadcnt 0x0
	ds_store_b32 v1, v112
	s_wait_storecnt_dscnt 0x0
	s_barrier_signal -1
	s_barrier_wait -1
	s_wait_xcnt 0x0
	s_and_saveexec_b32 s12, s1
	s_cbranch_execz .LBB53_256
; %bb.247:
	s_and_not1_b32 vcc_lo, exec_lo, s3
	s_cbranch_vccnz .LBB53_249
; %bb.248:
	scratch_load_b32 v112, v7, off
	ds_load_b32 v113, v1
	s_wait_loadcnt_dscnt 0x0
	v_mul_f32_e32 v112, v112, v113
	s_cbranch_execz .LBB53_250
	s_branch .LBB53_251
.LBB53_249:
                                        ; implicit-def: $vgpr112
.LBB53_250:
	ds_load_b32 v112, v1
.LBB53_251:
	s_and_saveexec_b32 s13, s0
	s_cbranch_execz .LBB53_255
; %bb.252:
	v_subrev_nc_u32_e32 v113, 28, v0
	s_movk_i32 s14, 0x150
	s_mov_b32 s0, 0
.LBB53_253:                             ; =>This Inner Loop Header: Depth=1
	scratch_load_b32 v114, off, s11
	v_dual_mov_b32 v115, s14 :: v_dual_add_nc_u32 v113, -1, v113
	s_add_co_i32 s14, s14, 4
	s_wait_xcnt 0x0
	s_add_co_i32 s11, s11, 4
	ds_load_b32 v115, v115
	v_cmp_eq_u32_e32 vcc_lo, 0, v113
	s_or_b32 s0, vcc_lo, s0
	s_wait_loadcnt_dscnt 0x0
	v_fmac_f32_e32 v112, v114, v115
	s_and_not1_b32 exec_lo, exec_lo, s0
	s_cbranch_execnz .LBB53_253
; %bb.254:
	s_or_b32 exec_lo, exec_lo, s0
.LBB53_255:
	s_delay_alu instid0(SALU_CYCLE_1)
	s_or_b32 exec_lo, exec_lo, s13
	v_mov_b32_e32 v113, 0
	ds_load_b32 v113, v113 offset:108
	s_wait_dscnt 0x0
	v_mul_f32_e32 v112, v112, v113
	scratch_store_b32 off, v112, off offset:108
.LBB53_256:
	s_wait_xcnt 0x0
	s_or_b32 exec_lo, exec_lo, s12
	scratch_load_b32 v112, off, off offset:104
	v_cmp_lt_u32_e64 s0, 26, v0
	s_wait_loadcnt 0x0
	ds_store_b32 v1, v112
	s_wait_storecnt_dscnt 0x0
	s_barrier_signal -1
	s_barrier_wait -1
	s_wait_xcnt 0x0
	s_and_saveexec_b32 s11, s0
	s_cbranch_execz .LBB53_266
; %bb.257:
	s_and_not1_b32 vcc_lo, exec_lo, s3
	s_cbranch_vccnz .LBB53_259
; %bb.258:
	scratch_load_b32 v112, v7, off
	ds_load_b32 v113, v1
	s_wait_loadcnt_dscnt 0x0
	v_mul_f32_e32 v112, v112, v113
	s_cbranch_execz .LBB53_260
	s_branch .LBB53_261
.LBB53_259:
                                        ; implicit-def: $vgpr112
.LBB53_260:
	ds_load_b32 v112, v1
.LBB53_261:
	s_and_saveexec_b32 s12, s1
	s_cbranch_execz .LBB53_265
; %bb.262:
	v_subrev_nc_u32_e32 v113, 27, v0
	s_movk_i32 s1, 0x6c
	s_movk_i32 s14, 0x14c
	s_mov_b32 s13, 0
.LBB53_263:                             ; =>This Inner Loop Header: Depth=1
	scratch_load_b32 v114, off, s1
	v_dual_mov_b32 v115, s14 :: v_dual_add_nc_u32 v113, -1, v113
	s_add_co_i32 s14, s14, 4
	s_wait_xcnt 0x0
	s_add_co_i32 s1, s1, 4
	ds_load_b32 v115, v115
	v_cmp_eq_u32_e32 vcc_lo, 0, v113
	s_or_b32 s13, vcc_lo, s13
	s_wait_loadcnt_dscnt 0x0
	v_fmac_f32_e32 v112, v114, v115
	s_and_not1_b32 exec_lo, exec_lo, s13
	s_cbranch_execnz .LBB53_263
; %bb.264:
	s_or_b32 exec_lo, exec_lo, s13
.LBB53_265:
	s_delay_alu instid0(SALU_CYCLE_1)
	s_or_b32 exec_lo, exec_lo, s12
	v_mov_b32_e32 v113, 0
	ds_load_b32 v113, v113 offset:104
	s_wait_dscnt 0x0
	v_mul_f32_e32 v112, v112, v113
	scratch_store_b32 off, v112, off offset:104
.LBB53_266:
	s_wait_xcnt 0x0
	s_or_b32 exec_lo, exec_lo, s11
	scratch_load_b32 v112, off, off offset:100
	v_cmp_lt_u32_e64 s1, 25, v0
	s_wait_loadcnt 0x0
	ds_store_b32 v1, v112
	s_wait_storecnt_dscnt 0x0
	s_barrier_signal -1
	s_barrier_wait -1
	s_wait_xcnt 0x0
	s_and_saveexec_b32 s11, s1
	s_cbranch_execz .LBB53_276
; %bb.267:
	s_and_not1_b32 vcc_lo, exec_lo, s3
	s_cbranch_vccnz .LBB53_269
; %bb.268:
	scratch_load_b32 v112, v7, off
	ds_load_b32 v113, v1
	s_wait_loadcnt_dscnt 0x0
	v_mul_f32_e32 v112, v112, v113
	s_cbranch_execz .LBB53_270
	s_branch .LBB53_271
.LBB53_269:
                                        ; implicit-def: $vgpr112
.LBB53_270:
	ds_load_b32 v112, v1
.LBB53_271:
	s_and_saveexec_b32 s12, s0
	s_cbranch_execz .LBB53_275
; %bb.272:
	v_subrev_nc_u32_e32 v113, 26, v0
	s_movk_i32 s0, 0x68
	s_movk_i32 s14, 0x148
	s_mov_b32 s13, 0
.LBB53_273:                             ; =>This Inner Loop Header: Depth=1
	scratch_load_b32 v114, off, s0
	v_dual_mov_b32 v115, s14 :: v_dual_add_nc_u32 v113, -1, v113
	s_add_co_i32 s14, s14, 4
	s_wait_xcnt 0x0
	s_add_co_i32 s0, s0, 4
	ds_load_b32 v115, v115
	v_cmp_eq_u32_e32 vcc_lo, 0, v113
	s_or_b32 s13, vcc_lo, s13
	s_wait_loadcnt_dscnt 0x0
	v_fmac_f32_e32 v112, v114, v115
	s_and_not1_b32 exec_lo, exec_lo, s13
	s_cbranch_execnz .LBB53_273
; %bb.274:
	s_or_b32 exec_lo, exec_lo, s13
.LBB53_275:
	s_delay_alu instid0(SALU_CYCLE_1)
	s_or_b32 exec_lo, exec_lo, s12
	v_mov_b32_e32 v113, 0
	ds_load_b32 v113, v113 offset:100
	s_wait_dscnt 0x0
	v_mul_f32_e32 v112, v112, v113
	scratch_store_b32 off, v112, off offset:100
.LBB53_276:
	;; [unrolled: 58-line block ×3, first 2 shown]
	s_wait_xcnt 0x0
	s_or_b32 exec_lo, exec_lo, s11
	scratch_load_b32 v112, off, off offset:92
	v_cmp_lt_u32_e64 s1, 23, v0
	s_wait_loadcnt 0x0
	ds_store_b32 v1, v112
	s_wait_storecnt_dscnt 0x0
	s_barrier_signal -1
	s_barrier_wait -1
	s_wait_xcnt 0x0
	s_and_saveexec_b32 s11, s1
	s_cbranch_execz .LBB53_296
; %bb.287:
	s_and_not1_b32 vcc_lo, exec_lo, s3
	s_cbranch_vccnz .LBB53_289
; %bb.288:
	scratch_load_b32 v112, v7, off
	ds_load_b32 v113, v1
	s_wait_loadcnt_dscnt 0x0
	v_mul_f32_e32 v112, v112, v113
	s_cbranch_execz .LBB53_290
	s_branch .LBB53_291
.LBB53_289:
                                        ; implicit-def: $vgpr112
.LBB53_290:
	ds_load_b32 v112, v1
.LBB53_291:
	s_and_saveexec_b32 s12, s0
	s_cbranch_execz .LBB53_295
; %bb.292:
	v_subrev_nc_u32_e32 v113, 24, v0
	s_movk_i32 s13, 0x140
	s_mov_b32 s0, 0
.LBB53_293:                             ; =>This Inner Loop Header: Depth=1
	scratch_load_b32 v114, off, s10
	v_dual_mov_b32 v115, s13 :: v_dual_add_nc_u32 v113, -1, v113
	s_add_co_i32 s13, s13, 4
	s_wait_xcnt 0x0
	s_add_co_i32 s10, s10, 4
	ds_load_b32 v115, v115
	v_cmp_eq_u32_e32 vcc_lo, 0, v113
	s_or_b32 s0, vcc_lo, s0
	s_wait_loadcnt_dscnt 0x0
	v_fmac_f32_e32 v112, v114, v115
	s_and_not1_b32 exec_lo, exec_lo, s0
	s_cbranch_execnz .LBB53_293
; %bb.294:
	s_or_b32 exec_lo, exec_lo, s0
.LBB53_295:
	s_delay_alu instid0(SALU_CYCLE_1)
	s_or_b32 exec_lo, exec_lo, s12
	v_mov_b32_e32 v113, 0
	ds_load_b32 v113, v113 offset:92
	s_wait_dscnt 0x0
	v_mul_f32_e32 v112, v112, v113
	scratch_store_b32 off, v112, off offset:92
.LBB53_296:
	s_wait_xcnt 0x0
	s_or_b32 exec_lo, exec_lo, s11
	scratch_load_b32 v112, off, off offset:88
	v_cmp_lt_u32_e64 s0, 22, v0
	s_wait_loadcnt 0x0
	ds_store_b32 v1, v112
	s_wait_storecnt_dscnt 0x0
	s_barrier_signal -1
	s_barrier_wait -1
	s_wait_xcnt 0x0
	s_and_saveexec_b32 s10, s0
	s_cbranch_execz .LBB53_306
; %bb.297:
	s_and_not1_b32 vcc_lo, exec_lo, s3
	s_cbranch_vccnz .LBB53_299
; %bb.298:
	scratch_load_b32 v112, v7, off
	ds_load_b32 v113, v1
	s_wait_loadcnt_dscnt 0x0
	v_mul_f32_e32 v112, v112, v113
	s_cbranch_execz .LBB53_300
	s_branch .LBB53_301
.LBB53_299:
                                        ; implicit-def: $vgpr112
.LBB53_300:
	ds_load_b32 v112, v1
.LBB53_301:
	s_and_saveexec_b32 s11, s1
	s_cbranch_execz .LBB53_305
; %bb.302:
	v_subrev_nc_u32_e32 v113, 23, v0
	s_movk_i32 s1, 0x5c
	s_movk_i32 s13, 0x13c
	s_mov_b32 s12, 0
.LBB53_303:                             ; =>This Inner Loop Header: Depth=1
	scratch_load_b32 v114, off, s1
	v_dual_mov_b32 v115, s13 :: v_dual_add_nc_u32 v113, -1, v113
	s_add_co_i32 s13, s13, 4
	s_wait_xcnt 0x0
	s_add_co_i32 s1, s1, 4
	ds_load_b32 v115, v115
	v_cmp_eq_u32_e32 vcc_lo, 0, v113
	s_or_b32 s12, vcc_lo, s12
	s_wait_loadcnt_dscnt 0x0
	v_fmac_f32_e32 v112, v114, v115
	s_and_not1_b32 exec_lo, exec_lo, s12
	s_cbranch_execnz .LBB53_303
; %bb.304:
	s_or_b32 exec_lo, exec_lo, s12
.LBB53_305:
	s_delay_alu instid0(SALU_CYCLE_1)
	s_or_b32 exec_lo, exec_lo, s11
	v_mov_b32_e32 v113, 0
	ds_load_b32 v113, v113 offset:88
	s_wait_dscnt 0x0
	v_mul_f32_e32 v112, v112, v113
	scratch_store_b32 off, v112, off offset:88
.LBB53_306:
	s_wait_xcnt 0x0
	s_or_b32 exec_lo, exec_lo, s10
	scratch_load_b32 v112, off, off offset:84
	v_cmp_lt_u32_e64 s1, 21, v0
	s_wait_loadcnt 0x0
	ds_store_b32 v1, v112
	s_wait_storecnt_dscnt 0x0
	s_barrier_signal -1
	s_barrier_wait -1
	s_wait_xcnt 0x0
	s_and_saveexec_b32 s10, s1
	s_cbranch_execz .LBB53_316
; %bb.307:
	s_and_not1_b32 vcc_lo, exec_lo, s3
	s_cbranch_vccnz .LBB53_309
; %bb.308:
	scratch_load_b32 v112, v7, off
	ds_load_b32 v113, v1
	s_wait_loadcnt_dscnt 0x0
	v_mul_f32_e32 v112, v112, v113
	s_cbranch_execz .LBB53_310
	s_branch .LBB53_311
.LBB53_309:
                                        ; implicit-def: $vgpr112
.LBB53_310:
	ds_load_b32 v112, v1
.LBB53_311:
	s_and_saveexec_b32 s11, s0
	s_cbranch_execz .LBB53_315
; %bb.312:
	v_subrev_nc_u32_e32 v113, 22, v0
	s_movk_i32 s0, 0x58
	s_movk_i32 s13, 0x138
	s_mov_b32 s12, 0
.LBB53_313:                             ; =>This Inner Loop Header: Depth=1
	scratch_load_b32 v114, off, s0
	v_dual_mov_b32 v115, s13 :: v_dual_add_nc_u32 v113, -1, v113
	s_add_co_i32 s13, s13, 4
	s_wait_xcnt 0x0
	s_add_co_i32 s0, s0, 4
	ds_load_b32 v115, v115
	v_cmp_eq_u32_e32 vcc_lo, 0, v113
	s_or_b32 s12, vcc_lo, s12
	s_wait_loadcnt_dscnt 0x0
	v_fmac_f32_e32 v112, v114, v115
	s_and_not1_b32 exec_lo, exec_lo, s12
	s_cbranch_execnz .LBB53_313
; %bb.314:
	s_or_b32 exec_lo, exec_lo, s12
.LBB53_315:
	s_delay_alu instid0(SALU_CYCLE_1)
	s_or_b32 exec_lo, exec_lo, s11
	v_mov_b32_e32 v113, 0
	ds_load_b32 v113, v113 offset:84
	s_wait_dscnt 0x0
	v_mul_f32_e32 v112, v112, v113
	scratch_store_b32 off, v112, off offset:84
.LBB53_316:
	;; [unrolled: 58-line block ×3, first 2 shown]
	s_wait_xcnt 0x0
	s_or_b32 exec_lo, exec_lo, s10
	scratch_load_b32 v112, off, off offset:76
	v_cmp_lt_u32_e64 s1, 19, v0
	s_wait_loadcnt 0x0
	ds_store_b32 v1, v112
	s_wait_storecnt_dscnt 0x0
	s_barrier_signal -1
	s_barrier_wait -1
	s_wait_xcnt 0x0
	s_and_saveexec_b32 s10, s1
	s_cbranch_execz .LBB53_336
; %bb.327:
	s_and_not1_b32 vcc_lo, exec_lo, s3
	s_cbranch_vccnz .LBB53_329
; %bb.328:
	scratch_load_b32 v112, v7, off
	ds_load_b32 v113, v1
	s_wait_loadcnt_dscnt 0x0
	v_mul_f32_e32 v112, v112, v113
	s_cbranch_execz .LBB53_330
	s_branch .LBB53_331
.LBB53_329:
                                        ; implicit-def: $vgpr112
.LBB53_330:
	ds_load_b32 v112, v1
.LBB53_331:
	s_and_saveexec_b32 s11, s0
	s_cbranch_execz .LBB53_335
; %bb.332:
	v_subrev_nc_u32_e32 v113, 20, v0
	s_movk_i32 s12, 0x130
	s_mov_b32 s0, 0
.LBB53_333:                             ; =>This Inner Loop Header: Depth=1
	scratch_load_b32 v114, off, s9
	v_dual_mov_b32 v115, s12 :: v_dual_add_nc_u32 v113, -1, v113
	s_add_co_i32 s12, s12, 4
	s_wait_xcnt 0x0
	s_add_co_i32 s9, s9, 4
	ds_load_b32 v115, v115
	v_cmp_eq_u32_e32 vcc_lo, 0, v113
	s_or_b32 s0, vcc_lo, s0
	s_wait_loadcnt_dscnt 0x0
	v_fmac_f32_e32 v112, v114, v115
	s_and_not1_b32 exec_lo, exec_lo, s0
	s_cbranch_execnz .LBB53_333
; %bb.334:
	s_or_b32 exec_lo, exec_lo, s0
.LBB53_335:
	s_delay_alu instid0(SALU_CYCLE_1)
	s_or_b32 exec_lo, exec_lo, s11
	v_mov_b32_e32 v113, 0
	ds_load_b32 v113, v113 offset:76
	s_wait_dscnt 0x0
	v_mul_f32_e32 v112, v112, v113
	scratch_store_b32 off, v112, off offset:76
.LBB53_336:
	s_wait_xcnt 0x0
	s_or_b32 exec_lo, exec_lo, s10
	scratch_load_b32 v112, off, off offset:72
	v_cmp_lt_u32_e64 s0, 18, v0
	s_wait_loadcnt 0x0
	ds_store_b32 v1, v112
	s_wait_storecnt_dscnt 0x0
	s_barrier_signal -1
	s_barrier_wait -1
	s_wait_xcnt 0x0
	s_and_saveexec_b32 s9, s0
	s_cbranch_execz .LBB53_346
; %bb.337:
	s_and_not1_b32 vcc_lo, exec_lo, s3
	s_cbranch_vccnz .LBB53_339
; %bb.338:
	scratch_load_b32 v112, v7, off
	ds_load_b32 v113, v1
	s_wait_loadcnt_dscnt 0x0
	v_mul_f32_e32 v112, v112, v113
	s_cbranch_execz .LBB53_340
	s_branch .LBB53_341
.LBB53_339:
                                        ; implicit-def: $vgpr112
.LBB53_340:
	ds_load_b32 v112, v1
.LBB53_341:
	s_and_saveexec_b32 s10, s1
	s_cbranch_execz .LBB53_345
; %bb.342:
	v_subrev_nc_u32_e32 v113, 19, v0
	s_movk_i32 s1, 0x4c
	s_movk_i32 s12, 0x12c
	s_mov_b32 s11, 0
.LBB53_343:                             ; =>This Inner Loop Header: Depth=1
	scratch_load_b32 v114, off, s1
	v_dual_mov_b32 v115, s12 :: v_dual_add_nc_u32 v113, -1, v113
	s_add_co_i32 s12, s12, 4
	s_wait_xcnt 0x0
	s_add_co_i32 s1, s1, 4
	ds_load_b32 v115, v115
	v_cmp_eq_u32_e32 vcc_lo, 0, v113
	s_or_b32 s11, vcc_lo, s11
	s_wait_loadcnt_dscnt 0x0
	v_fmac_f32_e32 v112, v114, v115
	s_and_not1_b32 exec_lo, exec_lo, s11
	s_cbranch_execnz .LBB53_343
; %bb.344:
	s_or_b32 exec_lo, exec_lo, s11
.LBB53_345:
	s_delay_alu instid0(SALU_CYCLE_1)
	s_or_b32 exec_lo, exec_lo, s10
	v_mov_b32_e32 v113, 0
	ds_load_b32 v113, v113 offset:72
	s_wait_dscnt 0x0
	v_mul_f32_e32 v112, v112, v113
	scratch_store_b32 off, v112, off offset:72
.LBB53_346:
	s_wait_xcnt 0x0
	s_or_b32 exec_lo, exec_lo, s9
	scratch_load_b32 v112, off, off offset:68
	v_cmp_lt_u32_e64 s1, 17, v0
	s_wait_loadcnt 0x0
	ds_store_b32 v1, v112
	s_wait_storecnt_dscnt 0x0
	s_barrier_signal -1
	s_barrier_wait -1
	s_wait_xcnt 0x0
	s_and_saveexec_b32 s9, s1
	s_cbranch_execz .LBB53_356
; %bb.347:
	s_and_not1_b32 vcc_lo, exec_lo, s3
	s_cbranch_vccnz .LBB53_349
; %bb.348:
	scratch_load_b32 v112, v7, off
	ds_load_b32 v113, v1
	s_wait_loadcnt_dscnt 0x0
	v_mul_f32_e32 v112, v112, v113
	s_cbranch_execz .LBB53_350
	s_branch .LBB53_351
.LBB53_349:
                                        ; implicit-def: $vgpr112
.LBB53_350:
	ds_load_b32 v112, v1
.LBB53_351:
	s_and_saveexec_b32 s10, s0
	s_cbranch_execz .LBB53_355
; %bb.352:
	v_subrev_nc_u32_e32 v113, 18, v0
	s_movk_i32 s0, 0x48
	s_movk_i32 s12, 0x128
	s_mov_b32 s11, 0
.LBB53_353:                             ; =>This Inner Loop Header: Depth=1
	scratch_load_b32 v114, off, s0
	v_dual_mov_b32 v115, s12 :: v_dual_add_nc_u32 v113, -1, v113
	s_add_co_i32 s12, s12, 4
	s_wait_xcnt 0x0
	s_add_co_i32 s0, s0, 4
	ds_load_b32 v115, v115
	v_cmp_eq_u32_e32 vcc_lo, 0, v113
	s_or_b32 s11, vcc_lo, s11
	s_wait_loadcnt_dscnt 0x0
	v_fmac_f32_e32 v112, v114, v115
	s_and_not1_b32 exec_lo, exec_lo, s11
	s_cbranch_execnz .LBB53_353
; %bb.354:
	s_or_b32 exec_lo, exec_lo, s11
.LBB53_355:
	s_delay_alu instid0(SALU_CYCLE_1)
	s_or_b32 exec_lo, exec_lo, s10
	v_mov_b32_e32 v113, 0
	ds_load_b32 v113, v113 offset:68
	s_wait_dscnt 0x0
	v_mul_f32_e32 v112, v112, v113
	scratch_store_b32 off, v112, off offset:68
.LBB53_356:
	;; [unrolled: 58-line block ×3, first 2 shown]
	s_wait_xcnt 0x0
	s_or_b32 exec_lo, exec_lo, s9
	scratch_load_b32 v112, off, off offset:60
	v_cmp_lt_u32_e64 s1, 15, v0
	s_wait_loadcnt 0x0
	ds_store_b32 v1, v112
	s_wait_storecnt_dscnt 0x0
	s_barrier_signal -1
	s_barrier_wait -1
	s_wait_xcnt 0x0
	s_and_saveexec_b32 s9, s1
	s_cbranch_execz .LBB53_376
; %bb.367:
	s_and_not1_b32 vcc_lo, exec_lo, s3
	s_cbranch_vccnz .LBB53_369
; %bb.368:
	scratch_load_b32 v112, v7, off
	ds_load_b32 v113, v1
	s_wait_loadcnt_dscnt 0x0
	v_mul_f32_e32 v112, v112, v113
	s_cbranch_execz .LBB53_370
	s_branch .LBB53_371
.LBB53_369:
                                        ; implicit-def: $vgpr112
.LBB53_370:
	ds_load_b32 v112, v1
.LBB53_371:
	s_and_saveexec_b32 s10, s0
	s_cbranch_execz .LBB53_375
; %bb.372:
	v_add_nc_u32_e32 v113, -16, v0
	s_movk_i32 s11, 0x120
	s_mov_b32 s0, 0
.LBB53_373:                             ; =>This Inner Loop Header: Depth=1
	scratch_load_b32 v114, off, s8
	v_dual_mov_b32 v115, s11 :: v_dual_add_nc_u32 v113, -1, v113
	s_add_co_i32 s11, s11, 4
	s_wait_xcnt 0x0
	s_add_co_i32 s8, s8, 4
	ds_load_b32 v115, v115
	v_cmp_eq_u32_e32 vcc_lo, 0, v113
	s_or_b32 s0, vcc_lo, s0
	s_wait_loadcnt_dscnt 0x0
	v_fmac_f32_e32 v112, v114, v115
	s_and_not1_b32 exec_lo, exec_lo, s0
	s_cbranch_execnz .LBB53_373
; %bb.374:
	s_or_b32 exec_lo, exec_lo, s0
.LBB53_375:
	s_delay_alu instid0(SALU_CYCLE_1)
	s_or_b32 exec_lo, exec_lo, s10
	v_mov_b32_e32 v113, 0
	ds_load_b32 v113, v113 offset:60
	s_wait_dscnt 0x0
	v_mul_f32_e32 v112, v112, v113
	scratch_store_b32 off, v112, off offset:60
.LBB53_376:
	s_wait_xcnt 0x0
	s_or_b32 exec_lo, exec_lo, s9
	scratch_load_b32 v112, off, off offset:56
	v_cmp_lt_u32_e64 s0, 14, v0
	s_wait_loadcnt 0x0
	ds_store_b32 v1, v112
	s_wait_storecnt_dscnt 0x0
	s_barrier_signal -1
	s_barrier_wait -1
	s_wait_xcnt 0x0
	s_and_saveexec_b32 s8, s0
	s_cbranch_execz .LBB53_386
; %bb.377:
	s_and_not1_b32 vcc_lo, exec_lo, s3
	s_cbranch_vccnz .LBB53_379
; %bb.378:
	scratch_load_b32 v112, v7, off
	ds_load_b32 v113, v1
	s_wait_loadcnt_dscnt 0x0
	v_mul_f32_e32 v112, v112, v113
	s_cbranch_execz .LBB53_380
	s_branch .LBB53_381
.LBB53_379:
                                        ; implicit-def: $vgpr112
.LBB53_380:
	ds_load_b32 v112, v1
.LBB53_381:
	s_and_saveexec_b32 s9, s1
	s_cbranch_execz .LBB53_385
; %bb.382:
	v_add_nc_u32_e32 v113, -15, v0
	s_mov_b32 s1, 60
	s_movk_i32 s11, 0x11c
	s_mov_b32 s10, 0
.LBB53_383:                             ; =>This Inner Loop Header: Depth=1
	scratch_load_b32 v114, off, s1
	v_dual_mov_b32 v115, s11 :: v_dual_add_nc_u32 v113, -1, v113
	s_add_co_i32 s11, s11, 4
	s_wait_xcnt 0x0
	s_add_co_i32 s1, s1, 4
	ds_load_b32 v115, v115
	v_cmp_eq_u32_e32 vcc_lo, 0, v113
	s_or_b32 s10, vcc_lo, s10
	s_wait_loadcnt_dscnt 0x0
	v_fmac_f32_e32 v112, v114, v115
	s_and_not1_b32 exec_lo, exec_lo, s10
	s_cbranch_execnz .LBB53_383
; %bb.384:
	s_or_b32 exec_lo, exec_lo, s10
.LBB53_385:
	s_delay_alu instid0(SALU_CYCLE_1)
	s_or_b32 exec_lo, exec_lo, s9
	v_mov_b32_e32 v113, 0
	ds_load_b32 v113, v113 offset:56
	s_wait_dscnt 0x0
	v_mul_f32_e32 v112, v112, v113
	scratch_store_b32 off, v112, off offset:56
.LBB53_386:
	s_wait_xcnt 0x0
	s_or_b32 exec_lo, exec_lo, s8
	scratch_load_b32 v112, off, off offset:52
	v_cmp_lt_u32_e64 s1, 13, v0
	s_wait_loadcnt 0x0
	ds_store_b32 v1, v112
	s_wait_storecnt_dscnt 0x0
	s_barrier_signal -1
	s_barrier_wait -1
	s_wait_xcnt 0x0
	s_and_saveexec_b32 s8, s1
	s_cbranch_execz .LBB53_396
; %bb.387:
	s_and_not1_b32 vcc_lo, exec_lo, s3
	s_cbranch_vccnz .LBB53_389
; %bb.388:
	scratch_load_b32 v112, v7, off
	ds_load_b32 v113, v1
	s_wait_loadcnt_dscnt 0x0
	v_mul_f32_e32 v112, v112, v113
	s_cbranch_execz .LBB53_390
	s_branch .LBB53_391
.LBB53_389:
                                        ; implicit-def: $vgpr112
.LBB53_390:
	ds_load_b32 v112, v1
.LBB53_391:
	s_and_saveexec_b32 s9, s0
	s_cbranch_execz .LBB53_395
; %bb.392:
	v_add_nc_u32_e32 v113, -14, v0
	s_mov_b32 s0, 56
	s_movk_i32 s11, 0x118
	s_mov_b32 s10, 0
.LBB53_393:                             ; =>This Inner Loop Header: Depth=1
	scratch_load_b32 v114, off, s0
	v_dual_mov_b32 v115, s11 :: v_dual_add_nc_u32 v113, -1, v113
	s_add_co_i32 s11, s11, 4
	s_wait_xcnt 0x0
	s_add_co_i32 s0, s0, 4
	ds_load_b32 v115, v115
	v_cmp_eq_u32_e32 vcc_lo, 0, v113
	s_or_b32 s10, vcc_lo, s10
	s_wait_loadcnt_dscnt 0x0
	v_fmac_f32_e32 v112, v114, v115
	s_and_not1_b32 exec_lo, exec_lo, s10
	s_cbranch_execnz .LBB53_393
; %bb.394:
	s_or_b32 exec_lo, exec_lo, s10
.LBB53_395:
	s_delay_alu instid0(SALU_CYCLE_1)
	s_or_b32 exec_lo, exec_lo, s9
	v_mov_b32_e32 v113, 0
	ds_load_b32 v113, v113 offset:52
	s_wait_dscnt 0x0
	v_mul_f32_e32 v112, v112, v113
	scratch_store_b32 off, v112, off offset:52
.LBB53_396:
	s_wait_xcnt 0x0
	s_or_b32 exec_lo, exec_lo, s8
	scratch_load_b32 v112, off, off offset:48
	v_cmp_lt_u32_e64 s0, 12, v0
	s_wait_loadcnt 0x0
	ds_store_b32 v1, v112
	s_wait_storecnt_dscnt 0x0
	s_barrier_signal -1
	s_barrier_wait -1
	s_wait_xcnt 0x0
	s_and_saveexec_b32 s8, s0
	s_cbranch_execz .LBB53_406
; %bb.397:
	s_and_not1_b32 vcc_lo, exec_lo, s3
	s_cbranch_vccnz .LBB53_399
; %bb.398:
	scratch_load_b32 v112, v7, off
	ds_load_b32 v113, v1
	s_wait_loadcnt_dscnt 0x0
	v_mul_f32_e32 v112, v112, v113
	s_cbranch_execz .LBB53_400
	s_branch .LBB53_401
.LBB53_399:
                                        ; implicit-def: $vgpr112
.LBB53_400:
	ds_load_b32 v112, v1
.LBB53_401:
	s_and_saveexec_b32 s9, s1
	s_cbranch_execz .LBB53_405
; %bb.402:
	v_add_nc_u32_e32 v113, -13, v0
	s_mov_b32 s1, 52
	s_movk_i32 s11, 0x114
	s_mov_b32 s10, 0
.LBB53_403:                             ; =>This Inner Loop Header: Depth=1
	scratch_load_b32 v114, off, s1
	v_dual_mov_b32 v115, s11 :: v_dual_add_nc_u32 v113, -1, v113
	s_add_co_i32 s11, s11, 4
	s_wait_xcnt 0x0
	s_add_co_i32 s1, s1, 4
	ds_load_b32 v115, v115
	v_cmp_eq_u32_e32 vcc_lo, 0, v113
	s_or_b32 s10, vcc_lo, s10
	s_wait_loadcnt_dscnt 0x0
	v_fmac_f32_e32 v112, v114, v115
	s_and_not1_b32 exec_lo, exec_lo, s10
	s_cbranch_execnz .LBB53_403
; %bb.404:
	s_or_b32 exec_lo, exec_lo, s10
.LBB53_405:
	s_delay_alu instid0(SALU_CYCLE_1)
	s_or_b32 exec_lo, exec_lo, s9
	v_mov_b32_e32 v113, 0
	ds_load_b32 v113, v113 offset:48
	s_wait_dscnt 0x0
	v_mul_f32_e32 v112, v112, v113
	scratch_store_b32 off, v112, off offset:48
.LBB53_406:
	s_wait_xcnt 0x0
	s_or_b32 exec_lo, exec_lo, s8
	scratch_load_b32 v112, off, off offset:44
	v_cmp_lt_u32_e64 s1, 11, v0
	s_wait_loadcnt 0x0
	ds_store_b32 v1, v112
	s_wait_storecnt_dscnt 0x0
	s_barrier_signal -1
	s_barrier_wait -1
	s_wait_xcnt 0x0
	s_and_saveexec_b32 s8, s1
	s_cbranch_execz .LBB53_416
; %bb.407:
	s_and_not1_b32 vcc_lo, exec_lo, s3
	s_cbranch_vccnz .LBB53_409
; %bb.408:
	scratch_load_b32 v112, v7, off
	ds_load_b32 v113, v1
	s_wait_loadcnt_dscnt 0x0
	v_mul_f32_e32 v112, v112, v113
	s_cbranch_execz .LBB53_410
	s_branch .LBB53_411
.LBB53_409:
                                        ; implicit-def: $vgpr112
.LBB53_410:
	ds_load_b32 v112, v1
.LBB53_411:
	s_and_saveexec_b32 s9, s0
	s_cbranch_execz .LBB53_415
; %bb.412:
	v_add_nc_u32_e32 v113, -12, v0
	s_movk_i32 s10, 0x110
	s_mov_b32 s0, 0
.LBB53_413:                             ; =>This Inner Loop Header: Depth=1
	scratch_load_b32 v114, off, s5
	v_dual_mov_b32 v115, s10 :: v_dual_add_nc_u32 v113, -1, v113
	s_add_co_i32 s10, s10, 4
	s_wait_xcnt 0x0
	s_add_co_i32 s5, s5, 4
	ds_load_b32 v115, v115
	v_cmp_eq_u32_e32 vcc_lo, 0, v113
	s_or_b32 s0, vcc_lo, s0
	s_wait_loadcnt_dscnt 0x0
	v_fmac_f32_e32 v112, v114, v115
	s_and_not1_b32 exec_lo, exec_lo, s0
	s_cbranch_execnz .LBB53_413
; %bb.414:
	s_or_b32 exec_lo, exec_lo, s0
.LBB53_415:
	s_delay_alu instid0(SALU_CYCLE_1)
	s_or_b32 exec_lo, exec_lo, s9
	v_mov_b32_e32 v113, 0
	ds_load_b32 v113, v113 offset:44
	s_wait_dscnt 0x0
	v_mul_f32_e32 v112, v112, v113
	scratch_store_b32 off, v112, off offset:44
.LBB53_416:
	s_wait_xcnt 0x0
	s_or_b32 exec_lo, exec_lo, s8
	scratch_load_b32 v112, off, off offset:40
	v_cmp_lt_u32_e64 s0, 10, v0
	s_wait_loadcnt 0x0
	ds_store_b32 v1, v112
	s_wait_storecnt_dscnt 0x0
	s_barrier_signal -1
	s_barrier_wait -1
	s_wait_xcnt 0x0
	s_and_saveexec_b32 s5, s0
	s_cbranch_execz .LBB53_426
; %bb.417:
	s_and_not1_b32 vcc_lo, exec_lo, s3
	s_cbranch_vccnz .LBB53_419
; %bb.418:
	scratch_load_b32 v112, v7, off
	ds_load_b32 v113, v1
	s_wait_loadcnt_dscnt 0x0
	v_mul_f32_e32 v112, v112, v113
	s_cbranch_execz .LBB53_420
	s_branch .LBB53_421
.LBB53_419:
                                        ; implicit-def: $vgpr112
.LBB53_420:
	ds_load_b32 v112, v1
.LBB53_421:
	s_and_saveexec_b32 s8, s1
	s_cbranch_execz .LBB53_425
; %bb.422:
	v_add_nc_u32_e32 v113, -11, v0
	s_mov_b32 s1, 44
	s_movk_i32 s10, 0x10c
	s_mov_b32 s9, 0
.LBB53_423:                             ; =>This Inner Loop Header: Depth=1
	scratch_load_b32 v114, off, s1
	v_dual_mov_b32 v115, s10 :: v_dual_add_nc_u32 v113, -1, v113
	s_add_co_i32 s10, s10, 4
	s_wait_xcnt 0x0
	s_add_co_i32 s1, s1, 4
	ds_load_b32 v115, v115
	v_cmp_eq_u32_e32 vcc_lo, 0, v113
	s_or_b32 s9, vcc_lo, s9
	s_wait_loadcnt_dscnt 0x0
	v_fmac_f32_e32 v112, v114, v115
	s_and_not1_b32 exec_lo, exec_lo, s9
	s_cbranch_execnz .LBB53_423
; %bb.424:
	s_or_b32 exec_lo, exec_lo, s9
.LBB53_425:
	s_delay_alu instid0(SALU_CYCLE_1)
	s_or_b32 exec_lo, exec_lo, s8
	v_mov_b32_e32 v113, 0
	ds_load_b32 v113, v113 offset:40
	s_wait_dscnt 0x0
	v_mul_f32_e32 v112, v112, v113
	scratch_store_b32 off, v112, off offset:40
.LBB53_426:
	s_wait_xcnt 0x0
	s_or_b32 exec_lo, exec_lo, s5
	scratch_load_b32 v112, off, off offset:36
	v_cmp_lt_u32_e64 s1, 9, v0
	s_wait_loadcnt 0x0
	ds_store_b32 v1, v112
	s_wait_storecnt_dscnt 0x0
	s_barrier_signal -1
	s_barrier_wait -1
	s_wait_xcnt 0x0
	s_and_saveexec_b32 s5, s1
	s_cbranch_execz .LBB53_436
; %bb.427:
	s_and_not1_b32 vcc_lo, exec_lo, s3
	s_cbranch_vccnz .LBB53_429
; %bb.428:
	scratch_load_b32 v112, v7, off
	ds_load_b32 v113, v1
	s_wait_loadcnt_dscnt 0x0
	v_mul_f32_e32 v112, v112, v113
	s_cbranch_execz .LBB53_430
	s_branch .LBB53_431
.LBB53_429:
                                        ; implicit-def: $vgpr112
.LBB53_430:
	ds_load_b32 v112, v1
.LBB53_431:
	s_and_saveexec_b32 s8, s0
	s_cbranch_execz .LBB53_435
; %bb.432:
	v_add_nc_u32_e32 v113, -10, v0
	s_mov_b32 s0, 40
	s_movk_i32 s10, 0x108
	s_mov_b32 s9, 0
.LBB53_433:                             ; =>This Inner Loop Header: Depth=1
	scratch_load_b32 v114, off, s0
	v_dual_mov_b32 v115, s10 :: v_dual_add_nc_u32 v113, -1, v113
	s_add_co_i32 s10, s10, 4
	s_wait_xcnt 0x0
	s_add_co_i32 s0, s0, 4
	ds_load_b32 v115, v115
	v_cmp_eq_u32_e32 vcc_lo, 0, v113
	s_or_b32 s9, vcc_lo, s9
	s_wait_loadcnt_dscnt 0x0
	v_fmac_f32_e32 v112, v114, v115
	s_and_not1_b32 exec_lo, exec_lo, s9
	s_cbranch_execnz .LBB53_433
; %bb.434:
	s_or_b32 exec_lo, exec_lo, s9
.LBB53_435:
	s_delay_alu instid0(SALU_CYCLE_1)
	s_or_b32 exec_lo, exec_lo, s8
	v_mov_b32_e32 v113, 0
	ds_load_b32 v113, v113 offset:36
	s_wait_dscnt 0x0
	v_mul_f32_e32 v112, v112, v113
	scratch_store_b32 off, v112, off offset:36
.LBB53_436:
	;; [unrolled: 58-line block ×3, first 2 shown]
	s_wait_xcnt 0x0
	s_or_b32 exec_lo, exec_lo, s5
	scratch_load_b32 v112, off, off offset:28
	v_cmp_lt_u32_e64 s1, 7, v0
	s_wait_loadcnt 0x0
	ds_store_b32 v1, v112
	s_wait_storecnt_dscnt 0x0
	s_barrier_signal -1
	s_barrier_wait -1
	s_wait_xcnt 0x0
	s_and_saveexec_b32 s5, s1
	s_cbranch_execz .LBB53_456
; %bb.447:
	s_and_not1_b32 vcc_lo, exec_lo, s3
	s_cbranch_vccnz .LBB53_449
; %bb.448:
	scratch_load_b32 v112, v7, off
	ds_load_b32 v113, v1
	s_wait_loadcnt_dscnt 0x0
	v_mul_f32_e32 v112, v112, v113
	s_cbranch_execz .LBB53_450
	s_branch .LBB53_451
.LBB53_449:
                                        ; implicit-def: $vgpr112
.LBB53_450:
	ds_load_b32 v112, v1
.LBB53_451:
	s_and_saveexec_b32 s8, s0
	s_cbranch_execz .LBB53_455
; %bb.452:
	v_add_nc_u32_e32 v113, -8, v0
	s_movk_i32 s9, 0x100
	s_mov_b32 s0, 0
.LBB53_453:                             ; =>This Inner Loop Header: Depth=1
	scratch_load_b32 v114, off, s2
	v_dual_mov_b32 v115, s9 :: v_dual_add_nc_u32 v113, -1, v113
	s_add_co_i32 s9, s9, 4
	s_wait_xcnt 0x0
	s_add_co_i32 s2, s2, 4
	ds_load_b32 v115, v115
	v_cmp_eq_u32_e32 vcc_lo, 0, v113
	s_or_b32 s0, vcc_lo, s0
	s_wait_loadcnt_dscnt 0x0
	v_fmac_f32_e32 v112, v114, v115
	s_and_not1_b32 exec_lo, exec_lo, s0
	s_cbranch_execnz .LBB53_453
; %bb.454:
	s_or_b32 exec_lo, exec_lo, s0
.LBB53_455:
	s_delay_alu instid0(SALU_CYCLE_1)
	s_or_b32 exec_lo, exec_lo, s8
	v_mov_b32_e32 v113, 0
	ds_load_b32 v113, v113 offset:28
	s_wait_dscnt 0x0
	v_mul_f32_e32 v112, v112, v113
	scratch_store_b32 off, v112, off offset:28
.LBB53_456:
	s_wait_xcnt 0x0
	s_or_b32 exec_lo, exec_lo, s5
	scratch_load_b32 v112, off, off offset:24
	v_cmp_lt_u32_e64 s0, 6, v0
	s_wait_loadcnt 0x0
	ds_store_b32 v1, v112
	s_wait_storecnt_dscnt 0x0
	s_barrier_signal -1
	s_barrier_wait -1
	s_wait_xcnt 0x0
	s_and_saveexec_b32 s2, s0
	s_cbranch_execz .LBB53_466
; %bb.457:
	s_and_not1_b32 vcc_lo, exec_lo, s3
	s_cbranch_vccnz .LBB53_459
; %bb.458:
	scratch_load_b32 v112, v7, off
	ds_load_b32 v113, v1
	s_wait_loadcnt_dscnt 0x0
	v_mul_f32_e32 v112, v112, v113
	s_cbranch_execz .LBB53_460
	s_branch .LBB53_461
.LBB53_459:
                                        ; implicit-def: $vgpr112
.LBB53_460:
	ds_load_b32 v112, v1
.LBB53_461:
	s_and_saveexec_b32 s5, s1
	s_cbranch_execz .LBB53_465
; %bb.462:
	v_add_nc_u32_e32 v113, -7, v0
	s_mov_b32 s1, 28
	s_movk_i32 s9, 0xfc
	s_mov_b32 s8, 0
.LBB53_463:                             ; =>This Inner Loop Header: Depth=1
	scratch_load_b32 v114, off, s1
	v_dual_mov_b32 v115, s9 :: v_dual_add_nc_u32 v113, -1, v113
	s_add_co_i32 s9, s9, 4
	s_wait_xcnt 0x0
	s_add_co_i32 s1, s1, 4
	ds_load_b32 v115, v115
	v_cmp_eq_u32_e32 vcc_lo, 0, v113
	s_or_b32 s8, vcc_lo, s8
	s_wait_loadcnt_dscnt 0x0
	v_fmac_f32_e32 v112, v114, v115
	s_and_not1_b32 exec_lo, exec_lo, s8
	s_cbranch_execnz .LBB53_463
; %bb.464:
	s_or_b32 exec_lo, exec_lo, s8
.LBB53_465:
	s_delay_alu instid0(SALU_CYCLE_1)
	s_or_b32 exec_lo, exec_lo, s5
	v_mov_b32_e32 v113, 0
	ds_load_b32 v113, v113 offset:24
	s_wait_dscnt 0x0
	v_mul_f32_e32 v112, v112, v113
	scratch_store_b32 off, v112, off offset:24
.LBB53_466:
	s_wait_xcnt 0x0
	s_or_b32 exec_lo, exec_lo, s2
	scratch_load_b32 v112, off, off offset:20
	v_cmp_lt_u32_e64 s1, 5, v0
	s_wait_loadcnt 0x0
	ds_store_b32 v1, v112
	s_wait_storecnt_dscnt 0x0
	s_barrier_signal -1
	s_barrier_wait -1
	s_wait_xcnt 0x0
	s_and_saveexec_b32 s2, s1
	s_cbranch_execz .LBB53_476
; %bb.467:
	s_and_not1_b32 vcc_lo, exec_lo, s3
	s_cbranch_vccnz .LBB53_469
; %bb.468:
	scratch_load_b32 v112, v7, off
	ds_load_b32 v113, v1
	s_wait_loadcnt_dscnt 0x0
	v_mul_f32_e32 v112, v112, v113
	s_cbranch_execz .LBB53_470
	s_branch .LBB53_471
.LBB53_469:
                                        ; implicit-def: $vgpr112
.LBB53_470:
	ds_load_b32 v112, v1
.LBB53_471:
	s_and_saveexec_b32 s5, s0
	s_cbranch_execz .LBB53_475
; %bb.472:
	v_add_nc_u32_e32 v113, -6, v0
	s_mov_b32 s0, 24
	s_movk_i32 s9, 0xf8
	s_mov_b32 s8, 0
.LBB53_473:                             ; =>This Inner Loop Header: Depth=1
	scratch_load_b32 v114, off, s0
	v_dual_mov_b32 v115, s9 :: v_dual_add_nc_u32 v113, -1, v113
	s_add_co_i32 s9, s9, 4
	s_wait_xcnt 0x0
	s_add_co_i32 s0, s0, 4
	ds_load_b32 v115, v115
	v_cmp_eq_u32_e32 vcc_lo, 0, v113
	s_or_b32 s8, vcc_lo, s8
	s_wait_loadcnt_dscnt 0x0
	v_fmac_f32_e32 v112, v114, v115
	s_and_not1_b32 exec_lo, exec_lo, s8
	s_cbranch_execnz .LBB53_473
; %bb.474:
	s_or_b32 exec_lo, exec_lo, s8
.LBB53_475:
	s_delay_alu instid0(SALU_CYCLE_1)
	s_or_b32 exec_lo, exec_lo, s5
	v_mov_b32_e32 v113, 0
	ds_load_b32 v113, v113 offset:20
	s_wait_dscnt 0x0
	v_mul_f32_e32 v112, v112, v113
	scratch_store_b32 off, v112, off offset:20
.LBB53_476:
	;; [unrolled: 58-line block ×3, first 2 shown]
	s_wait_xcnt 0x0
	s_or_b32 exec_lo, exec_lo, s2
	scratch_load_b32 v112, off, off offset:12
	v_cmp_lt_u32_e64 s2, 3, v0
	s_wait_loadcnt 0x0
	ds_store_b32 v1, v112
	s_wait_storecnt_dscnt 0x0
	s_barrier_signal -1
	s_barrier_wait -1
	s_wait_xcnt 0x0
	s_and_saveexec_b32 s1, s2
	s_cbranch_execz .LBB53_496
; %bb.487:
	s_and_not1_b32 vcc_lo, exec_lo, s3
	s_cbranch_vccnz .LBB53_489
; %bb.488:
	scratch_load_b32 v112, v7, off
	ds_load_b32 v113, v1
	s_wait_loadcnt_dscnt 0x0
	v_mul_f32_e32 v112, v112, v113
	s_cbranch_execz .LBB53_490
	s_branch .LBB53_491
.LBB53_489:
                                        ; implicit-def: $vgpr112
.LBB53_490:
	ds_load_b32 v112, v1
.LBB53_491:
	s_and_saveexec_b32 s5, s0
	s_cbranch_execz .LBB53_495
; %bb.492:
	v_add_nc_u32_e32 v113, -4, v0
	s_movk_i32 s8, 0xf0
	s_mov_b32 s0, 0
.LBB53_493:                             ; =>This Inner Loop Header: Depth=1
	scratch_load_b32 v114, off, s4
	v_dual_mov_b32 v115, s8 :: v_dual_add_nc_u32 v113, -1, v113
	s_add_co_i32 s8, s8, 4
	s_wait_xcnt 0x0
	s_add_co_i32 s4, s4, 4
	ds_load_b32 v115, v115
	v_cmp_eq_u32_e32 vcc_lo, 0, v113
	s_or_b32 s0, vcc_lo, s0
	s_wait_loadcnt_dscnt 0x0
	v_fmac_f32_e32 v112, v114, v115
	s_and_not1_b32 exec_lo, exec_lo, s0
	s_cbranch_execnz .LBB53_493
; %bb.494:
	s_or_b32 exec_lo, exec_lo, s0
.LBB53_495:
	s_delay_alu instid0(SALU_CYCLE_1)
	s_or_b32 exec_lo, exec_lo, s5
	v_mov_b32_e32 v113, 0
	ds_load_b32 v113, v113 offset:12
	s_wait_dscnt 0x0
	v_mul_f32_e32 v112, v112, v113
	scratch_store_b32 off, v112, off offset:12
.LBB53_496:
	s_wait_xcnt 0x0
	s_or_b32 exec_lo, exec_lo, s1
	scratch_load_b32 v112, off, off offset:8
	v_cmp_lt_u32_e64 s1, 2, v0
	s_wait_loadcnt 0x0
	ds_store_b32 v1, v112
	s_wait_storecnt_dscnt 0x0
	s_barrier_signal -1
	s_barrier_wait -1
	s_wait_xcnt 0x0
	s_and_saveexec_b32 s0, s1
	s_cbranch_execz .LBB53_506
; %bb.497:
	s_and_not1_b32 vcc_lo, exec_lo, s3
	s_cbranch_vccnz .LBB53_499
; %bb.498:
	scratch_load_b32 v112, v7, off
	ds_load_b32 v113, v1
	s_wait_loadcnt_dscnt 0x0
	v_mul_f32_e32 v112, v112, v113
	s_cbranch_execz .LBB53_500
	s_branch .LBB53_501
.LBB53_499:
                                        ; implicit-def: $vgpr112
.LBB53_500:
	ds_load_b32 v112, v1
.LBB53_501:
	s_and_saveexec_b32 s4, s2
	s_cbranch_execz .LBB53_505
; %bb.502:
	v_add_nc_u32_e32 v113, -3, v0
	s_or_b32 s2, 0, 12
	s_movk_i32 s8, 0xec
	s_mov_b32 s5, 0
.LBB53_503:                             ; =>This Inner Loop Header: Depth=1
	scratch_load_b32 v114, off, s2
	v_dual_mov_b32 v115, s8 :: v_dual_add_nc_u32 v113, -1, v113
	s_add_co_i32 s8, s8, 4
	s_wait_xcnt 0x0
	s_add_co_i32 s2, s2, 4
	ds_load_b32 v115, v115
	v_cmp_eq_u32_e32 vcc_lo, 0, v113
	s_or_b32 s5, vcc_lo, s5
	s_wait_loadcnt_dscnt 0x0
	v_fmac_f32_e32 v112, v114, v115
	s_and_not1_b32 exec_lo, exec_lo, s5
	s_cbranch_execnz .LBB53_503
; %bb.504:
	s_or_b32 exec_lo, exec_lo, s5
.LBB53_505:
	s_delay_alu instid0(SALU_CYCLE_1)
	s_or_b32 exec_lo, exec_lo, s4
	v_mov_b32_e32 v113, 0
	ds_load_b32 v113, v113 offset:8
	s_wait_dscnt 0x0
	v_mul_f32_e32 v112, v112, v113
	scratch_store_b32 off, v112, off offset:8
.LBB53_506:
	s_wait_xcnt 0x0
	s_or_b32 exec_lo, exec_lo, s0
	scratch_load_b32 v112, off, off offset:4
	v_cmp_lt_u32_e64 s0, 1, v0
	s_wait_loadcnt 0x0
	ds_store_b32 v1, v112
	s_wait_storecnt_dscnt 0x0
	s_barrier_signal -1
	s_barrier_wait -1
	s_wait_xcnt 0x0
	s_and_saveexec_b32 s2, s0
	s_cbranch_execz .LBB53_516
; %bb.507:
	s_and_not1_b32 vcc_lo, exec_lo, s3
	s_cbranch_vccnz .LBB53_509
; %bb.508:
	scratch_load_b32 v112, v7, off
	ds_load_b32 v113, v1
	s_wait_loadcnt_dscnt 0x0
	v_mul_f32_e32 v112, v112, v113
	s_cbranch_execz .LBB53_510
	s_branch .LBB53_511
.LBB53_509:
                                        ; implicit-def: $vgpr112
.LBB53_510:
	ds_load_b32 v112, v1
.LBB53_511:
	s_and_saveexec_b32 s4, s1
	s_cbranch_execz .LBB53_515
; %bb.512:
	v_add_nc_u32_e32 v113, -2, v0
	s_or_b32 s1, 0, 8
	s_movk_i32 s8, 0xe8
	s_mov_b32 s5, 0
.LBB53_513:                             ; =>This Inner Loop Header: Depth=1
	scratch_load_b32 v114, off, s1
	v_dual_mov_b32 v115, s8 :: v_dual_add_nc_u32 v113, -1, v113
	s_add_co_i32 s8, s8, 4
	s_wait_xcnt 0x0
	s_add_co_i32 s1, s1, 4
	ds_load_b32 v115, v115
	v_cmp_eq_u32_e32 vcc_lo, 0, v113
	s_or_b32 s5, vcc_lo, s5
	s_wait_loadcnt_dscnt 0x0
	v_fmac_f32_e32 v112, v114, v115
	s_and_not1_b32 exec_lo, exec_lo, s5
	s_cbranch_execnz .LBB53_513
; %bb.514:
	s_or_b32 exec_lo, exec_lo, s5
.LBB53_515:
	s_delay_alu instid0(SALU_CYCLE_1)
	s_or_b32 exec_lo, exec_lo, s4
	v_mov_b32_e32 v113, 0
	ds_load_b32 v113, v113 offset:4
	s_wait_dscnt 0x0
	v_mul_f32_e32 v112, v112, v113
	scratch_store_b32 off, v112, off offset:4
.LBB53_516:
	s_wait_xcnt 0x0
	s_or_b32 exec_lo, exec_lo, s2
	scratch_load_b32 v112, off, off
	s_mov_b32 s1, 0
	s_mov_b32 s2, exec_lo
	s_wait_loadcnt 0x0
	ds_store_b32 v1, v112
	s_wait_storecnt_dscnt 0x0
	s_barrier_signal -1
	s_barrier_wait -1
	s_wait_xcnt 0x0
	v_cmpx_ne_u32_e32 0, v0
	s_cbranch_execz .LBB53_526
; %bb.517:
	s_and_not1_b32 vcc_lo, exec_lo, s3
	s_cbranch_vccnz .LBB53_519
; %bb.518:
	scratch_load_b32 v112, v7, off
	ds_load_b32 v113, v1
	s_wait_loadcnt_dscnt 0x0
	v_mul_f32_e32 v112, v112, v113
	s_cbranch_execz .LBB53_520
	s_branch .LBB53_521
.LBB53_519:
                                        ; implicit-def: $vgpr112
.LBB53_520:
	ds_load_b32 v112, v1
.LBB53_521:
	s_and_saveexec_b32 s4, s0
	s_cbranch_execz .LBB53_525
; %bb.522:
	v_add_nc_u32_e32 v113, -1, v0
	s_or_b32 s0, 0, 4
	s_movk_i32 s8, 0xe4
	s_mov_b32 s5, 0
.LBB53_523:                             ; =>This Inner Loop Header: Depth=1
	scratch_load_b32 v114, off, s0
	v_dual_mov_b32 v115, s8 :: v_dual_add_nc_u32 v113, -1, v113
	s_add_co_i32 s8, s8, 4
	s_wait_xcnt 0x0
	s_add_co_i32 s0, s0, 4
	ds_load_b32 v115, v115
	v_cmp_eq_u32_e32 vcc_lo, 0, v113
	s_or_b32 s5, vcc_lo, s5
	s_wait_loadcnt_dscnt 0x0
	v_fmac_f32_e32 v112, v114, v115
	s_and_not1_b32 exec_lo, exec_lo, s5
	s_cbranch_execnz .LBB53_523
; %bb.524:
	s_or_b32 exec_lo, exec_lo, s5
.LBB53_525:
	s_delay_alu instid0(SALU_CYCLE_1)
	s_or_b32 exec_lo, exec_lo, s4
	v_mov_b32_e32 v113, 0
	ds_load_b32 v113, v113
	s_wait_dscnt 0x0
	v_mul_f32_e32 v112, v112, v113
	scratch_store_b32 off, v112, off
.LBB53_526:
	s_wait_xcnt 0x0
	s_or_b32 exec_lo, exec_lo, s2
.LBB53_527:
	v_lshl_add_u64 v[130:131], v[8:9], 2, s[6:7]
	v_lshl_add_u64 v[132:133], v[10:11], 2, s[6:7]
	;; [unrolled: 1-line block ×52, first 2 shown]
	s_and_b32 vcc_lo, exec_lo, s1
	s_cbranch_vccz .LBB53_1049
; %bb.528:
	scratch_load_b32 v90, off, off offset:4
	v_cmp_eq_u32_e64 s0, 0, v0
	s_wait_loadcnt 0x0
	ds_store_b32 v1, v90
	s_wait_storecnt_dscnt 0x0
	s_barrier_signal -1
	s_barrier_wait -1
	s_wait_xcnt 0x0
	s_and_saveexec_b32 s1, s0
	s_cbranch_execz .LBB53_534
; %bb.529:
	s_and_b32 vcc_lo, exec_lo, s3
	s_cbranch_vccz .LBB53_531
; %bb.530:
	scratch_load_b32 v90, v7, off
	ds_load_b32 v91, v1
	s_wait_loadcnt_dscnt 0x0
	v_mul_f32_e32 v90, v90, v91
	s_cbranch_execz .LBB53_532
	s_branch .LBB53_533
.LBB53_531:
                                        ; implicit-def: $vgpr90
.LBB53_532:
	ds_load_b32 v90, v1
.LBB53_533:
	v_mov_b32_e32 v91, 0
	ds_load_b32 v91, v91 offset:4
	s_wait_dscnt 0x0
	v_mul_f32_e32 v90, v90, v91
	scratch_store_b32 off, v90, off offset:4
.LBB53_534:
	s_wait_xcnt 0x0
	s_or_b32 exec_lo, exec_lo, s1
	scratch_load_b32 v91, off, off offset:8
	v_cndmask_b32_e64 v90, 0, 1, s3
	s_mov_b32 s1, exec_lo
	s_wait_loadcnt 0x0
	ds_store_b32 v1, v91
	s_wait_storecnt_dscnt 0x0
	s_barrier_signal -1
	s_barrier_wait -1
	s_wait_xcnt 0x0
	v_cmpx_gt_u32_e32 2, v0
	s_cbranch_execz .LBB53_540
; %bb.535:
	s_and_not1_b32 vcc_lo, exec_lo, s3
	s_cbranch_vccnz .LBB53_537
; %bb.536:
	scratch_load_b32 v91, v7, off
	ds_load_b32 v92, v1
	s_wait_loadcnt_dscnt 0x0
	v_mul_f32_e32 v91, v91, v92
	s_cbranch_execz .LBB53_538
	s_branch .LBB53_539
.LBB53_537:
                                        ; implicit-def: $vgpr91
.LBB53_538:
	ds_load_b32 v91, v1
.LBB53_539:
	scratch_load_b32 v94, off, off offset:4
	v_mov_b32_e32 v92, 0
	ds_load_2addr_b32 v[92:93], v92 offset0:2 offset1:57
	s_wait_loadcnt_dscnt 0x0
	v_fma_f32 v93, v94, v93, v91
	s_delay_alu instid0(VALU_DEP_1) | instskip(NEXT) | instid1(VALU_DEP_1)
	v_cndmask_b32_e64 v91, v91, v93, s0
	v_mul_f32_e32 v91, v91, v92
	scratch_store_b32 off, v91, off offset:8
.LBB53_540:
	s_wait_xcnt 0x0
	s_or_b32 exec_lo, exec_lo, s1
	scratch_load_b32 v91, off, off offset:12
	s_mov_b32 s1, exec_lo
	s_wait_loadcnt 0x0
	ds_store_b32 v1, v91
	s_wait_storecnt_dscnt 0x0
	s_barrier_signal -1
	s_barrier_wait -1
	s_wait_xcnt 0x0
	v_cmpx_gt_u32_e32 3, v0
	s_cbranch_execz .LBB53_548
; %bb.541:
	v_cmp_ne_u32_e32 vcc_lo, 1, v90
	s_cbranch_vccnz .LBB53_543
; %bb.542:
	scratch_load_b32 v91, v7, off
	ds_load_b32 v92, v1
	s_wait_loadcnt_dscnt 0x0
	v_mul_f32_e32 v91, v91, v92
	s_cbranch_execz .LBB53_544
	s_branch .LBB53_545
.LBB53_543:
                                        ; implicit-def: $vgpr91
.LBB53_544:
	ds_load_b32 v91, v1
.LBB53_545:
	s_mov_b32 s2, exec_lo
	v_cmpx_ne_u32_e32 2, v0
	s_cbranch_execz .LBB53_547
; %bb.546:
	scratch_load_b32 v92, v7, off offset:4
	scratch_load_b32 v93, off, off offset:8
	ds_load_b32 v94, v1 offset:4
	v_mov_b32_e32 v95, 0
	ds_load_b32 v95, v95 offset:232
	s_wait_loadcnt_dscnt 0x101
	v_fmac_f32_e32 v91, v92, v94
	s_wait_loadcnt_dscnt 0x0
	s_delay_alu instid0(VALU_DEP_1) | instskip(NEXT) | instid1(VALU_DEP_1)
	v_fma_f32 v92, v93, v95, v91
	v_cndmask_b32_e64 v91, v91, v92, s0
.LBB53_547:
	s_or_b32 exec_lo, exec_lo, s2
	v_mov_b32_e32 v92, 0
	ds_load_b32 v92, v92 offset:12
	s_wait_dscnt 0x0
	v_mul_f32_e32 v91, v91, v92
	scratch_store_b32 off, v91, off offset:12
.LBB53_548:
	s_wait_xcnt 0x0
	s_or_b32 exec_lo, exec_lo, s1
	scratch_load_b32 v91, off, off offset:16
	s_mov_b32 s0, exec_lo
	s_wait_loadcnt 0x0
	ds_store_b32 v1, v91
	s_wait_storecnt_dscnt 0x0
	s_barrier_signal -1
	s_barrier_wait -1
	s_wait_xcnt 0x0
	v_cmpx_gt_u32_e32 4, v0
	s_cbranch_execz .LBB53_558
; %bb.549:
	v_cmp_ne_u32_e32 vcc_lo, 1, v90
	s_cbranch_vccnz .LBB53_551
; %bb.550:
	scratch_load_b32 v91, v7, off
	ds_load_b32 v92, v1
	s_wait_loadcnt_dscnt 0x0
	v_mul_f32_e32 v91, v91, v92
	s_cbranch_execz .LBB53_552
	s_branch .LBB53_553
.LBB53_551:
                                        ; implicit-def: $vgpr91
.LBB53_552:
	ds_load_b32 v91, v1
.LBB53_553:
	s_mov_b32 s1, exec_lo
	v_cmpx_ne_u32_e32 3, v0
	s_cbranch_execz .LBB53_557
; %bb.554:
	v_add_nc_u32_e32 v92, 0xe4, v6
	v_add3_u32 v93, 0, v6, 4
	v_mov_b32_e32 v94, v0
	s_mov_b32 s2, 0
.LBB53_555:                             ; =>This Inner Loop Header: Depth=1
	scratch_load_b32 v95, v93, off
	ds_load_b32 v96, v92
	v_dual_add_nc_u32 v94, 1, v94 :: v_dual_add_nc_u32 v92, 4, v92
	s_wait_xcnt 0x0
	v_add_nc_u32_e32 v93, 4, v93
	s_delay_alu instid0(VALU_DEP_2)
	v_cmp_lt_u32_e32 vcc_lo, 2, v94
	s_or_b32 s2, vcc_lo, s2
	s_wait_loadcnt_dscnt 0x0
	v_fmac_f32_e32 v91, v95, v96
	s_and_not1_b32 exec_lo, exec_lo, s2
	s_cbranch_execnz .LBB53_555
; %bb.556:
	s_or_b32 exec_lo, exec_lo, s2
.LBB53_557:
	s_delay_alu instid0(SALU_CYCLE_1)
	s_or_b32 exec_lo, exec_lo, s1
	v_mov_b32_e32 v92, 0
	ds_load_b32 v92, v92 offset:16
	s_wait_dscnt 0x0
	v_mul_f32_e32 v91, v91, v92
	scratch_store_b32 off, v91, off offset:16
.LBB53_558:
	s_wait_xcnt 0x0
	s_or_b32 exec_lo, exec_lo, s0
	scratch_load_b32 v91, off, off offset:20
	s_mov_b32 s0, exec_lo
	s_wait_loadcnt 0x0
	ds_store_b32 v1, v91
	s_wait_storecnt_dscnt 0x0
	s_barrier_signal -1
	s_barrier_wait -1
	s_wait_xcnt 0x0
	v_cmpx_gt_u32_e32 5, v0
	s_cbranch_execz .LBB53_568
; %bb.559:
	v_cmp_ne_u32_e32 vcc_lo, 1, v90
	s_cbranch_vccnz .LBB53_561
; %bb.560:
	scratch_load_b32 v91, v7, off
	ds_load_b32 v92, v1
	s_wait_loadcnt_dscnt 0x0
	v_mul_f32_e32 v91, v91, v92
	s_cbranch_execz .LBB53_562
	s_branch .LBB53_563
.LBB53_561:
                                        ; implicit-def: $vgpr91
.LBB53_562:
	ds_load_b32 v91, v1
.LBB53_563:
	s_mov_b32 s1, exec_lo
	v_cmpx_ne_u32_e32 4, v0
	s_cbranch_execz .LBB53_567
; %bb.564:
	v_add_nc_u32_e32 v92, 0xe4, v6
	v_add3_u32 v93, 0, v6, 4
	v_mov_b32_e32 v94, v0
	s_mov_b32 s2, 0
.LBB53_565:                             ; =>This Inner Loop Header: Depth=1
	scratch_load_b32 v95, v93, off
	ds_load_b32 v96, v92
	v_dual_add_nc_u32 v94, 1, v94 :: v_dual_add_nc_u32 v92, 4, v92
	s_wait_xcnt 0x0
	v_add_nc_u32_e32 v93, 4, v93
	s_delay_alu instid0(VALU_DEP_2)
	v_cmp_lt_u32_e32 vcc_lo, 3, v94
	s_or_b32 s2, vcc_lo, s2
	s_wait_loadcnt_dscnt 0x0
	v_fmac_f32_e32 v91, v95, v96
	s_and_not1_b32 exec_lo, exec_lo, s2
	s_cbranch_execnz .LBB53_565
; %bb.566:
	s_or_b32 exec_lo, exec_lo, s2
.LBB53_567:
	s_delay_alu instid0(SALU_CYCLE_1)
	s_or_b32 exec_lo, exec_lo, s1
	v_mov_b32_e32 v92, 0
	ds_load_b32 v92, v92 offset:20
	s_wait_dscnt 0x0
	v_mul_f32_e32 v91, v91, v92
	scratch_store_b32 off, v91, off offset:20
.LBB53_568:
	;; [unrolled: 59-line block ×45, first 2 shown]
	s_wait_xcnt 0x0
	s_or_b32 exec_lo, exec_lo, s0
	scratch_load_b32 v91, off, off offset:196
	s_mov_b32 s0, exec_lo
	s_wait_loadcnt 0x0
	ds_store_b32 v1, v91
	s_wait_storecnt_dscnt 0x0
	s_barrier_signal -1
	s_barrier_wait -1
	s_wait_xcnt 0x0
	v_cmpx_gt_u32_e32 49, v0
	s_cbranch_execz .LBB53_1008
; %bb.999:
	v_cmp_ne_u32_e32 vcc_lo, 1, v90
	s_cbranch_vccnz .LBB53_1001
; %bb.1000:
	scratch_load_b32 v91, v7, off
	ds_load_b32 v92, v1
	s_wait_loadcnt_dscnt 0x0
	v_mul_f32_e32 v91, v91, v92
	s_cbranch_execz .LBB53_1002
	s_branch .LBB53_1003
.LBB53_1001:
                                        ; implicit-def: $vgpr91
.LBB53_1002:
	ds_load_b32 v91, v1
.LBB53_1003:
	s_mov_b32 s1, exec_lo
	v_cmpx_ne_u32_e32 48, v0
	s_cbranch_execz .LBB53_1007
; %bb.1004:
	v_add_nc_u32_e32 v92, 0xe4, v6
	v_add3_u32 v93, 0, v6, 4
	v_mov_b32_e32 v94, v0
	s_mov_b32 s2, 0
.LBB53_1005:                            ; =>This Inner Loop Header: Depth=1
	scratch_load_b32 v95, v93, off
	ds_load_b32 v96, v92
	v_dual_add_nc_u32 v94, 1, v94 :: v_dual_add_nc_u32 v92, 4, v92
	s_wait_xcnt 0x0
	v_add_nc_u32_e32 v93, 4, v93
	s_delay_alu instid0(VALU_DEP_2)
	v_cmp_lt_u32_e32 vcc_lo, 47, v94
	s_or_b32 s2, vcc_lo, s2
	s_wait_loadcnt_dscnt 0x0
	v_fmac_f32_e32 v91, v95, v96
	s_and_not1_b32 exec_lo, exec_lo, s2
	s_cbranch_execnz .LBB53_1005
; %bb.1006:
	s_or_b32 exec_lo, exec_lo, s2
.LBB53_1007:
	s_delay_alu instid0(SALU_CYCLE_1)
	s_or_b32 exec_lo, exec_lo, s1
	v_mov_b32_e32 v92, 0
	ds_load_b32 v92, v92 offset:196
	s_wait_dscnt 0x0
	v_mul_f32_e32 v91, v91, v92
	scratch_store_b32 off, v91, off offset:196
.LBB53_1008:
	s_wait_xcnt 0x0
	s_or_b32 exec_lo, exec_lo, s0
	scratch_load_b32 v91, off, off offset:200
	s_mov_b32 s0, exec_lo
	s_wait_loadcnt 0x0
	ds_store_b32 v1, v91
	s_wait_storecnt_dscnt 0x0
	s_barrier_signal -1
	s_barrier_wait -1
	s_wait_xcnt 0x0
	v_cmpx_gt_u32_e32 50, v0
	s_cbranch_execz .LBB53_1018
; %bb.1009:
	v_cmp_ne_u32_e32 vcc_lo, 1, v90
	s_cbranch_vccnz .LBB53_1011
; %bb.1010:
	scratch_load_b32 v91, v7, off
	ds_load_b32 v92, v1
	s_wait_loadcnt_dscnt 0x0
	v_mul_f32_e32 v91, v91, v92
	s_cbranch_execz .LBB53_1012
	s_branch .LBB53_1013
.LBB53_1011:
                                        ; implicit-def: $vgpr91
.LBB53_1012:
	ds_load_b32 v91, v1
.LBB53_1013:
	s_mov_b32 s1, exec_lo
	v_cmpx_ne_u32_e32 49, v0
	s_cbranch_execz .LBB53_1017
; %bb.1014:
	v_add_nc_u32_e32 v92, 0xe4, v6
	v_add3_u32 v93, 0, v6, 4
	v_mov_b32_e32 v94, v0
	s_mov_b32 s2, 0
.LBB53_1015:                            ; =>This Inner Loop Header: Depth=1
	scratch_load_b32 v95, v93, off
	ds_load_b32 v96, v92
	v_dual_add_nc_u32 v94, 1, v94 :: v_dual_add_nc_u32 v92, 4, v92
	s_wait_xcnt 0x0
	v_add_nc_u32_e32 v93, 4, v93
	s_delay_alu instid0(VALU_DEP_2)
	v_cmp_lt_u32_e32 vcc_lo, 48, v94
	s_or_b32 s2, vcc_lo, s2
	s_wait_loadcnt_dscnt 0x0
	v_fmac_f32_e32 v91, v95, v96
	s_and_not1_b32 exec_lo, exec_lo, s2
	s_cbranch_execnz .LBB53_1015
; %bb.1016:
	s_or_b32 exec_lo, exec_lo, s2
.LBB53_1017:
	s_delay_alu instid0(SALU_CYCLE_1)
	s_or_b32 exec_lo, exec_lo, s1
	v_mov_b32_e32 v92, 0
	ds_load_b32 v92, v92 offset:200
	s_wait_dscnt 0x0
	v_mul_f32_e32 v91, v91, v92
	scratch_store_b32 off, v91, off offset:200
.LBB53_1018:
	;; [unrolled: 59-line block ×3, first 2 shown]
	s_wait_xcnt 0x0
	s_or_b32 exec_lo, exec_lo, s0
	scratch_load_b32 v91, off, off offset:208
	v_cmp_gt_u32_e64 s0, 52, v0
	s_wait_loadcnt 0x0
	ds_store_b32 v1, v91
	s_wait_storecnt_dscnt 0x0
	s_barrier_signal -1
	s_barrier_wait -1
	s_wait_xcnt 0x0
	s_and_saveexec_b32 s1, s0
	s_cbranch_execz .LBB53_1038
; %bb.1029:
	v_cmp_ne_u32_e32 vcc_lo, 1, v90
	s_cbranch_vccnz .LBB53_1031
; %bb.1030:
	scratch_load_b32 v91, v7, off
	ds_load_b32 v92, v1
	s_wait_loadcnt_dscnt 0x0
	v_mul_f32_e32 v91, v91, v92
	s_cbranch_execz .LBB53_1032
	s_branch .LBB53_1033
.LBB53_1031:
                                        ; implicit-def: $vgpr91
.LBB53_1032:
	ds_load_b32 v91, v1
.LBB53_1033:
	s_mov_b32 s2, exec_lo
	v_cmpx_ne_u32_e32 51, v0
	s_cbranch_execz .LBB53_1037
; %bb.1034:
	v_add_nc_u32_e32 v92, 0xe4, v6
	v_add3_u32 v93, 0, v6, 4
	v_mov_b32_e32 v94, v0
	s_mov_b32 s3, 0
.LBB53_1035:                            ; =>This Inner Loop Header: Depth=1
	scratch_load_b32 v95, v93, off
	ds_load_b32 v96, v92
	v_dual_add_nc_u32 v94, 1, v94 :: v_dual_add_nc_u32 v92, 4, v92
	s_wait_xcnt 0x0
	v_add_nc_u32_e32 v93, 4, v93
	s_delay_alu instid0(VALU_DEP_2)
	v_cmp_lt_u32_e32 vcc_lo, 50, v94
	s_or_b32 s3, vcc_lo, s3
	s_wait_loadcnt_dscnt 0x0
	v_fmac_f32_e32 v91, v95, v96
	s_and_not1_b32 exec_lo, exec_lo, s3
	s_cbranch_execnz .LBB53_1035
; %bb.1036:
	s_or_b32 exec_lo, exec_lo, s3
.LBB53_1037:
	s_delay_alu instid0(SALU_CYCLE_1)
	s_or_b32 exec_lo, exec_lo, s2
	v_mov_b32_e32 v92, 0
	ds_load_b32 v92, v92 offset:208
	s_wait_dscnt 0x0
	v_mul_f32_e32 v91, v91, v92
	scratch_store_b32 off, v91, off offset:208
.LBB53_1038:
	s_wait_xcnt 0x0
	s_or_b32 exec_lo, exec_lo, s1
	scratch_load_b32 v91, off, off offset:212
	s_mov_b32 s1, exec_lo
	s_wait_loadcnt 0x0
	ds_store_b32 v1, v91
	s_wait_storecnt_dscnt 0x0
	s_barrier_signal -1
	s_barrier_wait -1
	s_wait_xcnt 0x0
	v_cmpx_ne_u32_e32 53, v0
	s_cbranch_execz .LBB53_1048
; %bb.1039:
	v_cmp_ne_u32_e32 vcc_lo, 1, v90
	s_cbranch_vccnz .LBB53_1041
; %bb.1040:
	scratch_load_b32 v7, v7, off
	ds_load_b32 v90, v1
	s_wait_loadcnt_dscnt 0x0
	v_mul_f32_e32 v7, v7, v90
	s_cbranch_execz .LBB53_1042
	s_branch .LBB53_1043
.LBB53_1041:
                                        ; implicit-def: $vgpr7
.LBB53_1042:
	ds_load_b32 v7, v1
.LBB53_1043:
	s_and_saveexec_b32 s2, s0
	s_cbranch_execz .LBB53_1047
; %bb.1044:
	v_add_nc_u32_e32 v1, 0xe4, v6
	v_add3_u32 v6, 0, v6, 4
	s_mov_b32 s0, 0
.LBB53_1045:                            ; =>This Inner Loop Header: Depth=1
	scratch_load_b32 v90, v6, off
	ds_load_b32 v91, v1
	v_dual_add_nc_u32 v0, 1, v0 :: v_dual_add_nc_u32 v1, 4, v1
	s_wait_xcnt 0x0
	v_add_nc_u32_e32 v6, 4, v6
	s_delay_alu instid0(VALU_DEP_2)
	v_cmp_lt_u32_e32 vcc_lo, 51, v0
	s_or_b32 s0, vcc_lo, s0
	s_wait_loadcnt_dscnt 0x0
	v_fmac_f32_e32 v7, v90, v91
	s_and_not1_b32 exec_lo, exec_lo, s0
	s_cbranch_execnz .LBB53_1045
; %bb.1046:
	s_or_b32 exec_lo, exec_lo, s0
.LBB53_1047:
	s_delay_alu instid0(SALU_CYCLE_1)
	s_or_b32 exec_lo, exec_lo, s2
	v_mov_b32_e32 v0, 0
	ds_load_b32 v0, v0 offset:212
	s_wait_dscnt 0x0
	v_mul_f32_e32 v0, v7, v0
	scratch_store_b32 off, v0, off offset:212
.LBB53_1048:
	s_wait_xcnt 0x0
	s_or_b32 exec_lo, exec_lo, s1
.LBB53_1049:
	s_clause 0x3
	scratch_load_b128 v[90:93], off, off
	scratch_load_b128 v[94:97], off, off offset:16
	scratch_load_b128 v[98:101], off, off offset:32
	;; [unrolled: 1-line block ×3, first 2 shown]
	s_wait_loadcnt 0x3
	s_clause 0x1
	global_store_b32 v[2:3], v90, off
	global_store_b32 v[4:5], v91, off
	scratch_load_b128 v[0:3], off, off offset:64
	s_clause 0x1
	global_store_b32 v[130:131], v92, off
	global_store_b32 v[132:133], v93, off
	s_clause 0x1
	scratch_load_b128 v[4:7], off, off offset:80
	scratch_load_b128 v[90:93], off, off offset:96
	s_wait_loadcnt 0x5
	s_clause 0x1
	global_store_b32 v[126:127], v94, off
	global_store_b32 v[128:129], v95, off
	scratch_load_b128 v[106:109], off, off offset:112
	s_clause 0x1
	global_store_b32 v[122:123], v96, off
	global_store_b32 v[124:125], v97, off
	s_clause 0x1
	scratch_load_b128 v[94:97], off, off offset:128
	scratch_load_b128 v[122:125], off, off offset:144
	;; [unrolled: 11-line block ×3, first 2 shown]
	scratch_load_b64 v[110:111], off, off offset:208
	s_wait_loadcnt 0xa
	s_clause 0x3
	global_store_b32 v[112:113], v102, off
	global_store_b32 v[8:9], v103, off
	global_store_b32 v[10:11], v104, off
	global_store_b32 v[12:13], v105, off
	s_wait_loadcnt 0x9
	s_clause 0x3
	global_store_b32 v[14:15], v0, off
	global_store_b32 v[16:17], v1, off
	global_store_b32 v[18:19], v2, off
	global_store_b32 v[20:21], v3, off
	;; [unrolled: 6-line block ×10, first 2 shown]
	s_wait_loadcnt 0x0
	s_clause 0x1
	global_store_b32 v[86:87], v110, off
	global_store_b32 v[88:89], v111, off
.LBB53_1050:
	s_sendmsg sendmsg(MSG_DEALLOC_VGPRS)
	s_endpgm
	.section	.rodata,"a",@progbits
	.p2align	6, 0x0
	.amdhsa_kernel _ZN9rocsolver6v33100L18trti2_kernel_smallILi54EfPfEEv13rocblas_fill_17rocblas_diagonal_T1_iil
		.amdhsa_group_segment_fixed_size 440
		.amdhsa_private_segment_fixed_size 224
		.amdhsa_kernarg_size 32
		.amdhsa_user_sgpr_count 2
		.amdhsa_user_sgpr_dispatch_ptr 0
		.amdhsa_user_sgpr_queue_ptr 0
		.amdhsa_user_sgpr_kernarg_segment_ptr 1
		.amdhsa_user_sgpr_dispatch_id 0
		.amdhsa_user_sgpr_kernarg_preload_length 0
		.amdhsa_user_sgpr_kernarg_preload_offset 0
		.amdhsa_user_sgpr_private_segment_size 0
		.amdhsa_wavefront_size32 1
		.amdhsa_uses_dynamic_stack 0
		.amdhsa_enable_private_segment 1
		.amdhsa_system_sgpr_workgroup_id_x 1
		.amdhsa_system_sgpr_workgroup_id_y 0
		.amdhsa_system_sgpr_workgroup_id_z 0
		.amdhsa_system_sgpr_workgroup_info 0
		.amdhsa_system_vgpr_workitem_id 0
		.amdhsa_next_free_vgpr 134
		.amdhsa_next_free_sgpr 21
		.amdhsa_named_barrier_count 0
		.amdhsa_reserve_vcc 1
		.amdhsa_float_round_mode_32 0
		.amdhsa_float_round_mode_16_64 0
		.amdhsa_float_denorm_mode_32 3
		.amdhsa_float_denorm_mode_16_64 3
		.amdhsa_fp16_overflow 0
		.amdhsa_memory_ordered 1
		.amdhsa_forward_progress 1
		.amdhsa_inst_pref_size 235
		.amdhsa_round_robin_scheduling 0
		.amdhsa_exception_fp_ieee_invalid_op 0
		.amdhsa_exception_fp_denorm_src 0
		.amdhsa_exception_fp_ieee_div_zero 0
		.amdhsa_exception_fp_ieee_overflow 0
		.amdhsa_exception_fp_ieee_underflow 0
		.amdhsa_exception_fp_ieee_inexact 0
		.amdhsa_exception_int_div_zero 0
	.end_amdhsa_kernel
	.section	.text._ZN9rocsolver6v33100L18trti2_kernel_smallILi54EfPfEEv13rocblas_fill_17rocblas_diagonal_T1_iil,"axG",@progbits,_ZN9rocsolver6v33100L18trti2_kernel_smallILi54EfPfEEv13rocblas_fill_17rocblas_diagonal_T1_iil,comdat
.Lfunc_end53:
	.size	_ZN9rocsolver6v33100L18trti2_kernel_smallILi54EfPfEEv13rocblas_fill_17rocblas_diagonal_T1_iil, .Lfunc_end53-_ZN9rocsolver6v33100L18trti2_kernel_smallILi54EfPfEEv13rocblas_fill_17rocblas_diagonal_T1_iil
                                        ; -- End function
	.set _ZN9rocsolver6v33100L18trti2_kernel_smallILi54EfPfEEv13rocblas_fill_17rocblas_diagonal_T1_iil.num_vgpr, 134
	.set _ZN9rocsolver6v33100L18trti2_kernel_smallILi54EfPfEEv13rocblas_fill_17rocblas_diagonal_T1_iil.num_agpr, 0
	.set _ZN9rocsolver6v33100L18trti2_kernel_smallILi54EfPfEEv13rocblas_fill_17rocblas_diagonal_T1_iil.numbered_sgpr, 21
	.set _ZN9rocsolver6v33100L18trti2_kernel_smallILi54EfPfEEv13rocblas_fill_17rocblas_diagonal_T1_iil.num_named_barrier, 0
	.set _ZN9rocsolver6v33100L18trti2_kernel_smallILi54EfPfEEv13rocblas_fill_17rocblas_diagonal_T1_iil.private_seg_size, 224
	.set _ZN9rocsolver6v33100L18trti2_kernel_smallILi54EfPfEEv13rocblas_fill_17rocblas_diagonal_T1_iil.uses_vcc, 1
	.set _ZN9rocsolver6v33100L18trti2_kernel_smallILi54EfPfEEv13rocblas_fill_17rocblas_diagonal_T1_iil.uses_flat_scratch, 1
	.set _ZN9rocsolver6v33100L18trti2_kernel_smallILi54EfPfEEv13rocblas_fill_17rocblas_diagonal_T1_iil.has_dyn_sized_stack, 0
	.set _ZN9rocsolver6v33100L18trti2_kernel_smallILi54EfPfEEv13rocblas_fill_17rocblas_diagonal_T1_iil.has_recursion, 0
	.set _ZN9rocsolver6v33100L18trti2_kernel_smallILi54EfPfEEv13rocblas_fill_17rocblas_diagonal_T1_iil.has_indirect_call, 0
	.section	.AMDGPU.csdata,"",@progbits
; Kernel info:
; codeLenInByte = 30040
; TotalNumSgprs: 23
; NumVgprs: 134
; ScratchSize: 224
; MemoryBound: 0
; FloatMode: 240
; IeeeMode: 1
; LDSByteSize: 440 bytes/workgroup (compile time only)
; SGPRBlocks: 0
; VGPRBlocks: 8
; NumSGPRsForWavesPerEU: 23
; NumVGPRsForWavesPerEU: 134
; NamedBarCnt: 0
; Occupancy: 7
; WaveLimiterHint : 0
; COMPUTE_PGM_RSRC2:SCRATCH_EN: 1
; COMPUTE_PGM_RSRC2:USER_SGPR: 2
; COMPUTE_PGM_RSRC2:TRAP_HANDLER: 0
; COMPUTE_PGM_RSRC2:TGID_X_EN: 1
; COMPUTE_PGM_RSRC2:TGID_Y_EN: 0
; COMPUTE_PGM_RSRC2:TGID_Z_EN: 0
; COMPUTE_PGM_RSRC2:TIDIG_COMP_CNT: 0
	.section	.text._ZN9rocsolver6v33100L18trti2_kernel_smallILi55EfPfEEv13rocblas_fill_17rocblas_diagonal_T1_iil,"axG",@progbits,_ZN9rocsolver6v33100L18trti2_kernel_smallILi55EfPfEEv13rocblas_fill_17rocblas_diagonal_T1_iil,comdat
	.globl	_ZN9rocsolver6v33100L18trti2_kernel_smallILi55EfPfEEv13rocblas_fill_17rocblas_diagonal_T1_iil ; -- Begin function _ZN9rocsolver6v33100L18trti2_kernel_smallILi55EfPfEEv13rocblas_fill_17rocblas_diagonal_T1_iil
	.p2align	8
	.type	_ZN9rocsolver6v33100L18trti2_kernel_smallILi55EfPfEEv13rocblas_fill_17rocblas_diagonal_T1_iil,@function
_ZN9rocsolver6v33100L18trti2_kernel_smallILi55EfPfEEv13rocblas_fill_17rocblas_diagonal_T1_iil: ; @_ZN9rocsolver6v33100L18trti2_kernel_smallILi55EfPfEEv13rocblas_fill_17rocblas_diagonal_T1_iil
; %bb.0:
	s_mov_b32 s2, exec_lo
	v_cmpx_gt_u32_e32 55, v0
	s_cbranch_execz .LBB54_1070
; %bb.1:
	s_load_b256 s[4:11], s[0:1], 0x0
	s_wait_xcnt 0x0
	s_bfe_u32 s0, ttmp6, 0x4000c
	s_and_b32 s1, ttmp6, 15
	s_add_co_i32 s0, s0, 1
	s_getreg_b32 s2, hwreg(HW_REG_IB_STS2, 6, 4)
	s_mul_i32 s0, ttmp9, s0
	v_lshlrev_b32_e32 v6, 2, v0
	s_add_co_i32 s0, s1, s0
	v_mov_b32_e32 v7, 0
	s_wait_kmcnt 0x0
	v_add3_u32 v8, s9, s9, v0
	s_ashr_i32 s1, s8, 31
	s_cmp_eq_u32 s2, 0
	s_cselect_b32 s2, ttmp9, s0
	s_delay_alu instid0(VALU_DEP_1)
	v_add_nc_u32_e32 v10, s9, v8
	s_ashr_i32 s3, s2, 31
	s_mov_b32 s0, s8
	s_mul_u64 s[2:3], s[10:11], s[2:3]
	s_lshl_b64 s[0:1], s[0:1], 2
	v_add_nc_u32_e32 v12, s9, v10
	s_lshl_b64 s[2:3], s[2:3], 2
	s_delay_alu instid0(SALU_CYCLE_1) | instskip(NEXT) | instid1(VALU_DEP_1)
	s_add_nc_u64 s[2:3], s[6:7], s[2:3]
	v_add_nc_u32_e32 v14, s9, v12
	s_add_nc_u64 s[6:7], s[2:3], s[0:1]
	s_mov_b32 s0, s9
	s_ashr_i32 s1, s9, 31
	s_delay_alu instid0(VALU_DEP_1) | instskip(SKIP_4) | instid1(VALU_DEP_3)
	v_dual_ashrrev_i32 v13, 31, v12 :: v_dual_ashrrev_i32 v15, 31, v14
	v_add_nc_u32_e32 v16, s9, v14
	v_add_nc_u64_e32 v[2:3], s[6:7], v[6:7]
	v_dual_ashrrev_i32 v9, 31, v8 :: v_dual_ashrrev_i32 v11, 31, v10
	s_cmp_lg_u32 s5, 0x84
	v_add_nc_u32_e32 v18, s9, v16
	s_cselect_b32 s3, -1, 0
	s_cmp_eq_u32 s5, 0x84
	s_delay_alu instid0(VALU_DEP_3) | instskip(NEXT) | instid1(VALU_DEP_2)
	v_lshl_add_u64 v[4:5], s[0:1], 2, v[2:3]
	v_add_nc_u32_e32 v20, s9, v18
	s_delay_alu instid0(VALU_DEP_1) | instskip(NEXT) | instid1(VALU_DEP_1)
	v_add_nc_u32_e32 v22, s9, v20
	v_add_nc_u32_e32 v24, s9, v22
	s_clause 0x7
	global_load_b32 v88, v0, s[6:7] scale_offset
	global_load_b32 v90, v8, s[6:7] scale_offset
	;; [unrolled: 1-line block ×7, first 2 shown]
	global_load_b32 v89, v[4:5], off
	v_dual_ashrrev_i32 v17, 31, v16 :: v_dual_ashrrev_i32 v19, 31, v18
	v_dual_add_nc_u32 v26, s9, v24 :: v_dual_ashrrev_i32 v25, 31, v24
	s_delay_alu instid0(VALU_DEP_1)
	v_dual_ashrrev_i32 v27, 31, v26 :: v_dual_add_nc_u32 v28, s9, v26
	s_clause 0x3
	global_load_b32 v96, v20, s[6:7] scale_offset
	global_load_b32 v97, v22, s[6:7] scale_offset
	;; [unrolled: 1-line block ×4, first 2 shown]
	v_dual_ashrrev_i32 v21, 31, v20 :: v_dual_ashrrev_i32 v23, 31, v22
	v_add_nc_u32_e32 v30, s9, v28
	s_delay_alu instid0(VALU_DEP_1) | instskip(NEXT) | instid1(VALU_DEP_1)
	v_add_nc_u32_e32 v32, s9, v30
	v_add_nc_u32_e32 v34, s9, v32
	s_delay_alu instid0(VALU_DEP_1) | instskip(NEXT) | instid1(VALU_DEP_1)
	v_dual_add_nc_u32 v36, s9, v34 :: v_dual_ashrrev_i32 v29, 31, v28
	v_dual_ashrrev_i32 v31, 31, v30 :: v_dual_add_nc_u32 v38, s9, v36
	s_delay_alu instid0(VALU_DEP_1)
	v_dual_ashrrev_i32 v37, 31, v36 :: v_dual_ashrrev_i32 v39, 31, v38
	v_add_nc_u32_e32 v40, s9, v38
	s_clause 0x3
	global_load_b32 v100, v28, s[6:7] scale_offset
	global_load_b32 v101, v30, s[6:7] scale_offset
	;; [unrolled: 1-line block ×4, first 2 shown]
	v_dual_ashrrev_i32 v33, 31, v32 :: v_dual_ashrrev_i32 v35, 31, v34
	v_add_nc_u32_e32 v42, s9, v40
	s_delay_alu instid0(VALU_DEP_1) | instskip(NEXT) | instid1(VALU_DEP_1)
	v_add_nc_u32_e32 v44, s9, v42
	v_add_nc_u32_e32 v46, s9, v44
	s_delay_alu instid0(VALU_DEP_1)
	v_add_nc_u32_e32 v48, s9, v46
	s_clause 0x3
	global_load_b32 v104, v36, s[6:7] scale_offset
	global_load_b32 v105, v38, s[6:7] scale_offset
	;; [unrolled: 1-line block ×4, first 2 shown]
	v_dual_ashrrev_i32 v41, 31, v40 :: v_dual_ashrrev_i32 v43, 31, v42
	v_dual_add_nc_u32 v50, s9, v48 :: v_dual_ashrrev_i32 v49, 31, v48
	s_delay_alu instid0(VALU_DEP_1)
	v_dual_ashrrev_i32 v51, 31, v50 :: v_dual_add_nc_u32 v52, s9, v50
	s_clause 0x3
	global_load_b32 v108, v44, s[6:7] scale_offset
	global_load_b32 v109, v46, s[6:7] scale_offset
	;; [unrolled: 1-line block ×4, first 2 shown]
	v_dual_ashrrev_i32 v45, 31, v44 :: v_dual_ashrrev_i32 v47, 31, v46
	v_add_nc_u32_e32 v54, s9, v52
	s_delay_alu instid0(VALU_DEP_1) | instskip(NEXT) | instid1(VALU_DEP_1)
	v_add_nc_u32_e32 v56, s9, v54
	v_add_nc_u32_e32 v58, s9, v56
	s_delay_alu instid0(VALU_DEP_1) | instskip(NEXT) | instid1(VALU_DEP_1)
	v_dual_add_nc_u32 v60, s9, v58 :: v_dual_ashrrev_i32 v53, 31, v52
	v_dual_ashrrev_i32 v55, 31, v54 :: v_dual_add_nc_u32 v62, s9, v60
	s_delay_alu instid0(VALU_DEP_1)
	v_dual_ashrrev_i32 v61, 31, v60 :: v_dual_ashrrev_i32 v63, 31, v62
	v_add_nc_u32_e32 v64, s9, v62
	s_clause 0x3
	global_load_b32 v112, v52, s[6:7] scale_offset
	global_load_b32 v113, v54, s[6:7] scale_offset
	;; [unrolled: 1-line block ×4, first 2 shown]
	v_dual_ashrrev_i32 v57, 31, v56 :: v_dual_ashrrev_i32 v59, 31, v58
	v_add_nc_u32_e32 v66, s9, v64
	s_delay_alu instid0(VALU_DEP_1) | instskip(NEXT) | instid1(VALU_DEP_1)
	v_add_nc_u32_e32 v68, s9, v66
	v_add_nc_u32_e32 v70, s9, v68
	s_delay_alu instid0(VALU_DEP_1)
	v_add_nc_u32_e32 v72, s9, v70
	s_clause 0x3
	global_load_b32 v116, v60, s[6:7] scale_offset
	global_load_b32 v117, v62, s[6:7] scale_offset
	;; [unrolled: 1-line block ×4, first 2 shown]
	v_dual_ashrrev_i32 v65, 31, v64 :: v_dual_ashrrev_i32 v67, 31, v66
	v_dual_add_nc_u32 v74, s9, v72 :: v_dual_ashrrev_i32 v73, 31, v72
	s_delay_alu instid0(VALU_DEP_1)
	v_dual_ashrrev_i32 v75, 31, v74 :: v_dual_add_nc_u32 v76, s9, v74
	s_clause 0x3
	global_load_b32 v120, v68, s[6:7] scale_offset
	global_load_b32 v121, v70, s[6:7] scale_offset
	;; [unrolled: 1-line block ×4, first 2 shown]
	v_dual_ashrrev_i32 v69, 31, v68 :: v_dual_ashrrev_i32 v71, 31, v70
	v_add_nc_u32_e32 v78, s9, v76
	s_delay_alu instid0(VALU_DEP_1) | instskip(NEXT) | instid1(VALU_DEP_1)
	v_add_nc_u32_e32 v80, s9, v78
	v_add_nc_u32_e32 v82, s9, v80
	s_delay_alu instid0(VALU_DEP_1) | instskip(NEXT) | instid1(VALU_DEP_1)
	v_dual_add_nc_u32 v84, s9, v82 :: v_dual_ashrrev_i32 v77, 31, v76
	v_dual_ashrrev_i32 v79, 31, v78 :: v_dual_add_nc_u32 v86, s9, v84
	s_delay_alu instid0(VALU_DEP_1)
	v_dual_ashrrev_i32 v85, 31, v84 :: v_dual_ashrrev_i32 v87, 31, v86
	s_wait_loadcnt 0x1d
	scratch_store_b128 off, v[92:95], off offset:16
	s_wait_loadcnt 0x1c
	scratch_store_b128 off, v[88:91], off
	s_wait_xcnt 0x0
	v_add_nc_u32_e32 v88, s9, v86
	s_clause 0x3
	global_load_b32 v124, v76, s[6:7] scale_offset
	global_load_b32 v125, v78, s[6:7] scale_offset
	;; [unrolled: 1-line block ×4, first 2 shown]
	v_dual_ashrrev_i32 v81, 31, v80 :: v_dual_ashrrev_i32 v83, 31, v82
	v_add_nc_u32_e32 v90, s9, v88
	s_delay_alu instid0(VALU_DEP_1) | instskip(SKIP_4) | instid1(VALU_DEP_1)
	v_add_nc_u32_e32 v92, s9, v90
	s_wait_loadcnt 0x1c
	scratch_store_b128 off, v[96:99], off offset:32
	v_add_nc_u32_e32 v94, s9, v92
	s_wait_xcnt 0x0
	v_add_nc_u32_e32 v96, s9, v94
	s_clause 0x3
	global_load_b32 v128, v84, s[6:7] scale_offset
	global_load_b32 v129, v86, s[6:7] scale_offset
	;; [unrolled: 1-line block ×4, first 2 shown]
	v_dual_ashrrev_i32 v89, 31, v88 :: v_dual_ashrrev_i32 v91, 31, v90
	v_dual_add_nc_u32 v98, s9, v96 :: v_dual_ashrrev_i32 v97, 31, v96
	s_delay_alu instid0(VALU_DEP_1) | instskip(SKIP_4) | instid1(VALU_DEP_1)
	v_ashrrev_i32_e32 v99, 31, v98
	s_wait_loadcnt 0x1c
	scratch_store_b128 off, v[100:103], off offset:48
	s_wait_xcnt 0x0
	v_dual_add_nc_u32 v100, s9, v98 :: v_dual_ashrrev_i32 v93, 31, v92
	v_dual_ashrrev_i32 v95, 31, v94 :: v_dual_add_nc_u32 v102, s9, v100
	s_wait_loadcnt 0x18
	scratch_store_b128 off, v[104:107], off offset:64
	s_wait_xcnt 0x0
	v_add_nc_u32_e32 v104, s9, v102
	s_delay_alu instid0(VALU_DEP_1) | instskip(SKIP_4) | instid1(VALU_DEP_1)
	v_add_nc_u32_e32 v106, s9, v104
	s_wait_loadcnt 0x14
	scratch_store_b128 off, v[108:111], off offset:80
	s_wait_xcnt 0x0
	v_dual_add_nc_u32 v108, s9, v106 :: v_dual_ashrrev_i32 v101, 31, v100
	v_dual_ashrrev_i32 v103, 31, v102 :: v_dual_add_nc_u32 v110, s9, v108
	s_delay_alu instid0(VALU_DEP_1)
	v_dual_ashrrev_i32 v109, 31, v108 :: v_dual_ashrrev_i32 v111, 31, v110
	s_wait_loadcnt 0x10
	scratch_store_b128 off, v[112:115], off offset:96
	s_clause 0x3
	global_load_b32 v132, v92, s[6:7] scale_offset
	global_load_b32 v133, v94, s[6:7] scale_offset
	;; [unrolled: 1-line block ×4, first 2 shown]
	s_wait_xcnt 0x4
	v_dual_add_nc_u32 v112, s9, v110 :: v_dual_ashrrev_i32 v105, 31, v104
	v_dual_mov_b32 v114, -1.0 :: v_dual_ashrrev_i32 v107, 31, v106
	s_delay_alu instid0(VALU_DEP_2)
	v_ashrrev_i32_e32 v113, 31, v112
	s_wait_loadcnt 0x10
	scratch_store_b128 off, v[116:119], off offset:112
	s_wait_loadcnt 0xc
	scratch_store_b128 off, v[120:123], off offset:128
	;; [unrolled: 2-line block ×4, first 2 shown]
	s_clause 0x6
	global_load_b32 v116, v100, s[6:7] scale_offset
	global_load_b32 v117, v102, s[6:7] scale_offset
	;; [unrolled: 1-line block ×7, first 2 shown]
	s_wait_loadcnt 0x7
	scratch_store_b128 off, v[132:135], off offset:176
	s_wait_loadcnt 0x3
	scratch_store_b128 off, v[116:119], off offset:192
	s_wait_loadcnt 0x0
	scratch_store_b96 off, v[120:122], off offset:208
	s_cbranch_scc1 .LBB54_3
; %bb.2:
	scratch_load_b32 v1, v0, off scale_offset
	s_wait_loadcnt 0x0
	v_div_scale_f32 v7, null, v1, v1, 1.0
	s_delay_alu instid0(VALU_DEP_1) | instskip(SKIP_1) | instid1(TRANS32_DEP_1)
	v_rcp_f32_e32 v114, v7
	v_nop
	v_fma_f32 v115, -v7, v114, 1.0
	s_delay_alu instid0(VALU_DEP_1) | instskip(SKIP_2) | instid1(VALU_DEP_1)
	v_fmac_f32_e32 v114, v115, v114
	v_div_scale_f32 v115, vcc_lo, 1.0, v1, 1.0
	s_wait_xcnt 0x2
	v_mul_f32_e32 v116, v115, v114
	s_delay_alu instid0(VALU_DEP_1) | instskip(NEXT) | instid1(VALU_DEP_1)
	v_fma_f32 v117, -v7, v116, v115
	v_fmac_f32_e32 v116, v117, v114
	s_delay_alu instid0(VALU_DEP_1) | instskip(NEXT) | instid1(VALU_DEP_1)
	v_fma_f32 v7, -v7, v116, v115
	v_div_fmas_f32 v7, v7, v114, v116
	s_delay_alu instid0(VALU_DEP_1) | instskip(NEXT) | instid1(VALU_DEP_1)
	v_div_fixup_f32 v1, v7, v1, 1.0
	v_xor_b32_e32 v114, 0x80000000, v1
	scratch_store_b32 v0, v1, off scale_offset
.LBB54_3:
	s_wait_xcnt 0x0
	v_add_nc_u32_e32 v1, 0xe0, v6
	v_mov_b32_e32 v7, v6
	s_cmp_eq_u32 s4, 0x79
	s_mov_b32 s1, -1
	ds_store_b32 v6, v114
	s_cbranch_scc1 .LBB54_537
; %bb.4:
	scratch_load_b32 v114, off, off offset:212
	v_cmp_eq_u32_e64 s0, 54, v0
	s_movk_i32 s1, 0x50
	s_movk_i32 s2, 0x60
	;; [unrolled: 1-line block ×9, first 2 shown]
	s_wait_loadcnt 0x0
	ds_store_b32 v1, v114
	s_wait_storecnt_dscnt 0x0
	s_barrier_signal -1
	s_barrier_wait -1
	s_wait_xcnt 0x0
	s_and_saveexec_b32 s4, s0
	s_cbranch_execz .LBB54_10
; %bb.5:
	s_and_b32 vcc_lo, exec_lo, s3
	s_cbranch_vccz .LBB54_7
; %bb.6:
	scratch_load_b32 v114, v7, off
	ds_load_b32 v115, v1
	s_wait_loadcnt_dscnt 0x0
	v_mul_f32_e32 v114, v114, v115
	s_cbranch_execz .LBB54_8
	s_branch .LBB54_9
.LBB54_7:
                                        ; implicit-def: $vgpr114
.LBB54_8:
	ds_load_b32 v114, v1
.LBB54_9:
	v_mov_b32_e32 v115, 0
	ds_load_b32 v115, v115 offset:212
	s_wait_dscnt 0x0
	v_mul_f32_e32 v114, v114, v115
	scratch_store_b32 off, v114, off offset:212
.LBB54_10:
	s_wait_xcnt 0x0
	s_or_b32 exec_lo, exec_lo, s4
	scratch_load_b32 v114, off, off offset:208
	s_mov_b32 s11, s2
	v_cmp_lt_u32_e64 s2, 52, v0
	s_mov_b32 s4, 16
	s_mov_b32 s5, 32
	;; [unrolled: 1-line block ×5, first 2 shown]
	s_wait_loadcnt 0x0
	ds_store_b32 v1, v114
	s_wait_storecnt_dscnt 0x0
	s_barrier_signal -1
	s_barrier_wait -1
	s_wait_xcnt 0x0
	s_and_saveexec_b32 s1, s2
	s_cbranch_execz .LBB54_16
; %bb.11:
	s_and_not1_b32 vcc_lo, exec_lo, s3
	s_cbranch_vccnz .LBB54_13
; %bb.12:
	scratch_load_b32 v114, v7, off
	ds_load_b32 v115, v1
	s_wait_loadcnt_dscnt 0x0
	v_mul_f32_e32 v114, v114, v115
	s_cbranch_execz .LBB54_14
	s_branch .LBB54_15
.LBB54_13:
                                        ; implicit-def: $vgpr114
.LBB54_14:
	ds_load_b32 v114, v1
.LBB54_15:
	scratch_load_b32 v115, off, off offset:212
	v_mov_b32_e32 v116, 0
	ds_load_2addr_b32 v[116:117], v116 offset0:52 offset1:109
	s_wait_loadcnt_dscnt 0x0
	v_fma_f32 v115, v115, v117, v114
	s_delay_alu instid0(VALU_DEP_1) | instskip(NEXT) | instid1(VALU_DEP_1)
	v_cndmask_b32_e64 v114, v114, v115, s0
	v_mul_f32_e32 v114, v114, v116
	scratch_store_b32 off, v114, off offset:208
.LBB54_16:
	s_wait_xcnt 0x0
	s_or_b32 exec_lo, exec_lo, s1
	scratch_load_b32 v114, off, off offset:204
	v_cmp_lt_u32_e64 s1, 51, v0
	s_wait_loadcnt 0x0
	ds_store_b32 v1, v114
	s_wait_storecnt_dscnt 0x0
	s_barrier_signal -1
	s_barrier_wait -1
	s_wait_xcnt 0x0
	s_and_saveexec_b32 s0, s1
	s_cbranch_execz .LBB54_26
; %bb.17:
	s_and_not1_b32 vcc_lo, exec_lo, s3
	s_cbranch_vccnz .LBB54_19
; %bb.18:
	scratch_load_b32 v114, v7, off
	ds_load_b32 v115, v1
	s_wait_loadcnt_dscnt 0x0
	v_mul_f32_e32 v114, v114, v115
	s_cbranch_execz .LBB54_20
	s_branch .LBB54_21
.LBB54_19:
                                        ; implicit-def: $vgpr114
.LBB54_20:
	ds_load_b32 v114, v1
.LBB54_21:
	s_and_saveexec_b32 s19, s2
	s_cbranch_execz .LBB54_25
; %bb.22:
	v_subrev_nc_u32_e32 v115, 52, v0
	s_movk_i32 s20, 0x1b0
	s_mov_b32 s2, 0
.LBB54_23:                              ; =>This Inner Loop Header: Depth=1
	scratch_load_b32 v116, off, s18
	v_dual_mov_b32 v117, s20 :: v_dual_add_nc_u32 v115, -1, v115
	s_add_co_i32 s20, s20, 4
	s_wait_xcnt 0x0
	s_add_co_i32 s18, s18, 4
	ds_load_b32 v117, v117
	v_cmp_eq_u32_e32 vcc_lo, 0, v115
	s_or_b32 s2, vcc_lo, s2
	s_wait_loadcnt_dscnt 0x0
	v_fmac_f32_e32 v114, v116, v117
	s_and_not1_b32 exec_lo, exec_lo, s2
	s_cbranch_execnz .LBB54_23
; %bb.24:
	s_or_b32 exec_lo, exec_lo, s2
.LBB54_25:
	s_delay_alu instid0(SALU_CYCLE_1)
	s_or_b32 exec_lo, exec_lo, s19
	v_mov_b32_e32 v115, 0
	ds_load_b32 v115, v115 offset:204
	s_wait_dscnt 0x0
	v_mul_f32_e32 v114, v114, v115
	scratch_store_b32 off, v114, off offset:204
.LBB54_26:
	s_wait_xcnt 0x0
	s_or_b32 exec_lo, exec_lo, s0
	scratch_load_b32 v114, off, off offset:200
	v_cmp_lt_u32_e64 s0, 50, v0
	s_wait_loadcnt 0x0
	ds_store_b32 v1, v114
	s_wait_storecnt_dscnt 0x0
	s_barrier_signal -1
	s_barrier_wait -1
	s_wait_xcnt 0x0
	s_and_saveexec_b32 s2, s0
	s_cbranch_execz .LBB54_36
; %bb.27:
	s_and_not1_b32 vcc_lo, exec_lo, s3
	s_cbranch_vccnz .LBB54_29
; %bb.28:
	scratch_load_b32 v114, v7, off
	ds_load_b32 v115, v1
	s_wait_loadcnt_dscnt 0x0
	v_mul_f32_e32 v114, v114, v115
	s_cbranch_execz .LBB54_30
	s_branch .LBB54_31
.LBB54_29:
                                        ; implicit-def: $vgpr114
.LBB54_30:
	ds_load_b32 v114, v1
.LBB54_31:
	s_and_saveexec_b32 s18, s1
	s_cbranch_execz .LBB54_35
; %bb.32:
	v_subrev_nc_u32_e32 v115, 51, v0
	s_movk_i32 s1, 0xcc
	s_movk_i32 s20, 0x1ac
	s_mov_b32 s19, 0
.LBB54_33:                              ; =>This Inner Loop Header: Depth=1
	scratch_load_b32 v116, off, s1
	v_dual_mov_b32 v117, s20 :: v_dual_add_nc_u32 v115, -1, v115
	s_add_co_i32 s20, s20, 4
	s_wait_xcnt 0x0
	s_add_co_i32 s1, s1, 4
	ds_load_b32 v117, v117
	v_cmp_eq_u32_e32 vcc_lo, 0, v115
	s_or_b32 s19, vcc_lo, s19
	s_wait_loadcnt_dscnt 0x0
	v_fmac_f32_e32 v114, v116, v117
	s_and_not1_b32 exec_lo, exec_lo, s19
	s_cbranch_execnz .LBB54_33
; %bb.34:
	s_or_b32 exec_lo, exec_lo, s19
.LBB54_35:
	s_delay_alu instid0(SALU_CYCLE_1)
	s_or_b32 exec_lo, exec_lo, s18
	v_mov_b32_e32 v115, 0
	ds_load_b32 v115, v115 offset:200
	s_wait_dscnt 0x0
	v_mul_f32_e32 v114, v114, v115
	scratch_store_b32 off, v114, off offset:200
.LBB54_36:
	s_wait_xcnt 0x0
	s_or_b32 exec_lo, exec_lo, s2
	scratch_load_b32 v114, off, off offset:196
	v_cmp_lt_u32_e64 s1, 49, v0
	s_wait_loadcnt 0x0
	ds_store_b32 v1, v114
	s_wait_storecnt_dscnt 0x0
	s_barrier_signal -1
	s_barrier_wait -1
	s_wait_xcnt 0x0
	s_and_saveexec_b32 s2, s1
	s_cbranch_execz .LBB54_46
; %bb.37:
	s_and_not1_b32 vcc_lo, exec_lo, s3
	s_cbranch_vccnz .LBB54_39
; %bb.38:
	scratch_load_b32 v114, v7, off
	ds_load_b32 v115, v1
	s_wait_loadcnt_dscnt 0x0
	v_mul_f32_e32 v114, v114, v115
	s_cbranch_execz .LBB54_40
	s_branch .LBB54_41
.LBB54_39:
                                        ; implicit-def: $vgpr114
.LBB54_40:
	ds_load_b32 v114, v1
.LBB54_41:
	s_and_saveexec_b32 s18, s0
	s_cbranch_execz .LBB54_45
; %bb.42:
	v_subrev_nc_u32_e32 v115, 50, v0
	s_movk_i32 s0, 0xc8
	s_movk_i32 s20, 0x1a8
	s_mov_b32 s19, 0
.LBB54_43:                              ; =>This Inner Loop Header: Depth=1
	scratch_load_b32 v116, off, s0
	v_dual_mov_b32 v117, s20 :: v_dual_add_nc_u32 v115, -1, v115
	s_add_co_i32 s20, s20, 4
	s_wait_xcnt 0x0
	s_add_co_i32 s0, s0, 4
	ds_load_b32 v117, v117
	v_cmp_eq_u32_e32 vcc_lo, 0, v115
	s_or_b32 s19, vcc_lo, s19
	s_wait_loadcnt_dscnt 0x0
	v_fmac_f32_e32 v114, v116, v117
	s_and_not1_b32 exec_lo, exec_lo, s19
	s_cbranch_execnz .LBB54_43
; %bb.44:
	s_or_b32 exec_lo, exec_lo, s19
.LBB54_45:
	s_delay_alu instid0(SALU_CYCLE_1)
	s_or_b32 exec_lo, exec_lo, s18
	v_mov_b32_e32 v115, 0
	ds_load_b32 v115, v115 offset:196
	s_wait_dscnt 0x0
	v_mul_f32_e32 v114, v114, v115
	scratch_store_b32 off, v114, off offset:196
.LBB54_46:
	;; [unrolled: 58-line block ×3, first 2 shown]
	s_wait_xcnt 0x0
	s_or_b32 exec_lo, exec_lo, s2
	scratch_load_b32 v114, off, off offset:188
	v_cmp_lt_u32_e64 s1, 47, v0
	s_wait_loadcnt 0x0
	ds_store_b32 v1, v114
	s_wait_storecnt_dscnt 0x0
	s_barrier_signal -1
	s_barrier_wait -1
	s_wait_xcnt 0x0
	s_and_saveexec_b32 s2, s1
	s_cbranch_execz .LBB54_66
; %bb.57:
	s_and_not1_b32 vcc_lo, exec_lo, s3
	s_cbranch_vccnz .LBB54_59
; %bb.58:
	scratch_load_b32 v114, v7, off
	ds_load_b32 v115, v1
	s_wait_loadcnt_dscnt 0x0
	v_mul_f32_e32 v114, v114, v115
	s_cbranch_execz .LBB54_60
	s_branch .LBB54_61
.LBB54_59:
                                        ; implicit-def: $vgpr114
.LBB54_60:
	ds_load_b32 v114, v1
.LBB54_61:
	s_and_saveexec_b32 s18, s0
	s_cbranch_execz .LBB54_65
; %bb.62:
	v_subrev_nc_u32_e32 v115, 48, v0
	s_movk_i32 s19, 0x1a0
	s_mov_b32 s0, 0
.LBB54_63:                              ; =>This Inner Loop Header: Depth=1
	scratch_load_b32 v116, off, s17
	v_dual_mov_b32 v117, s19 :: v_dual_add_nc_u32 v115, -1, v115
	s_add_co_i32 s19, s19, 4
	s_wait_xcnt 0x0
	s_add_co_i32 s17, s17, 4
	ds_load_b32 v117, v117
	v_cmp_eq_u32_e32 vcc_lo, 0, v115
	s_or_b32 s0, vcc_lo, s0
	s_wait_loadcnt_dscnt 0x0
	v_fmac_f32_e32 v114, v116, v117
	s_and_not1_b32 exec_lo, exec_lo, s0
	s_cbranch_execnz .LBB54_63
; %bb.64:
	s_or_b32 exec_lo, exec_lo, s0
.LBB54_65:
	s_delay_alu instid0(SALU_CYCLE_1)
	s_or_b32 exec_lo, exec_lo, s18
	v_mov_b32_e32 v115, 0
	ds_load_b32 v115, v115 offset:188
	s_wait_dscnt 0x0
	v_mul_f32_e32 v114, v114, v115
	scratch_store_b32 off, v114, off offset:188
.LBB54_66:
	s_wait_xcnt 0x0
	s_or_b32 exec_lo, exec_lo, s2
	scratch_load_b32 v114, off, off offset:184
	v_cmp_lt_u32_e64 s0, 46, v0
	s_wait_loadcnt 0x0
	ds_store_b32 v1, v114
	s_wait_storecnt_dscnt 0x0
	s_barrier_signal -1
	s_barrier_wait -1
	s_wait_xcnt 0x0
	s_and_saveexec_b32 s2, s0
	s_cbranch_execz .LBB54_76
; %bb.67:
	s_and_not1_b32 vcc_lo, exec_lo, s3
	s_cbranch_vccnz .LBB54_69
; %bb.68:
	scratch_load_b32 v114, v7, off
	ds_load_b32 v115, v1
	s_wait_loadcnt_dscnt 0x0
	v_mul_f32_e32 v114, v114, v115
	s_cbranch_execz .LBB54_70
	s_branch .LBB54_71
.LBB54_69:
                                        ; implicit-def: $vgpr114
.LBB54_70:
	ds_load_b32 v114, v1
.LBB54_71:
	s_and_saveexec_b32 s17, s1
	s_cbranch_execz .LBB54_75
; %bb.72:
	v_subrev_nc_u32_e32 v115, 47, v0
	s_movk_i32 s1, 0xbc
	s_movk_i32 s19, 0x19c
	s_mov_b32 s18, 0
.LBB54_73:                              ; =>This Inner Loop Header: Depth=1
	scratch_load_b32 v116, off, s1
	v_dual_mov_b32 v117, s19 :: v_dual_add_nc_u32 v115, -1, v115
	s_add_co_i32 s19, s19, 4
	s_wait_xcnt 0x0
	s_add_co_i32 s1, s1, 4
	ds_load_b32 v117, v117
	v_cmp_eq_u32_e32 vcc_lo, 0, v115
	s_or_b32 s18, vcc_lo, s18
	s_wait_loadcnt_dscnt 0x0
	v_fmac_f32_e32 v114, v116, v117
	s_and_not1_b32 exec_lo, exec_lo, s18
	s_cbranch_execnz .LBB54_73
; %bb.74:
	s_or_b32 exec_lo, exec_lo, s18
.LBB54_75:
	s_delay_alu instid0(SALU_CYCLE_1)
	s_or_b32 exec_lo, exec_lo, s17
	v_mov_b32_e32 v115, 0
	ds_load_b32 v115, v115 offset:184
	s_wait_dscnt 0x0
	v_mul_f32_e32 v114, v114, v115
	scratch_store_b32 off, v114, off offset:184
.LBB54_76:
	s_wait_xcnt 0x0
	s_or_b32 exec_lo, exec_lo, s2
	scratch_load_b32 v114, off, off offset:180
	v_cmp_lt_u32_e64 s1, 45, v0
	s_wait_loadcnt 0x0
	ds_store_b32 v1, v114
	s_wait_storecnt_dscnt 0x0
	s_barrier_signal -1
	s_barrier_wait -1
	s_wait_xcnt 0x0
	s_and_saveexec_b32 s2, s1
	s_cbranch_execz .LBB54_86
; %bb.77:
	s_and_not1_b32 vcc_lo, exec_lo, s3
	s_cbranch_vccnz .LBB54_79
; %bb.78:
	scratch_load_b32 v114, v7, off
	ds_load_b32 v115, v1
	s_wait_loadcnt_dscnt 0x0
	v_mul_f32_e32 v114, v114, v115
	s_cbranch_execz .LBB54_80
	s_branch .LBB54_81
.LBB54_79:
                                        ; implicit-def: $vgpr114
.LBB54_80:
	ds_load_b32 v114, v1
.LBB54_81:
	s_and_saveexec_b32 s17, s0
	s_cbranch_execz .LBB54_85
; %bb.82:
	v_subrev_nc_u32_e32 v115, 46, v0
	s_movk_i32 s0, 0xb8
	s_movk_i32 s19, 0x198
	s_mov_b32 s18, 0
.LBB54_83:                              ; =>This Inner Loop Header: Depth=1
	scratch_load_b32 v116, off, s0
	v_dual_mov_b32 v117, s19 :: v_dual_add_nc_u32 v115, -1, v115
	s_add_co_i32 s19, s19, 4
	s_wait_xcnt 0x0
	s_add_co_i32 s0, s0, 4
	ds_load_b32 v117, v117
	v_cmp_eq_u32_e32 vcc_lo, 0, v115
	s_or_b32 s18, vcc_lo, s18
	s_wait_loadcnt_dscnt 0x0
	v_fmac_f32_e32 v114, v116, v117
	s_and_not1_b32 exec_lo, exec_lo, s18
	s_cbranch_execnz .LBB54_83
; %bb.84:
	s_or_b32 exec_lo, exec_lo, s18
.LBB54_85:
	s_delay_alu instid0(SALU_CYCLE_1)
	s_or_b32 exec_lo, exec_lo, s17
	v_mov_b32_e32 v115, 0
	ds_load_b32 v115, v115 offset:180
	s_wait_dscnt 0x0
	v_mul_f32_e32 v114, v114, v115
	scratch_store_b32 off, v114, off offset:180
.LBB54_86:
	;; [unrolled: 58-line block ×3, first 2 shown]
	s_wait_xcnt 0x0
	s_or_b32 exec_lo, exec_lo, s2
	scratch_load_b32 v114, off, off offset:172
	v_cmp_lt_u32_e64 s1, 43, v0
	s_wait_loadcnt 0x0
	ds_store_b32 v1, v114
	s_wait_storecnt_dscnt 0x0
	s_barrier_signal -1
	s_barrier_wait -1
	s_wait_xcnt 0x0
	s_and_saveexec_b32 s2, s1
	s_cbranch_execz .LBB54_106
; %bb.97:
	s_and_not1_b32 vcc_lo, exec_lo, s3
	s_cbranch_vccnz .LBB54_99
; %bb.98:
	scratch_load_b32 v114, v7, off
	ds_load_b32 v115, v1
	s_wait_loadcnt_dscnt 0x0
	v_mul_f32_e32 v114, v114, v115
	s_cbranch_execz .LBB54_100
	s_branch .LBB54_101
.LBB54_99:
                                        ; implicit-def: $vgpr114
.LBB54_100:
	ds_load_b32 v114, v1
.LBB54_101:
	s_and_saveexec_b32 s17, s0
	s_cbranch_execz .LBB54_105
; %bb.102:
	v_subrev_nc_u32_e32 v115, 44, v0
	s_movk_i32 s18, 0x190
	s_mov_b32 s0, 0
.LBB54_103:                             ; =>This Inner Loop Header: Depth=1
	scratch_load_b32 v116, off, s16
	v_dual_mov_b32 v117, s18 :: v_dual_add_nc_u32 v115, -1, v115
	s_add_co_i32 s18, s18, 4
	s_wait_xcnt 0x0
	s_add_co_i32 s16, s16, 4
	ds_load_b32 v117, v117
	v_cmp_eq_u32_e32 vcc_lo, 0, v115
	s_or_b32 s0, vcc_lo, s0
	s_wait_loadcnt_dscnt 0x0
	v_fmac_f32_e32 v114, v116, v117
	s_and_not1_b32 exec_lo, exec_lo, s0
	s_cbranch_execnz .LBB54_103
; %bb.104:
	s_or_b32 exec_lo, exec_lo, s0
.LBB54_105:
	s_delay_alu instid0(SALU_CYCLE_1)
	s_or_b32 exec_lo, exec_lo, s17
	v_mov_b32_e32 v115, 0
	ds_load_b32 v115, v115 offset:172
	s_wait_dscnt 0x0
	v_mul_f32_e32 v114, v114, v115
	scratch_store_b32 off, v114, off offset:172
.LBB54_106:
	s_wait_xcnt 0x0
	s_or_b32 exec_lo, exec_lo, s2
	scratch_load_b32 v114, off, off offset:168
	v_cmp_lt_u32_e64 s0, 42, v0
	s_wait_loadcnt 0x0
	ds_store_b32 v1, v114
	s_wait_storecnt_dscnt 0x0
	s_barrier_signal -1
	s_barrier_wait -1
	s_wait_xcnt 0x0
	s_and_saveexec_b32 s2, s0
	s_cbranch_execz .LBB54_116
; %bb.107:
	s_and_not1_b32 vcc_lo, exec_lo, s3
	s_cbranch_vccnz .LBB54_109
; %bb.108:
	scratch_load_b32 v114, v7, off
	ds_load_b32 v115, v1
	s_wait_loadcnt_dscnt 0x0
	v_mul_f32_e32 v114, v114, v115
	s_cbranch_execz .LBB54_110
	s_branch .LBB54_111
.LBB54_109:
                                        ; implicit-def: $vgpr114
.LBB54_110:
	ds_load_b32 v114, v1
.LBB54_111:
	s_and_saveexec_b32 s16, s1
	s_cbranch_execz .LBB54_115
; %bb.112:
	v_subrev_nc_u32_e32 v115, 43, v0
	s_movk_i32 s1, 0xac
	s_movk_i32 s18, 0x18c
	s_mov_b32 s17, 0
.LBB54_113:                             ; =>This Inner Loop Header: Depth=1
	scratch_load_b32 v116, off, s1
	v_dual_mov_b32 v117, s18 :: v_dual_add_nc_u32 v115, -1, v115
	s_add_co_i32 s18, s18, 4
	s_wait_xcnt 0x0
	s_add_co_i32 s1, s1, 4
	ds_load_b32 v117, v117
	v_cmp_eq_u32_e32 vcc_lo, 0, v115
	s_or_b32 s17, vcc_lo, s17
	s_wait_loadcnt_dscnt 0x0
	v_fmac_f32_e32 v114, v116, v117
	s_and_not1_b32 exec_lo, exec_lo, s17
	s_cbranch_execnz .LBB54_113
; %bb.114:
	s_or_b32 exec_lo, exec_lo, s17
.LBB54_115:
	s_delay_alu instid0(SALU_CYCLE_1)
	s_or_b32 exec_lo, exec_lo, s16
	v_mov_b32_e32 v115, 0
	ds_load_b32 v115, v115 offset:168
	s_wait_dscnt 0x0
	v_mul_f32_e32 v114, v114, v115
	scratch_store_b32 off, v114, off offset:168
.LBB54_116:
	s_wait_xcnt 0x0
	s_or_b32 exec_lo, exec_lo, s2
	scratch_load_b32 v114, off, off offset:164
	v_cmp_lt_u32_e64 s1, 41, v0
	s_wait_loadcnt 0x0
	ds_store_b32 v1, v114
	s_wait_storecnt_dscnt 0x0
	s_barrier_signal -1
	s_barrier_wait -1
	s_wait_xcnt 0x0
	s_and_saveexec_b32 s2, s1
	s_cbranch_execz .LBB54_126
; %bb.117:
	s_and_not1_b32 vcc_lo, exec_lo, s3
	s_cbranch_vccnz .LBB54_119
; %bb.118:
	scratch_load_b32 v114, v7, off
	ds_load_b32 v115, v1
	s_wait_loadcnt_dscnt 0x0
	v_mul_f32_e32 v114, v114, v115
	s_cbranch_execz .LBB54_120
	s_branch .LBB54_121
.LBB54_119:
                                        ; implicit-def: $vgpr114
.LBB54_120:
	ds_load_b32 v114, v1
.LBB54_121:
	s_and_saveexec_b32 s16, s0
	s_cbranch_execz .LBB54_125
; %bb.122:
	v_subrev_nc_u32_e32 v115, 42, v0
	s_movk_i32 s0, 0xa8
	s_movk_i32 s18, 0x188
	s_mov_b32 s17, 0
.LBB54_123:                             ; =>This Inner Loop Header: Depth=1
	scratch_load_b32 v116, off, s0
	v_dual_mov_b32 v117, s18 :: v_dual_add_nc_u32 v115, -1, v115
	s_add_co_i32 s18, s18, 4
	s_wait_xcnt 0x0
	s_add_co_i32 s0, s0, 4
	ds_load_b32 v117, v117
	v_cmp_eq_u32_e32 vcc_lo, 0, v115
	s_or_b32 s17, vcc_lo, s17
	s_wait_loadcnt_dscnt 0x0
	v_fmac_f32_e32 v114, v116, v117
	s_and_not1_b32 exec_lo, exec_lo, s17
	s_cbranch_execnz .LBB54_123
; %bb.124:
	s_or_b32 exec_lo, exec_lo, s17
.LBB54_125:
	s_delay_alu instid0(SALU_CYCLE_1)
	s_or_b32 exec_lo, exec_lo, s16
	v_mov_b32_e32 v115, 0
	ds_load_b32 v115, v115 offset:164
	s_wait_dscnt 0x0
	v_mul_f32_e32 v114, v114, v115
	scratch_store_b32 off, v114, off offset:164
.LBB54_126:
	;; [unrolled: 58-line block ×3, first 2 shown]
	s_wait_xcnt 0x0
	s_or_b32 exec_lo, exec_lo, s2
	scratch_load_b32 v114, off, off offset:156
	v_cmp_lt_u32_e64 s1, 39, v0
	s_wait_loadcnt 0x0
	ds_store_b32 v1, v114
	s_wait_storecnt_dscnt 0x0
	s_barrier_signal -1
	s_barrier_wait -1
	s_wait_xcnt 0x0
	s_and_saveexec_b32 s2, s1
	s_cbranch_execz .LBB54_146
; %bb.137:
	s_and_not1_b32 vcc_lo, exec_lo, s3
	s_cbranch_vccnz .LBB54_139
; %bb.138:
	scratch_load_b32 v114, v7, off
	ds_load_b32 v115, v1
	s_wait_loadcnt_dscnt 0x0
	v_mul_f32_e32 v114, v114, v115
	s_cbranch_execz .LBB54_140
	s_branch .LBB54_141
.LBB54_139:
                                        ; implicit-def: $vgpr114
.LBB54_140:
	ds_load_b32 v114, v1
.LBB54_141:
	s_and_saveexec_b32 s16, s0
	s_cbranch_execz .LBB54_145
; %bb.142:
	v_subrev_nc_u32_e32 v115, 40, v0
	s_movk_i32 s17, 0x180
	s_mov_b32 s0, 0
.LBB54_143:                             ; =>This Inner Loop Header: Depth=1
	scratch_load_b32 v116, off, s15
	v_dual_mov_b32 v117, s17 :: v_dual_add_nc_u32 v115, -1, v115
	s_add_co_i32 s17, s17, 4
	s_wait_xcnt 0x0
	s_add_co_i32 s15, s15, 4
	ds_load_b32 v117, v117
	v_cmp_eq_u32_e32 vcc_lo, 0, v115
	s_or_b32 s0, vcc_lo, s0
	s_wait_loadcnt_dscnt 0x0
	v_fmac_f32_e32 v114, v116, v117
	s_and_not1_b32 exec_lo, exec_lo, s0
	s_cbranch_execnz .LBB54_143
; %bb.144:
	s_or_b32 exec_lo, exec_lo, s0
.LBB54_145:
	s_delay_alu instid0(SALU_CYCLE_1)
	s_or_b32 exec_lo, exec_lo, s16
	v_mov_b32_e32 v115, 0
	ds_load_b32 v115, v115 offset:156
	s_wait_dscnt 0x0
	v_mul_f32_e32 v114, v114, v115
	scratch_store_b32 off, v114, off offset:156
.LBB54_146:
	s_wait_xcnt 0x0
	s_or_b32 exec_lo, exec_lo, s2
	scratch_load_b32 v114, off, off offset:152
	v_cmp_lt_u32_e64 s0, 38, v0
	s_wait_loadcnt 0x0
	ds_store_b32 v1, v114
	s_wait_storecnt_dscnt 0x0
	s_barrier_signal -1
	s_barrier_wait -1
	s_wait_xcnt 0x0
	s_and_saveexec_b32 s2, s0
	s_cbranch_execz .LBB54_156
; %bb.147:
	s_and_not1_b32 vcc_lo, exec_lo, s3
	s_cbranch_vccnz .LBB54_149
; %bb.148:
	scratch_load_b32 v114, v7, off
	ds_load_b32 v115, v1
	s_wait_loadcnt_dscnt 0x0
	v_mul_f32_e32 v114, v114, v115
	s_cbranch_execz .LBB54_150
	s_branch .LBB54_151
.LBB54_149:
                                        ; implicit-def: $vgpr114
.LBB54_150:
	ds_load_b32 v114, v1
.LBB54_151:
	s_and_saveexec_b32 s15, s1
	s_cbranch_execz .LBB54_155
; %bb.152:
	v_subrev_nc_u32_e32 v115, 39, v0
	s_movk_i32 s1, 0x9c
	s_movk_i32 s17, 0x17c
	s_mov_b32 s16, 0
.LBB54_153:                             ; =>This Inner Loop Header: Depth=1
	scratch_load_b32 v116, off, s1
	v_dual_mov_b32 v117, s17 :: v_dual_add_nc_u32 v115, -1, v115
	s_add_co_i32 s17, s17, 4
	s_wait_xcnt 0x0
	s_add_co_i32 s1, s1, 4
	ds_load_b32 v117, v117
	v_cmp_eq_u32_e32 vcc_lo, 0, v115
	s_or_b32 s16, vcc_lo, s16
	s_wait_loadcnt_dscnt 0x0
	v_fmac_f32_e32 v114, v116, v117
	s_and_not1_b32 exec_lo, exec_lo, s16
	s_cbranch_execnz .LBB54_153
; %bb.154:
	s_or_b32 exec_lo, exec_lo, s16
.LBB54_155:
	s_delay_alu instid0(SALU_CYCLE_1)
	s_or_b32 exec_lo, exec_lo, s15
	v_mov_b32_e32 v115, 0
	ds_load_b32 v115, v115 offset:152
	s_wait_dscnt 0x0
	v_mul_f32_e32 v114, v114, v115
	scratch_store_b32 off, v114, off offset:152
.LBB54_156:
	s_wait_xcnt 0x0
	s_or_b32 exec_lo, exec_lo, s2
	scratch_load_b32 v114, off, off offset:148
	v_cmp_lt_u32_e64 s1, 37, v0
	s_wait_loadcnt 0x0
	ds_store_b32 v1, v114
	s_wait_storecnt_dscnt 0x0
	s_barrier_signal -1
	s_barrier_wait -1
	s_wait_xcnt 0x0
	s_and_saveexec_b32 s2, s1
	s_cbranch_execz .LBB54_166
; %bb.157:
	s_and_not1_b32 vcc_lo, exec_lo, s3
	s_cbranch_vccnz .LBB54_159
; %bb.158:
	scratch_load_b32 v114, v7, off
	ds_load_b32 v115, v1
	s_wait_loadcnt_dscnt 0x0
	v_mul_f32_e32 v114, v114, v115
	s_cbranch_execz .LBB54_160
	s_branch .LBB54_161
.LBB54_159:
                                        ; implicit-def: $vgpr114
.LBB54_160:
	ds_load_b32 v114, v1
.LBB54_161:
	s_and_saveexec_b32 s15, s0
	s_cbranch_execz .LBB54_165
; %bb.162:
	v_subrev_nc_u32_e32 v115, 38, v0
	s_movk_i32 s0, 0x98
	s_movk_i32 s17, 0x178
	s_mov_b32 s16, 0
.LBB54_163:                             ; =>This Inner Loop Header: Depth=1
	scratch_load_b32 v116, off, s0
	v_dual_mov_b32 v117, s17 :: v_dual_add_nc_u32 v115, -1, v115
	s_add_co_i32 s17, s17, 4
	s_wait_xcnt 0x0
	s_add_co_i32 s0, s0, 4
	ds_load_b32 v117, v117
	v_cmp_eq_u32_e32 vcc_lo, 0, v115
	s_or_b32 s16, vcc_lo, s16
	s_wait_loadcnt_dscnt 0x0
	v_fmac_f32_e32 v114, v116, v117
	s_and_not1_b32 exec_lo, exec_lo, s16
	s_cbranch_execnz .LBB54_163
; %bb.164:
	s_or_b32 exec_lo, exec_lo, s16
.LBB54_165:
	s_delay_alu instid0(SALU_CYCLE_1)
	s_or_b32 exec_lo, exec_lo, s15
	v_mov_b32_e32 v115, 0
	ds_load_b32 v115, v115 offset:148
	s_wait_dscnt 0x0
	v_mul_f32_e32 v114, v114, v115
	scratch_store_b32 off, v114, off offset:148
.LBB54_166:
	;; [unrolled: 58-line block ×3, first 2 shown]
	s_wait_xcnt 0x0
	s_or_b32 exec_lo, exec_lo, s2
	scratch_load_b32 v114, off, off offset:140
	v_cmp_lt_u32_e64 s1, 35, v0
	s_wait_loadcnt 0x0
	ds_store_b32 v1, v114
	s_wait_storecnt_dscnt 0x0
	s_barrier_signal -1
	s_barrier_wait -1
	s_wait_xcnt 0x0
	s_and_saveexec_b32 s2, s1
	s_cbranch_execz .LBB54_186
; %bb.177:
	s_and_not1_b32 vcc_lo, exec_lo, s3
	s_cbranch_vccnz .LBB54_179
; %bb.178:
	scratch_load_b32 v114, v7, off
	ds_load_b32 v115, v1
	s_wait_loadcnt_dscnt 0x0
	v_mul_f32_e32 v114, v114, v115
	s_cbranch_execz .LBB54_180
	s_branch .LBB54_181
.LBB54_179:
                                        ; implicit-def: $vgpr114
.LBB54_180:
	ds_load_b32 v114, v1
.LBB54_181:
	s_and_saveexec_b32 s15, s0
	s_cbranch_execz .LBB54_185
; %bb.182:
	v_subrev_nc_u32_e32 v115, 36, v0
	s_movk_i32 s16, 0x170
	s_mov_b32 s0, 0
.LBB54_183:                             ; =>This Inner Loop Header: Depth=1
	scratch_load_b32 v116, off, s14
	v_dual_mov_b32 v117, s16 :: v_dual_add_nc_u32 v115, -1, v115
	s_add_co_i32 s16, s16, 4
	s_wait_xcnt 0x0
	s_add_co_i32 s14, s14, 4
	ds_load_b32 v117, v117
	v_cmp_eq_u32_e32 vcc_lo, 0, v115
	s_or_b32 s0, vcc_lo, s0
	s_wait_loadcnt_dscnt 0x0
	v_fmac_f32_e32 v114, v116, v117
	s_and_not1_b32 exec_lo, exec_lo, s0
	s_cbranch_execnz .LBB54_183
; %bb.184:
	s_or_b32 exec_lo, exec_lo, s0
.LBB54_185:
	s_delay_alu instid0(SALU_CYCLE_1)
	s_or_b32 exec_lo, exec_lo, s15
	v_mov_b32_e32 v115, 0
	ds_load_b32 v115, v115 offset:140
	s_wait_dscnt 0x0
	v_mul_f32_e32 v114, v114, v115
	scratch_store_b32 off, v114, off offset:140
.LBB54_186:
	s_wait_xcnt 0x0
	s_or_b32 exec_lo, exec_lo, s2
	scratch_load_b32 v114, off, off offset:136
	v_cmp_lt_u32_e64 s0, 34, v0
	s_wait_loadcnt 0x0
	ds_store_b32 v1, v114
	s_wait_storecnt_dscnt 0x0
	s_barrier_signal -1
	s_barrier_wait -1
	s_wait_xcnt 0x0
	s_and_saveexec_b32 s2, s0
	s_cbranch_execz .LBB54_196
; %bb.187:
	s_and_not1_b32 vcc_lo, exec_lo, s3
	s_cbranch_vccnz .LBB54_189
; %bb.188:
	scratch_load_b32 v114, v7, off
	ds_load_b32 v115, v1
	s_wait_loadcnt_dscnt 0x0
	v_mul_f32_e32 v114, v114, v115
	s_cbranch_execz .LBB54_190
	s_branch .LBB54_191
.LBB54_189:
                                        ; implicit-def: $vgpr114
.LBB54_190:
	ds_load_b32 v114, v1
.LBB54_191:
	s_and_saveexec_b32 s14, s1
	s_cbranch_execz .LBB54_195
; %bb.192:
	v_subrev_nc_u32_e32 v115, 35, v0
	s_movk_i32 s1, 0x8c
	s_movk_i32 s16, 0x16c
	s_mov_b32 s15, 0
.LBB54_193:                             ; =>This Inner Loop Header: Depth=1
	scratch_load_b32 v116, off, s1
	v_dual_mov_b32 v117, s16 :: v_dual_add_nc_u32 v115, -1, v115
	s_add_co_i32 s16, s16, 4
	s_wait_xcnt 0x0
	s_add_co_i32 s1, s1, 4
	ds_load_b32 v117, v117
	v_cmp_eq_u32_e32 vcc_lo, 0, v115
	s_or_b32 s15, vcc_lo, s15
	s_wait_loadcnt_dscnt 0x0
	v_fmac_f32_e32 v114, v116, v117
	s_and_not1_b32 exec_lo, exec_lo, s15
	s_cbranch_execnz .LBB54_193
; %bb.194:
	s_or_b32 exec_lo, exec_lo, s15
.LBB54_195:
	s_delay_alu instid0(SALU_CYCLE_1)
	s_or_b32 exec_lo, exec_lo, s14
	v_mov_b32_e32 v115, 0
	ds_load_b32 v115, v115 offset:136
	s_wait_dscnt 0x0
	v_mul_f32_e32 v114, v114, v115
	scratch_store_b32 off, v114, off offset:136
.LBB54_196:
	s_wait_xcnt 0x0
	s_or_b32 exec_lo, exec_lo, s2
	scratch_load_b32 v114, off, off offset:132
	v_cmp_lt_u32_e64 s1, 33, v0
	s_wait_loadcnt 0x0
	ds_store_b32 v1, v114
	s_wait_storecnt_dscnt 0x0
	s_barrier_signal -1
	s_barrier_wait -1
	s_wait_xcnt 0x0
	s_and_saveexec_b32 s2, s1
	s_cbranch_execz .LBB54_206
; %bb.197:
	s_and_not1_b32 vcc_lo, exec_lo, s3
	s_cbranch_vccnz .LBB54_199
; %bb.198:
	scratch_load_b32 v114, v7, off
	ds_load_b32 v115, v1
	s_wait_loadcnt_dscnt 0x0
	v_mul_f32_e32 v114, v114, v115
	s_cbranch_execz .LBB54_200
	s_branch .LBB54_201
.LBB54_199:
                                        ; implicit-def: $vgpr114
.LBB54_200:
	ds_load_b32 v114, v1
.LBB54_201:
	s_and_saveexec_b32 s14, s0
	s_cbranch_execz .LBB54_205
; %bb.202:
	v_subrev_nc_u32_e32 v115, 34, v0
	s_movk_i32 s0, 0x88
	s_movk_i32 s16, 0x168
	s_mov_b32 s15, 0
.LBB54_203:                             ; =>This Inner Loop Header: Depth=1
	scratch_load_b32 v116, off, s0
	v_dual_mov_b32 v117, s16 :: v_dual_add_nc_u32 v115, -1, v115
	s_add_co_i32 s16, s16, 4
	s_wait_xcnt 0x0
	s_add_co_i32 s0, s0, 4
	ds_load_b32 v117, v117
	v_cmp_eq_u32_e32 vcc_lo, 0, v115
	s_or_b32 s15, vcc_lo, s15
	s_wait_loadcnt_dscnt 0x0
	v_fmac_f32_e32 v114, v116, v117
	s_and_not1_b32 exec_lo, exec_lo, s15
	s_cbranch_execnz .LBB54_203
; %bb.204:
	s_or_b32 exec_lo, exec_lo, s15
.LBB54_205:
	s_delay_alu instid0(SALU_CYCLE_1)
	s_or_b32 exec_lo, exec_lo, s14
	v_mov_b32_e32 v115, 0
	ds_load_b32 v115, v115 offset:132
	s_wait_dscnt 0x0
	v_mul_f32_e32 v114, v114, v115
	scratch_store_b32 off, v114, off offset:132
.LBB54_206:
	;; [unrolled: 58-line block ×3, first 2 shown]
	s_wait_xcnt 0x0
	s_or_b32 exec_lo, exec_lo, s2
	scratch_load_b32 v114, off, off offset:124
	v_cmp_lt_u32_e64 s1, 31, v0
	s_wait_loadcnt 0x0
	ds_store_b32 v1, v114
	s_wait_storecnt_dscnt 0x0
	s_barrier_signal -1
	s_barrier_wait -1
	s_wait_xcnt 0x0
	s_and_saveexec_b32 s2, s1
	s_cbranch_execz .LBB54_226
; %bb.217:
	s_and_not1_b32 vcc_lo, exec_lo, s3
	s_cbranch_vccnz .LBB54_219
; %bb.218:
	scratch_load_b32 v114, v7, off
	ds_load_b32 v115, v1
	s_wait_loadcnt_dscnt 0x0
	v_mul_f32_e32 v114, v114, v115
	s_cbranch_execz .LBB54_220
	s_branch .LBB54_221
.LBB54_219:
                                        ; implicit-def: $vgpr114
.LBB54_220:
	ds_load_b32 v114, v1
.LBB54_221:
	s_and_saveexec_b32 s14, s0
	s_cbranch_execz .LBB54_225
; %bb.222:
	v_subrev_nc_u32_e32 v115, 32, v0
	s_movk_i32 s15, 0x160
	s_mov_b32 s0, 0
.LBB54_223:                             ; =>This Inner Loop Header: Depth=1
	scratch_load_b32 v116, off, s13
	v_dual_mov_b32 v117, s15 :: v_dual_add_nc_u32 v115, -1, v115
	s_add_co_i32 s15, s15, 4
	s_wait_xcnt 0x0
	s_add_co_i32 s13, s13, 4
	ds_load_b32 v117, v117
	v_cmp_eq_u32_e32 vcc_lo, 0, v115
	s_or_b32 s0, vcc_lo, s0
	s_wait_loadcnt_dscnt 0x0
	v_fmac_f32_e32 v114, v116, v117
	s_and_not1_b32 exec_lo, exec_lo, s0
	s_cbranch_execnz .LBB54_223
; %bb.224:
	s_or_b32 exec_lo, exec_lo, s0
.LBB54_225:
	s_delay_alu instid0(SALU_CYCLE_1)
	s_or_b32 exec_lo, exec_lo, s14
	v_mov_b32_e32 v115, 0
	ds_load_b32 v115, v115 offset:124
	s_wait_dscnt 0x0
	v_mul_f32_e32 v114, v114, v115
	scratch_store_b32 off, v114, off offset:124
.LBB54_226:
	s_wait_xcnt 0x0
	s_or_b32 exec_lo, exec_lo, s2
	scratch_load_b32 v114, off, off offset:120
	v_cmp_lt_u32_e64 s0, 30, v0
	s_wait_loadcnt 0x0
	ds_store_b32 v1, v114
	s_wait_storecnt_dscnt 0x0
	s_barrier_signal -1
	s_barrier_wait -1
	s_wait_xcnt 0x0
	s_and_saveexec_b32 s2, s0
	s_cbranch_execz .LBB54_236
; %bb.227:
	s_and_not1_b32 vcc_lo, exec_lo, s3
	s_cbranch_vccnz .LBB54_229
; %bb.228:
	scratch_load_b32 v114, v7, off
	ds_load_b32 v115, v1
	s_wait_loadcnt_dscnt 0x0
	v_mul_f32_e32 v114, v114, v115
	s_cbranch_execz .LBB54_230
	s_branch .LBB54_231
.LBB54_229:
                                        ; implicit-def: $vgpr114
.LBB54_230:
	ds_load_b32 v114, v1
.LBB54_231:
	s_and_saveexec_b32 s13, s1
	s_cbranch_execz .LBB54_235
; %bb.232:
	v_subrev_nc_u32_e32 v115, 31, v0
	s_movk_i32 s1, 0x7c
	s_movk_i32 s15, 0x15c
	s_mov_b32 s14, 0
.LBB54_233:                             ; =>This Inner Loop Header: Depth=1
	scratch_load_b32 v116, off, s1
	v_dual_mov_b32 v117, s15 :: v_dual_add_nc_u32 v115, -1, v115
	s_add_co_i32 s15, s15, 4
	s_wait_xcnt 0x0
	s_add_co_i32 s1, s1, 4
	ds_load_b32 v117, v117
	v_cmp_eq_u32_e32 vcc_lo, 0, v115
	s_or_b32 s14, vcc_lo, s14
	s_wait_loadcnt_dscnt 0x0
	v_fmac_f32_e32 v114, v116, v117
	s_and_not1_b32 exec_lo, exec_lo, s14
	s_cbranch_execnz .LBB54_233
; %bb.234:
	s_or_b32 exec_lo, exec_lo, s14
.LBB54_235:
	s_delay_alu instid0(SALU_CYCLE_1)
	s_or_b32 exec_lo, exec_lo, s13
	v_mov_b32_e32 v115, 0
	ds_load_b32 v115, v115 offset:120
	s_wait_dscnt 0x0
	v_mul_f32_e32 v114, v114, v115
	scratch_store_b32 off, v114, off offset:120
.LBB54_236:
	s_wait_xcnt 0x0
	s_or_b32 exec_lo, exec_lo, s2
	scratch_load_b32 v114, off, off offset:116
	v_cmp_lt_u32_e64 s1, 29, v0
	s_wait_loadcnt 0x0
	ds_store_b32 v1, v114
	s_wait_storecnt_dscnt 0x0
	s_barrier_signal -1
	s_barrier_wait -1
	s_wait_xcnt 0x0
	s_and_saveexec_b32 s2, s1
	s_cbranch_execz .LBB54_246
; %bb.237:
	s_and_not1_b32 vcc_lo, exec_lo, s3
	s_cbranch_vccnz .LBB54_239
; %bb.238:
	scratch_load_b32 v114, v7, off
	ds_load_b32 v115, v1
	s_wait_loadcnt_dscnt 0x0
	v_mul_f32_e32 v114, v114, v115
	s_cbranch_execz .LBB54_240
	s_branch .LBB54_241
.LBB54_239:
                                        ; implicit-def: $vgpr114
.LBB54_240:
	ds_load_b32 v114, v1
.LBB54_241:
	s_and_saveexec_b32 s13, s0
	s_cbranch_execz .LBB54_245
; %bb.242:
	v_subrev_nc_u32_e32 v115, 30, v0
	s_movk_i32 s0, 0x78
	s_movk_i32 s15, 0x158
	s_mov_b32 s14, 0
.LBB54_243:                             ; =>This Inner Loop Header: Depth=1
	scratch_load_b32 v116, off, s0
	v_dual_mov_b32 v117, s15 :: v_dual_add_nc_u32 v115, -1, v115
	s_add_co_i32 s15, s15, 4
	s_wait_xcnt 0x0
	s_add_co_i32 s0, s0, 4
	ds_load_b32 v117, v117
	v_cmp_eq_u32_e32 vcc_lo, 0, v115
	s_or_b32 s14, vcc_lo, s14
	s_wait_loadcnt_dscnt 0x0
	v_fmac_f32_e32 v114, v116, v117
	s_and_not1_b32 exec_lo, exec_lo, s14
	s_cbranch_execnz .LBB54_243
; %bb.244:
	s_or_b32 exec_lo, exec_lo, s14
.LBB54_245:
	s_delay_alu instid0(SALU_CYCLE_1)
	s_or_b32 exec_lo, exec_lo, s13
	v_mov_b32_e32 v115, 0
	ds_load_b32 v115, v115 offset:116
	s_wait_dscnt 0x0
	v_mul_f32_e32 v114, v114, v115
	scratch_store_b32 off, v114, off offset:116
.LBB54_246:
	;; [unrolled: 58-line block ×3, first 2 shown]
	s_wait_xcnt 0x0
	s_or_b32 exec_lo, exec_lo, s2
	scratch_load_b32 v114, off, off offset:108
	v_cmp_lt_u32_e64 s1, 27, v0
	s_wait_loadcnt 0x0
	ds_store_b32 v1, v114
	s_wait_storecnt_dscnt 0x0
	s_barrier_signal -1
	s_barrier_wait -1
	s_wait_xcnt 0x0
	s_and_saveexec_b32 s2, s1
	s_cbranch_execz .LBB54_266
; %bb.257:
	s_and_not1_b32 vcc_lo, exec_lo, s3
	s_cbranch_vccnz .LBB54_259
; %bb.258:
	scratch_load_b32 v114, v7, off
	ds_load_b32 v115, v1
	s_wait_loadcnt_dscnt 0x0
	v_mul_f32_e32 v114, v114, v115
	s_cbranch_execz .LBB54_260
	s_branch .LBB54_261
.LBB54_259:
                                        ; implicit-def: $vgpr114
.LBB54_260:
	ds_load_b32 v114, v1
.LBB54_261:
	s_and_saveexec_b32 s13, s0
	s_cbranch_execz .LBB54_265
; %bb.262:
	v_subrev_nc_u32_e32 v115, 28, v0
	s_movk_i32 s14, 0x150
	s_mov_b32 s0, 0
.LBB54_263:                             ; =>This Inner Loop Header: Depth=1
	scratch_load_b32 v116, off, s12
	v_dual_mov_b32 v117, s14 :: v_dual_add_nc_u32 v115, -1, v115
	s_add_co_i32 s14, s14, 4
	s_wait_xcnt 0x0
	s_add_co_i32 s12, s12, 4
	ds_load_b32 v117, v117
	v_cmp_eq_u32_e32 vcc_lo, 0, v115
	s_or_b32 s0, vcc_lo, s0
	s_wait_loadcnt_dscnt 0x0
	v_fmac_f32_e32 v114, v116, v117
	s_and_not1_b32 exec_lo, exec_lo, s0
	s_cbranch_execnz .LBB54_263
; %bb.264:
	s_or_b32 exec_lo, exec_lo, s0
.LBB54_265:
	s_delay_alu instid0(SALU_CYCLE_1)
	s_or_b32 exec_lo, exec_lo, s13
	v_mov_b32_e32 v115, 0
	ds_load_b32 v115, v115 offset:108
	s_wait_dscnt 0x0
	v_mul_f32_e32 v114, v114, v115
	scratch_store_b32 off, v114, off offset:108
.LBB54_266:
	s_wait_xcnt 0x0
	s_or_b32 exec_lo, exec_lo, s2
	scratch_load_b32 v114, off, off offset:104
	v_cmp_lt_u32_e64 s0, 26, v0
	s_wait_loadcnt 0x0
	ds_store_b32 v1, v114
	s_wait_storecnt_dscnt 0x0
	s_barrier_signal -1
	s_barrier_wait -1
	s_wait_xcnt 0x0
	s_and_saveexec_b32 s2, s0
	s_cbranch_execz .LBB54_276
; %bb.267:
	s_and_not1_b32 vcc_lo, exec_lo, s3
	s_cbranch_vccnz .LBB54_269
; %bb.268:
	scratch_load_b32 v114, v7, off
	ds_load_b32 v115, v1
	s_wait_loadcnt_dscnt 0x0
	v_mul_f32_e32 v114, v114, v115
	s_cbranch_execz .LBB54_270
	s_branch .LBB54_271
.LBB54_269:
                                        ; implicit-def: $vgpr114
.LBB54_270:
	ds_load_b32 v114, v1
.LBB54_271:
	s_and_saveexec_b32 s12, s1
	s_cbranch_execz .LBB54_275
; %bb.272:
	v_subrev_nc_u32_e32 v115, 27, v0
	s_movk_i32 s1, 0x6c
	s_movk_i32 s14, 0x14c
	s_mov_b32 s13, 0
.LBB54_273:                             ; =>This Inner Loop Header: Depth=1
	scratch_load_b32 v116, off, s1
	v_dual_mov_b32 v117, s14 :: v_dual_add_nc_u32 v115, -1, v115
	s_add_co_i32 s14, s14, 4
	s_wait_xcnt 0x0
	s_add_co_i32 s1, s1, 4
	ds_load_b32 v117, v117
	v_cmp_eq_u32_e32 vcc_lo, 0, v115
	s_or_b32 s13, vcc_lo, s13
	s_wait_loadcnt_dscnt 0x0
	v_fmac_f32_e32 v114, v116, v117
	s_and_not1_b32 exec_lo, exec_lo, s13
	s_cbranch_execnz .LBB54_273
; %bb.274:
	s_or_b32 exec_lo, exec_lo, s13
.LBB54_275:
	s_delay_alu instid0(SALU_CYCLE_1)
	s_or_b32 exec_lo, exec_lo, s12
	v_mov_b32_e32 v115, 0
	ds_load_b32 v115, v115 offset:104
	s_wait_dscnt 0x0
	v_mul_f32_e32 v114, v114, v115
	scratch_store_b32 off, v114, off offset:104
.LBB54_276:
	s_wait_xcnt 0x0
	s_or_b32 exec_lo, exec_lo, s2
	scratch_load_b32 v114, off, off offset:100
	v_cmp_lt_u32_e64 s1, 25, v0
	s_wait_loadcnt 0x0
	ds_store_b32 v1, v114
	s_wait_storecnt_dscnt 0x0
	s_barrier_signal -1
	s_barrier_wait -1
	s_wait_xcnt 0x0
	s_and_saveexec_b32 s2, s1
	s_cbranch_execz .LBB54_286
; %bb.277:
	s_and_not1_b32 vcc_lo, exec_lo, s3
	s_cbranch_vccnz .LBB54_279
; %bb.278:
	scratch_load_b32 v114, v7, off
	ds_load_b32 v115, v1
	s_wait_loadcnt_dscnt 0x0
	v_mul_f32_e32 v114, v114, v115
	s_cbranch_execz .LBB54_280
	s_branch .LBB54_281
.LBB54_279:
                                        ; implicit-def: $vgpr114
.LBB54_280:
	ds_load_b32 v114, v1
.LBB54_281:
	s_and_saveexec_b32 s12, s0
	s_cbranch_execz .LBB54_285
; %bb.282:
	v_subrev_nc_u32_e32 v115, 26, v0
	s_movk_i32 s0, 0x68
	s_movk_i32 s14, 0x148
	s_mov_b32 s13, 0
.LBB54_283:                             ; =>This Inner Loop Header: Depth=1
	scratch_load_b32 v116, off, s0
	v_dual_mov_b32 v117, s14 :: v_dual_add_nc_u32 v115, -1, v115
	s_add_co_i32 s14, s14, 4
	s_wait_xcnt 0x0
	s_add_co_i32 s0, s0, 4
	ds_load_b32 v117, v117
	v_cmp_eq_u32_e32 vcc_lo, 0, v115
	s_or_b32 s13, vcc_lo, s13
	s_wait_loadcnt_dscnt 0x0
	v_fmac_f32_e32 v114, v116, v117
	s_and_not1_b32 exec_lo, exec_lo, s13
	s_cbranch_execnz .LBB54_283
; %bb.284:
	s_or_b32 exec_lo, exec_lo, s13
.LBB54_285:
	s_delay_alu instid0(SALU_CYCLE_1)
	s_or_b32 exec_lo, exec_lo, s12
	v_mov_b32_e32 v115, 0
	ds_load_b32 v115, v115 offset:100
	s_wait_dscnt 0x0
	v_mul_f32_e32 v114, v114, v115
	scratch_store_b32 off, v114, off offset:100
.LBB54_286:
	;; [unrolled: 58-line block ×3, first 2 shown]
	s_wait_xcnt 0x0
	s_or_b32 exec_lo, exec_lo, s2
	scratch_load_b32 v114, off, off offset:92
	v_cmp_lt_u32_e64 s1, 23, v0
	s_wait_loadcnt 0x0
	ds_store_b32 v1, v114
	s_wait_storecnt_dscnt 0x0
	s_barrier_signal -1
	s_barrier_wait -1
	s_wait_xcnt 0x0
	s_and_saveexec_b32 s2, s1
	s_cbranch_execz .LBB54_306
; %bb.297:
	s_and_not1_b32 vcc_lo, exec_lo, s3
	s_cbranch_vccnz .LBB54_299
; %bb.298:
	scratch_load_b32 v114, v7, off
	ds_load_b32 v115, v1
	s_wait_loadcnt_dscnt 0x0
	v_mul_f32_e32 v114, v114, v115
	s_cbranch_execz .LBB54_300
	s_branch .LBB54_301
.LBB54_299:
                                        ; implicit-def: $vgpr114
.LBB54_300:
	ds_load_b32 v114, v1
.LBB54_301:
	s_and_saveexec_b32 s12, s0
	s_cbranch_execz .LBB54_305
; %bb.302:
	v_subrev_nc_u32_e32 v115, 24, v0
	s_movk_i32 s13, 0x140
	s_mov_b32 s0, 0
.LBB54_303:                             ; =>This Inner Loop Header: Depth=1
	scratch_load_b32 v116, off, s11
	v_dual_mov_b32 v117, s13 :: v_dual_add_nc_u32 v115, -1, v115
	s_add_co_i32 s13, s13, 4
	s_wait_xcnt 0x0
	s_add_co_i32 s11, s11, 4
	ds_load_b32 v117, v117
	v_cmp_eq_u32_e32 vcc_lo, 0, v115
	s_or_b32 s0, vcc_lo, s0
	s_wait_loadcnt_dscnt 0x0
	v_fmac_f32_e32 v114, v116, v117
	s_and_not1_b32 exec_lo, exec_lo, s0
	s_cbranch_execnz .LBB54_303
; %bb.304:
	s_or_b32 exec_lo, exec_lo, s0
.LBB54_305:
	s_delay_alu instid0(SALU_CYCLE_1)
	s_or_b32 exec_lo, exec_lo, s12
	v_mov_b32_e32 v115, 0
	ds_load_b32 v115, v115 offset:92
	s_wait_dscnt 0x0
	v_mul_f32_e32 v114, v114, v115
	scratch_store_b32 off, v114, off offset:92
.LBB54_306:
	s_wait_xcnt 0x0
	s_or_b32 exec_lo, exec_lo, s2
	scratch_load_b32 v114, off, off offset:88
	v_cmp_lt_u32_e64 s0, 22, v0
	s_wait_loadcnt 0x0
	ds_store_b32 v1, v114
	s_wait_storecnt_dscnt 0x0
	s_barrier_signal -1
	s_barrier_wait -1
	s_wait_xcnt 0x0
	s_and_saveexec_b32 s2, s0
	s_cbranch_execz .LBB54_316
; %bb.307:
	s_and_not1_b32 vcc_lo, exec_lo, s3
	s_cbranch_vccnz .LBB54_309
; %bb.308:
	scratch_load_b32 v114, v7, off
	ds_load_b32 v115, v1
	s_wait_loadcnt_dscnt 0x0
	v_mul_f32_e32 v114, v114, v115
	s_cbranch_execz .LBB54_310
	s_branch .LBB54_311
.LBB54_309:
                                        ; implicit-def: $vgpr114
.LBB54_310:
	ds_load_b32 v114, v1
.LBB54_311:
	s_and_saveexec_b32 s11, s1
	s_cbranch_execz .LBB54_315
; %bb.312:
	v_subrev_nc_u32_e32 v115, 23, v0
	s_movk_i32 s1, 0x5c
	s_movk_i32 s13, 0x13c
	s_mov_b32 s12, 0
.LBB54_313:                             ; =>This Inner Loop Header: Depth=1
	scratch_load_b32 v116, off, s1
	v_dual_mov_b32 v117, s13 :: v_dual_add_nc_u32 v115, -1, v115
	s_add_co_i32 s13, s13, 4
	s_wait_xcnt 0x0
	s_add_co_i32 s1, s1, 4
	ds_load_b32 v117, v117
	v_cmp_eq_u32_e32 vcc_lo, 0, v115
	s_or_b32 s12, vcc_lo, s12
	s_wait_loadcnt_dscnt 0x0
	v_fmac_f32_e32 v114, v116, v117
	s_and_not1_b32 exec_lo, exec_lo, s12
	s_cbranch_execnz .LBB54_313
; %bb.314:
	s_or_b32 exec_lo, exec_lo, s12
.LBB54_315:
	s_delay_alu instid0(SALU_CYCLE_1)
	s_or_b32 exec_lo, exec_lo, s11
	v_mov_b32_e32 v115, 0
	ds_load_b32 v115, v115 offset:88
	s_wait_dscnt 0x0
	v_mul_f32_e32 v114, v114, v115
	scratch_store_b32 off, v114, off offset:88
.LBB54_316:
	s_wait_xcnt 0x0
	s_or_b32 exec_lo, exec_lo, s2
	scratch_load_b32 v114, off, off offset:84
	v_cmp_lt_u32_e64 s1, 21, v0
	s_wait_loadcnt 0x0
	ds_store_b32 v1, v114
	s_wait_storecnt_dscnt 0x0
	s_barrier_signal -1
	s_barrier_wait -1
	s_wait_xcnt 0x0
	s_and_saveexec_b32 s2, s1
	s_cbranch_execz .LBB54_326
; %bb.317:
	s_and_not1_b32 vcc_lo, exec_lo, s3
	s_cbranch_vccnz .LBB54_319
; %bb.318:
	scratch_load_b32 v114, v7, off
	ds_load_b32 v115, v1
	s_wait_loadcnt_dscnt 0x0
	v_mul_f32_e32 v114, v114, v115
	s_cbranch_execz .LBB54_320
	s_branch .LBB54_321
.LBB54_319:
                                        ; implicit-def: $vgpr114
.LBB54_320:
	ds_load_b32 v114, v1
.LBB54_321:
	s_and_saveexec_b32 s11, s0
	s_cbranch_execz .LBB54_325
; %bb.322:
	v_subrev_nc_u32_e32 v115, 22, v0
	s_movk_i32 s0, 0x58
	s_movk_i32 s13, 0x138
	s_mov_b32 s12, 0
.LBB54_323:                             ; =>This Inner Loop Header: Depth=1
	scratch_load_b32 v116, off, s0
	v_dual_mov_b32 v117, s13 :: v_dual_add_nc_u32 v115, -1, v115
	s_add_co_i32 s13, s13, 4
	s_wait_xcnt 0x0
	s_add_co_i32 s0, s0, 4
	ds_load_b32 v117, v117
	v_cmp_eq_u32_e32 vcc_lo, 0, v115
	s_or_b32 s12, vcc_lo, s12
	s_wait_loadcnt_dscnt 0x0
	v_fmac_f32_e32 v114, v116, v117
	s_and_not1_b32 exec_lo, exec_lo, s12
	s_cbranch_execnz .LBB54_323
; %bb.324:
	s_or_b32 exec_lo, exec_lo, s12
.LBB54_325:
	s_delay_alu instid0(SALU_CYCLE_1)
	s_or_b32 exec_lo, exec_lo, s11
	v_mov_b32_e32 v115, 0
	ds_load_b32 v115, v115 offset:84
	s_wait_dscnt 0x0
	v_mul_f32_e32 v114, v114, v115
	scratch_store_b32 off, v114, off offset:84
.LBB54_326:
	;; [unrolled: 58-line block ×3, first 2 shown]
	s_wait_xcnt 0x0
	s_or_b32 exec_lo, exec_lo, s2
	scratch_load_b32 v114, off, off offset:76
	v_cmp_lt_u32_e64 s1, 19, v0
	s_wait_loadcnt 0x0
	ds_store_b32 v1, v114
	s_wait_storecnt_dscnt 0x0
	s_barrier_signal -1
	s_barrier_wait -1
	s_wait_xcnt 0x0
	s_and_saveexec_b32 s2, s1
	s_cbranch_execz .LBB54_346
; %bb.337:
	s_and_not1_b32 vcc_lo, exec_lo, s3
	s_cbranch_vccnz .LBB54_339
; %bb.338:
	scratch_load_b32 v114, v7, off
	ds_load_b32 v115, v1
	s_wait_loadcnt_dscnt 0x0
	v_mul_f32_e32 v114, v114, v115
	s_cbranch_execz .LBB54_340
	s_branch .LBB54_341
.LBB54_339:
                                        ; implicit-def: $vgpr114
.LBB54_340:
	ds_load_b32 v114, v1
.LBB54_341:
	s_and_saveexec_b32 s11, s0
	s_cbranch_execz .LBB54_345
; %bb.342:
	v_subrev_nc_u32_e32 v115, 20, v0
	s_movk_i32 s12, 0x130
	s_mov_b32 s0, 0
.LBB54_343:                             ; =>This Inner Loop Header: Depth=1
	scratch_load_b32 v116, off, s10
	v_dual_mov_b32 v117, s12 :: v_dual_add_nc_u32 v115, -1, v115
	s_add_co_i32 s12, s12, 4
	s_wait_xcnt 0x0
	s_add_co_i32 s10, s10, 4
	ds_load_b32 v117, v117
	v_cmp_eq_u32_e32 vcc_lo, 0, v115
	s_or_b32 s0, vcc_lo, s0
	s_wait_loadcnt_dscnt 0x0
	v_fmac_f32_e32 v114, v116, v117
	s_and_not1_b32 exec_lo, exec_lo, s0
	s_cbranch_execnz .LBB54_343
; %bb.344:
	s_or_b32 exec_lo, exec_lo, s0
.LBB54_345:
	s_delay_alu instid0(SALU_CYCLE_1)
	s_or_b32 exec_lo, exec_lo, s11
	v_mov_b32_e32 v115, 0
	ds_load_b32 v115, v115 offset:76
	s_wait_dscnt 0x0
	v_mul_f32_e32 v114, v114, v115
	scratch_store_b32 off, v114, off offset:76
.LBB54_346:
	s_wait_xcnt 0x0
	s_or_b32 exec_lo, exec_lo, s2
	scratch_load_b32 v114, off, off offset:72
	v_cmp_lt_u32_e64 s0, 18, v0
	s_wait_loadcnt 0x0
	ds_store_b32 v1, v114
	s_wait_storecnt_dscnt 0x0
	s_barrier_signal -1
	s_barrier_wait -1
	s_wait_xcnt 0x0
	s_and_saveexec_b32 s2, s0
	s_cbranch_execz .LBB54_356
; %bb.347:
	s_and_not1_b32 vcc_lo, exec_lo, s3
	s_cbranch_vccnz .LBB54_349
; %bb.348:
	scratch_load_b32 v114, v7, off
	ds_load_b32 v115, v1
	s_wait_loadcnt_dscnt 0x0
	v_mul_f32_e32 v114, v114, v115
	s_cbranch_execz .LBB54_350
	s_branch .LBB54_351
.LBB54_349:
                                        ; implicit-def: $vgpr114
.LBB54_350:
	ds_load_b32 v114, v1
.LBB54_351:
	s_and_saveexec_b32 s10, s1
	s_cbranch_execz .LBB54_355
; %bb.352:
	v_subrev_nc_u32_e32 v115, 19, v0
	s_movk_i32 s1, 0x4c
	s_movk_i32 s12, 0x12c
	s_mov_b32 s11, 0
.LBB54_353:                             ; =>This Inner Loop Header: Depth=1
	scratch_load_b32 v116, off, s1
	v_dual_mov_b32 v117, s12 :: v_dual_add_nc_u32 v115, -1, v115
	s_add_co_i32 s12, s12, 4
	s_wait_xcnt 0x0
	s_add_co_i32 s1, s1, 4
	ds_load_b32 v117, v117
	v_cmp_eq_u32_e32 vcc_lo, 0, v115
	s_or_b32 s11, vcc_lo, s11
	s_wait_loadcnt_dscnt 0x0
	v_fmac_f32_e32 v114, v116, v117
	s_and_not1_b32 exec_lo, exec_lo, s11
	s_cbranch_execnz .LBB54_353
; %bb.354:
	s_or_b32 exec_lo, exec_lo, s11
.LBB54_355:
	s_delay_alu instid0(SALU_CYCLE_1)
	s_or_b32 exec_lo, exec_lo, s10
	v_mov_b32_e32 v115, 0
	ds_load_b32 v115, v115 offset:72
	s_wait_dscnt 0x0
	v_mul_f32_e32 v114, v114, v115
	scratch_store_b32 off, v114, off offset:72
.LBB54_356:
	s_wait_xcnt 0x0
	s_or_b32 exec_lo, exec_lo, s2
	scratch_load_b32 v114, off, off offset:68
	v_cmp_lt_u32_e64 s1, 17, v0
	s_wait_loadcnt 0x0
	ds_store_b32 v1, v114
	s_wait_storecnt_dscnt 0x0
	s_barrier_signal -1
	s_barrier_wait -1
	s_wait_xcnt 0x0
	s_and_saveexec_b32 s2, s1
	s_cbranch_execz .LBB54_366
; %bb.357:
	s_and_not1_b32 vcc_lo, exec_lo, s3
	s_cbranch_vccnz .LBB54_359
; %bb.358:
	scratch_load_b32 v114, v7, off
	ds_load_b32 v115, v1
	s_wait_loadcnt_dscnt 0x0
	v_mul_f32_e32 v114, v114, v115
	s_cbranch_execz .LBB54_360
	s_branch .LBB54_361
.LBB54_359:
                                        ; implicit-def: $vgpr114
.LBB54_360:
	ds_load_b32 v114, v1
.LBB54_361:
	s_and_saveexec_b32 s10, s0
	s_cbranch_execz .LBB54_365
; %bb.362:
	v_subrev_nc_u32_e32 v115, 18, v0
	s_movk_i32 s0, 0x48
	s_movk_i32 s12, 0x128
	s_mov_b32 s11, 0
.LBB54_363:                             ; =>This Inner Loop Header: Depth=1
	scratch_load_b32 v116, off, s0
	v_dual_mov_b32 v117, s12 :: v_dual_add_nc_u32 v115, -1, v115
	s_add_co_i32 s12, s12, 4
	s_wait_xcnt 0x0
	s_add_co_i32 s0, s0, 4
	ds_load_b32 v117, v117
	v_cmp_eq_u32_e32 vcc_lo, 0, v115
	s_or_b32 s11, vcc_lo, s11
	s_wait_loadcnt_dscnt 0x0
	v_fmac_f32_e32 v114, v116, v117
	s_and_not1_b32 exec_lo, exec_lo, s11
	s_cbranch_execnz .LBB54_363
; %bb.364:
	s_or_b32 exec_lo, exec_lo, s11
.LBB54_365:
	s_delay_alu instid0(SALU_CYCLE_1)
	s_or_b32 exec_lo, exec_lo, s10
	v_mov_b32_e32 v115, 0
	ds_load_b32 v115, v115 offset:68
	s_wait_dscnt 0x0
	v_mul_f32_e32 v114, v114, v115
	scratch_store_b32 off, v114, off offset:68
.LBB54_366:
	;; [unrolled: 58-line block ×3, first 2 shown]
	s_wait_xcnt 0x0
	s_or_b32 exec_lo, exec_lo, s2
	scratch_load_b32 v114, off, off offset:60
	v_cmp_lt_u32_e64 s1, 15, v0
	s_wait_loadcnt 0x0
	ds_store_b32 v1, v114
	s_wait_storecnt_dscnt 0x0
	s_barrier_signal -1
	s_barrier_wait -1
	s_wait_xcnt 0x0
	s_and_saveexec_b32 s2, s1
	s_cbranch_execz .LBB54_386
; %bb.377:
	s_and_not1_b32 vcc_lo, exec_lo, s3
	s_cbranch_vccnz .LBB54_379
; %bb.378:
	scratch_load_b32 v114, v7, off
	ds_load_b32 v115, v1
	s_wait_loadcnt_dscnt 0x0
	v_mul_f32_e32 v114, v114, v115
	s_cbranch_execz .LBB54_380
	s_branch .LBB54_381
.LBB54_379:
                                        ; implicit-def: $vgpr114
.LBB54_380:
	ds_load_b32 v114, v1
.LBB54_381:
	s_and_saveexec_b32 s10, s0
	s_cbranch_execz .LBB54_385
; %bb.382:
	v_add_nc_u32_e32 v115, -16, v0
	s_movk_i32 s11, 0x120
	s_mov_b32 s0, 0
.LBB54_383:                             ; =>This Inner Loop Header: Depth=1
	scratch_load_b32 v116, off, s9
	v_dual_mov_b32 v117, s11 :: v_dual_add_nc_u32 v115, -1, v115
	s_add_co_i32 s11, s11, 4
	s_wait_xcnt 0x0
	s_add_co_i32 s9, s9, 4
	ds_load_b32 v117, v117
	v_cmp_eq_u32_e32 vcc_lo, 0, v115
	s_or_b32 s0, vcc_lo, s0
	s_wait_loadcnt_dscnt 0x0
	v_fmac_f32_e32 v114, v116, v117
	s_and_not1_b32 exec_lo, exec_lo, s0
	s_cbranch_execnz .LBB54_383
; %bb.384:
	s_or_b32 exec_lo, exec_lo, s0
.LBB54_385:
	s_delay_alu instid0(SALU_CYCLE_1)
	s_or_b32 exec_lo, exec_lo, s10
	v_mov_b32_e32 v115, 0
	ds_load_b32 v115, v115 offset:60
	s_wait_dscnt 0x0
	v_mul_f32_e32 v114, v114, v115
	scratch_store_b32 off, v114, off offset:60
.LBB54_386:
	s_wait_xcnt 0x0
	s_or_b32 exec_lo, exec_lo, s2
	scratch_load_b32 v114, off, off offset:56
	v_cmp_lt_u32_e64 s0, 14, v0
	s_wait_loadcnt 0x0
	ds_store_b32 v1, v114
	s_wait_storecnt_dscnt 0x0
	s_barrier_signal -1
	s_barrier_wait -1
	s_wait_xcnt 0x0
	s_and_saveexec_b32 s2, s0
	s_cbranch_execz .LBB54_396
; %bb.387:
	s_and_not1_b32 vcc_lo, exec_lo, s3
	s_cbranch_vccnz .LBB54_389
; %bb.388:
	scratch_load_b32 v114, v7, off
	ds_load_b32 v115, v1
	s_wait_loadcnt_dscnt 0x0
	v_mul_f32_e32 v114, v114, v115
	s_cbranch_execz .LBB54_390
	s_branch .LBB54_391
.LBB54_389:
                                        ; implicit-def: $vgpr114
.LBB54_390:
	ds_load_b32 v114, v1
.LBB54_391:
	s_and_saveexec_b32 s9, s1
	s_cbranch_execz .LBB54_395
; %bb.392:
	v_add_nc_u32_e32 v115, -15, v0
	s_mov_b32 s1, 60
	s_movk_i32 s11, 0x11c
	s_mov_b32 s10, 0
.LBB54_393:                             ; =>This Inner Loop Header: Depth=1
	scratch_load_b32 v116, off, s1
	v_dual_mov_b32 v117, s11 :: v_dual_add_nc_u32 v115, -1, v115
	s_add_co_i32 s11, s11, 4
	s_wait_xcnt 0x0
	s_add_co_i32 s1, s1, 4
	ds_load_b32 v117, v117
	v_cmp_eq_u32_e32 vcc_lo, 0, v115
	s_or_b32 s10, vcc_lo, s10
	s_wait_loadcnt_dscnt 0x0
	v_fmac_f32_e32 v114, v116, v117
	s_and_not1_b32 exec_lo, exec_lo, s10
	s_cbranch_execnz .LBB54_393
; %bb.394:
	s_or_b32 exec_lo, exec_lo, s10
.LBB54_395:
	s_delay_alu instid0(SALU_CYCLE_1)
	s_or_b32 exec_lo, exec_lo, s9
	v_mov_b32_e32 v115, 0
	ds_load_b32 v115, v115 offset:56
	s_wait_dscnt 0x0
	v_mul_f32_e32 v114, v114, v115
	scratch_store_b32 off, v114, off offset:56
.LBB54_396:
	s_wait_xcnt 0x0
	s_or_b32 exec_lo, exec_lo, s2
	scratch_load_b32 v114, off, off offset:52
	v_cmp_lt_u32_e64 s1, 13, v0
	s_wait_loadcnt 0x0
	ds_store_b32 v1, v114
	s_wait_storecnt_dscnt 0x0
	s_barrier_signal -1
	s_barrier_wait -1
	s_wait_xcnt 0x0
	s_and_saveexec_b32 s2, s1
	s_cbranch_execz .LBB54_406
; %bb.397:
	s_and_not1_b32 vcc_lo, exec_lo, s3
	s_cbranch_vccnz .LBB54_399
; %bb.398:
	scratch_load_b32 v114, v7, off
	ds_load_b32 v115, v1
	s_wait_loadcnt_dscnt 0x0
	v_mul_f32_e32 v114, v114, v115
	s_cbranch_execz .LBB54_400
	s_branch .LBB54_401
.LBB54_399:
                                        ; implicit-def: $vgpr114
.LBB54_400:
	ds_load_b32 v114, v1
.LBB54_401:
	s_and_saveexec_b32 s9, s0
	s_cbranch_execz .LBB54_405
; %bb.402:
	v_add_nc_u32_e32 v115, -14, v0
	s_mov_b32 s0, 56
	s_movk_i32 s11, 0x118
	s_mov_b32 s10, 0
.LBB54_403:                             ; =>This Inner Loop Header: Depth=1
	scratch_load_b32 v116, off, s0
	v_dual_mov_b32 v117, s11 :: v_dual_add_nc_u32 v115, -1, v115
	s_add_co_i32 s11, s11, 4
	s_wait_xcnt 0x0
	s_add_co_i32 s0, s0, 4
	ds_load_b32 v117, v117
	v_cmp_eq_u32_e32 vcc_lo, 0, v115
	s_or_b32 s10, vcc_lo, s10
	s_wait_loadcnt_dscnt 0x0
	v_fmac_f32_e32 v114, v116, v117
	s_and_not1_b32 exec_lo, exec_lo, s10
	s_cbranch_execnz .LBB54_403
; %bb.404:
	s_or_b32 exec_lo, exec_lo, s10
.LBB54_405:
	s_delay_alu instid0(SALU_CYCLE_1)
	s_or_b32 exec_lo, exec_lo, s9
	v_mov_b32_e32 v115, 0
	ds_load_b32 v115, v115 offset:52
	s_wait_dscnt 0x0
	v_mul_f32_e32 v114, v114, v115
	scratch_store_b32 off, v114, off offset:52
.LBB54_406:
	;; [unrolled: 58-line block ×3, first 2 shown]
	s_wait_xcnt 0x0
	s_or_b32 exec_lo, exec_lo, s2
	scratch_load_b32 v114, off, off offset:44
	v_cmp_lt_u32_e64 s1, 11, v0
	s_wait_loadcnt 0x0
	ds_store_b32 v1, v114
	s_wait_storecnt_dscnt 0x0
	s_barrier_signal -1
	s_barrier_wait -1
	s_wait_xcnt 0x0
	s_and_saveexec_b32 s2, s1
	s_cbranch_execz .LBB54_426
; %bb.417:
	s_and_not1_b32 vcc_lo, exec_lo, s3
	s_cbranch_vccnz .LBB54_419
; %bb.418:
	scratch_load_b32 v114, v7, off
	ds_load_b32 v115, v1
	s_wait_loadcnt_dscnt 0x0
	v_mul_f32_e32 v114, v114, v115
	s_cbranch_execz .LBB54_420
	s_branch .LBB54_421
.LBB54_419:
                                        ; implicit-def: $vgpr114
.LBB54_420:
	ds_load_b32 v114, v1
.LBB54_421:
	s_and_saveexec_b32 s9, s0
	s_cbranch_execz .LBB54_425
; %bb.422:
	v_add_nc_u32_e32 v115, -12, v0
	s_movk_i32 s10, 0x110
	s_mov_b32 s0, 0
.LBB54_423:                             ; =>This Inner Loop Header: Depth=1
	scratch_load_b32 v116, off, s8
	v_dual_mov_b32 v117, s10 :: v_dual_add_nc_u32 v115, -1, v115
	s_add_co_i32 s10, s10, 4
	s_wait_xcnt 0x0
	s_add_co_i32 s8, s8, 4
	ds_load_b32 v117, v117
	v_cmp_eq_u32_e32 vcc_lo, 0, v115
	s_or_b32 s0, vcc_lo, s0
	s_wait_loadcnt_dscnt 0x0
	v_fmac_f32_e32 v114, v116, v117
	s_and_not1_b32 exec_lo, exec_lo, s0
	s_cbranch_execnz .LBB54_423
; %bb.424:
	s_or_b32 exec_lo, exec_lo, s0
.LBB54_425:
	s_delay_alu instid0(SALU_CYCLE_1)
	s_or_b32 exec_lo, exec_lo, s9
	v_mov_b32_e32 v115, 0
	ds_load_b32 v115, v115 offset:44
	s_wait_dscnt 0x0
	v_mul_f32_e32 v114, v114, v115
	scratch_store_b32 off, v114, off offset:44
.LBB54_426:
	s_wait_xcnt 0x0
	s_or_b32 exec_lo, exec_lo, s2
	scratch_load_b32 v114, off, off offset:40
	v_cmp_lt_u32_e64 s0, 10, v0
	s_wait_loadcnt 0x0
	ds_store_b32 v1, v114
	s_wait_storecnt_dscnt 0x0
	s_barrier_signal -1
	s_barrier_wait -1
	s_wait_xcnt 0x0
	s_and_saveexec_b32 s2, s0
	s_cbranch_execz .LBB54_436
; %bb.427:
	s_and_not1_b32 vcc_lo, exec_lo, s3
	s_cbranch_vccnz .LBB54_429
; %bb.428:
	scratch_load_b32 v114, v7, off
	ds_load_b32 v115, v1
	s_wait_loadcnt_dscnt 0x0
	v_mul_f32_e32 v114, v114, v115
	s_cbranch_execz .LBB54_430
	s_branch .LBB54_431
.LBB54_429:
                                        ; implicit-def: $vgpr114
.LBB54_430:
	ds_load_b32 v114, v1
.LBB54_431:
	s_and_saveexec_b32 s8, s1
	s_cbranch_execz .LBB54_435
; %bb.432:
	v_add_nc_u32_e32 v115, -11, v0
	s_mov_b32 s1, 44
	s_movk_i32 s10, 0x10c
	s_mov_b32 s9, 0
.LBB54_433:                             ; =>This Inner Loop Header: Depth=1
	scratch_load_b32 v116, off, s1
	v_dual_mov_b32 v117, s10 :: v_dual_add_nc_u32 v115, -1, v115
	s_add_co_i32 s10, s10, 4
	s_wait_xcnt 0x0
	s_add_co_i32 s1, s1, 4
	ds_load_b32 v117, v117
	v_cmp_eq_u32_e32 vcc_lo, 0, v115
	s_or_b32 s9, vcc_lo, s9
	s_wait_loadcnt_dscnt 0x0
	v_fmac_f32_e32 v114, v116, v117
	s_and_not1_b32 exec_lo, exec_lo, s9
	s_cbranch_execnz .LBB54_433
; %bb.434:
	s_or_b32 exec_lo, exec_lo, s9
.LBB54_435:
	s_delay_alu instid0(SALU_CYCLE_1)
	s_or_b32 exec_lo, exec_lo, s8
	v_mov_b32_e32 v115, 0
	ds_load_b32 v115, v115 offset:40
	s_wait_dscnt 0x0
	v_mul_f32_e32 v114, v114, v115
	scratch_store_b32 off, v114, off offset:40
.LBB54_436:
	s_wait_xcnt 0x0
	s_or_b32 exec_lo, exec_lo, s2
	scratch_load_b32 v114, off, off offset:36
	v_cmp_lt_u32_e64 s1, 9, v0
	s_wait_loadcnt 0x0
	ds_store_b32 v1, v114
	s_wait_storecnt_dscnt 0x0
	s_barrier_signal -1
	s_barrier_wait -1
	s_wait_xcnt 0x0
	s_and_saveexec_b32 s2, s1
	s_cbranch_execz .LBB54_446
; %bb.437:
	s_and_not1_b32 vcc_lo, exec_lo, s3
	s_cbranch_vccnz .LBB54_439
; %bb.438:
	scratch_load_b32 v114, v7, off
	ds_load_b32 v115, v1
	s_wait_loadcnt_dscnt 0x0
	v_mul_f32_e32 v114, v114, v115
	s_cbranch_execz .LBB54_440
	s_branch .LBB54_441
.LBB54_439:
                                        ; implicit-def: $vgpr114
.LBB54_440:
	ds_load_b32 v114, v1
.LBB54_441:
	s_and_saveexec_b32 s8, s0
	s_cbranch_execz .LBB54_445
; %bb.442:
	v_add_nc_u32_e32 v115, -10, v0
	s_mov_b32 s0, 40
	s_movk_i32 s10, 0x108
	s_mov_b32 s9, 0
.LBB54_443:                             ; =>This Inner Loop Header: Depth=1
	scratch_load_b32 v116, off, s0
	v_dual_mov_b32 v117, s10 :: v_dual_add_nc_u32 v115, -1, v115
	s_add_co_i32 s10, s10, 4
	s_wait_xcnt 0x0
	s_add_co_i32 s0, s0, 4
	ds_load_b32 v117, v117
	v_cmp_eq_u32_e32 vcc_lo, 0, v115
	s_or_b32 s9, vcc_lo, s9
	s_wait_loadcnt_dscnt 0x0
	v_fmac_f32_e32 v114, v116, v117
	s_and_not1_b32 exec_lo, exec_lo, s9
	s_cbranch_execnz .LBB54_443
; %bb.444:
	s_or_b32 exec_lo, exec_lo, s9
.LBB54_445:
	s_delay_alu instid0(SALU_CYCLE_1)
	s_or_b32 exec_lo, exec_lo, s8
	v_mov_b32_e32 v115, 0
	ds_load_b32 v115, v115 offset:36
	s_wait_dscnt 0x0
	v_mul_f32_e32 v114, v114, v115
	scratch_store_b32 off, v114, off offset:36
.LBB54_446:
	;; [unrolled: 58-line block ×3, first 2 shown]
	s_wait_xcnt 0x0
	s_or_b32 exec_lo, exec_lo, s2
	scratch_load_b32 v114, off, off offset:28
	v_cmp_lt_u32_e64 s1, 7, v0
	s_wait_loadcnt 0x0
	ds_store_b32 v1, v114
	s_wait_storecnt_dscnt 0x0
	s_barrier_signal -1
	s_barrier_wait -1
	s_wait_xcnt 0x0
	s_and_saveexec_b32 s2, s1
	s_cbranch_execz .LBB54_466
; %bb.457:
	s_and_not1_b32 vcc_lo, exec_lo, s3
	s_cbranch_vccnz .LBB54_459
; %bb.458:
	scratch_load_b32 v114, v7, off
	ds_load_b32 v115, v1
	s_wait_loadcnt_dscnt 0x0
	v_mul_f32_e32 v114, v114, v115
	s_cbranch_execz .LBB54_460
	s_branch .LBB54_461
.LBB54_459:
                                        ; implicit-def: $vgpr114
.LBB54_460:
	ds_load_b32 v114, v1
.LBB54_461:
	s_and_saveexec_b32 s8, s0
	s_cbranch_execz .LBB54_465
; %bb.462:
	v_add_nc_u32_e32 v115, -8, v0
	s_movk_i32 s9, 0x100
	s_mov_b32 s0, 0
.LBB54_463:                             ; =>This Inner Loop Header: Depth=1
	scratch_load_b32 v116, off, s5
	v_dual_mov_b32 v117, s9 :: v_dual_add_nc_u32 v115, -1, v115
	s_add_co_i32 s9, s9, 4
	s_wait_xcnt 0x0
	s_add_co_i32 s5, s5, 4
	ds_load_b32 v117, v117
	v_cmp_eq_u32_e32 vcc_lo, 0, v115
	s_or_b32 s0, vcc_lo, s0
	s_wait_loadcnt_dscnt 0x0
	v_fmac_f32_e32 v114, v116, v117
	s_and_not1_b32 exec_lo, exec_lo, s0
	s_cbranch_execnz .LBB54_463
; %bb.464:
	s_or_b32 exec_lo, exec_lo, s0
.LBB54_465:
	s_delay_alu instid0(SALU_CYCLE_1)
	s_or_b32 exec_lo, exec_lo, s8
	v_mov_b32_e32 v115, 0
	ds_load_b32 v115, v115 offset:28
	s_wait_dscnt 0x0
	v_mul_f32_e32 v114, v114, v115
	scratch_store_b32 off, v114, off offset:28
.LBB54_466:
	s_wait_xcnt 0x0
	s_or_b32 exec_lo, exec_lo, s2
	scratch_load_b32 v114, off, off offset:24
	v_cmp_lt_u32_e64 s0, 6, v0
	s_wait_loadcnt 0x0
	ds_store_b32 v1, v114
	s_wait_storecnt_dscnt 0x0
	s_barrier_signal -1
	s_barrier_wait -1
	s_wait_xcnt 0x0
	s_and_saveexec_b32 s2, s0
	s_cbranch_execz .LBB54_476
; %bb.467:
	s_and_not1_b32 vcc_lo, exec_lo, s3
	s_cbranch_vccnz .LBB54_469
; %bb.468:
	scratch_load_b32 v114, v7, off
	ds_load_b32 v115, v1
	s_wait_loadcnt_dscnt 0x0
	v_mul_f32_e32 v114, v114, v115
	s_cbranch_execz .LBB54_470
	s_branch .LBB54_471
.LBB54_469:
                                        ; implicit-def: $vgpr114
.LBB54_470:
	ds_load_b32 v114, v1
.LBB54_471:
	s_and_saveexec_b32 s5, s1
	s_cbranch_execz .LBB54_475
; %bb.472:
	v_add_nc_u32_e32 v115, -7, v0
	s_mov_b32 s1, 28
	s_movk_i32 s9, 0xfc
	s_mov_b32 s8, 0
.LBB54_473:                             ; =>This Inner Loop Header: Depth=1
	scratch_load_b32 v116, off, s1
	v_dual_mov_b32 v117, s9 :: v_dual_add_nc_u32 v115, -1, v115
	s_add_co_i32 s9, s9, 4
	s_wait_xcnt 0x0
	s_add_co_i32 s1, s1, 4
	ds_load_b32 v117, v117
	v_cmp_eq_u32_e32 vcc_lo, 0, v115
	s_or_b32 s8, vcc_lo, s8
	s_wait_loadcnt_dscnt 0x0
	v_fmac_f32_e32 v114, v116, v117
	s_and_not1_b32 exec_lo, exec_lo, s8
	s_cbranch_execnz .LBB54_473
; %bb.474:
	s_or_b32 exec_lo, exec_lo, s8
.LBB54_475:
	s_delay_alu instid0(SALU_CYCLE_1)
	s_or_b32 exec_lo, exec_lo, s5
	v_mov_b32_e32 v115, 0
	ds_load_b32 v115, v115 offset:24
	s_wait_dscnt 0x0
	v_mul_f32_e32 v114, v114, v115
	scratch_store_b32 off, v114, off offset:24
.LBB54_476:
	s_wait_xcnt 0x0
	s_or_b32 exec_lo, exec_lo, s2
	scratch_load_b32 v114, off, off offset:20
	v_cmp_lt_u32_e64 s1, 5, v0
	s_wait_loadcnt 0x0
	ds_store_b32 v1, v114
	s_wait_storecnt_dscnt 0x0
	s_barrier_signal -1
	s_barrier_wait -1
	s_wait_xcnt 0x0
	s_and_saveexec_b32 s2, s1
	s_cbranch_execz .LBB54_486
; %bb.477:
	s_and_not1_b32 vcc_lo, exec_lo, s3
	s_cbranch_vccnz .LBB54_479
; %bb.478:
	scratch_load_b32 v114, v7, off
	ds_load_b32 v115, v1
	s_wait_loadcnt_dscnt 0x0
	v_mul_f32_e32 v114, v114, v115
	s_cbranch_execz .LBB54_480
	s_branch .LBB54_481
.LBB54_479:
                                        ; implicit-def: $vgpr114
.LBB54_480:
	ds_load_b32 v114, v1
.LBB54_481:
	s_and_saveexec_b32 s5, s0
	s_cbranch_execz .LBB54_485
; %bb.482:
	v_add_nc_u32_e32 v115, -6, v0
	s_mov_b32 s0, 24
	s_movk_i32 s9, 0xf8
	s_mov_b32 s8, 0
.LBB54_483:                             ; =>This Inner Loop Header: Depth=1
	scratch_load_b32 v116, off, s0
	v_dual_mov_b32 v117, s9 :: v_dual_add_nc_u32 v115, -1, v115
	s_add_co_i32 s9, s9, 4
	s_wait_xcnt 0x0
	s_add_co_i32 s0, s0, 4
	ds_load_b32 v117, v117
	v_cmp_eq_u32_e32 vcc_lo, 0, v115
	s_or_b32 s8, vcc_lo, s8
	s_wait_loadcnt_dscnt 0x0
	v_fmac_f32_e32 v114, v116, v117
	s_and_not1_b32 exec_lo, exec_lo, s8
	s_cbranch_execnz .LBB54_483
; %bb.484:
	s_or_b32 exec_lo, exec_lo, s8
.LBB54_485:
	s_delay_alu instid0(SALU_CYCLE_1)
	s_or_b32 exec_lo, exec_lo, s5
	v_mov_b32_e32 v115, 0
	ds_load_b32 v115, v115 offset:20
	s_wait_dscnt 0x0
	v_mul_f32_e32 v114, v114, v115
	scratch_store_b32 off, v114, off offset:20
.LBB54_486:
	;; [unrolled: 58-line block ×3, first 2 shown]
	s_wait_xcnt 0x0
	s_or_b32 exec_lo, exec_lo, s2
	scratch_load_b32 v114, off, off offset:12
	v_cmp_lt_u32_e64 s2, 3, v0
	s_wait_loadcnt 0x0
	ds_store_b32 v1, v114
	s_wait_storecnt_dscnt 0x0
	s_barrier_signal -1
	s_barrier_wait -1
	s_wait_xcnt 0x0
	s_and_saveexec_b32 s1, s2
	s_cbranch_execz .LBB54_506
; %bb.497:
	s_and_not1_b32 vcc_lo, exec_lo, s3
	s_cbranch_vccnz .LBB54_499
; %bb.498:
	scratch_load_b32 v114, v7, off
	ds_load_b32 v115, v1
	s_wait_loadcnt_dscnt 0x0
	v_mul_f32_e32 v114, v114, v115
	s_cbranch_execz .LBB54_500
	s_branch .LBB54_501
.LBB54_499:
                                        ; implicit-def: $vgpr114
.LBB54_500:
	ds_load_b32 v114, v1
.LBB54_501:
	s_and_saveexec_b32 s5, s0
	s_cbranch_execz .LBB54_505
; %bb.502:
	v_add_nc_u32_e32 v115, -4, v0
	s_movk_i32 s8, 0xf0
	s_mov_b32 s0, 0
.LBB54_503:                             ; =>This Inner Loop Header: Depth=1
	scratch_load_b32 v116, off, s4
	v_dual_mov_b32 v117, s8 :: v_dual_add_nc_u32 v115, -1, v115
	s_add_co_i32 s8, s8, 4
	s_wait_xcnt 0x0
	s_add_co_i32 s4, s4, 4
	ds_load_b32 v117, v117
	v_cmp_eq_u32_e32 vcc_lo, 0, v115
	s_or_b32 s0, vcc_lo, s0
	s_wait_loadcnt_dscnt 0x0
	v_fmac_f32_e32 v114, v116, v117
	s_and_not1_b32 exec_lo, exec_lo, s0
	s_cbranch_execnz .LBB54_503
; %bb.504:
	s_or_b32 exec_lo, exec_lo, s0
.LBB54_505:
	s_delay_alu instid0(SALU_CYCLE_1)
	s_or_b32 exec_lo, exec_lo, s5
	v_mov_b32_e32 v115, 0
	ds_load_b32 v115, v115 offset:12
	s_wait_dscnt 0x0
	v_mul_f32_e32 v114, v114, v115
	scratch_store_b32 off, v114, off offset:12
.LBB54_506:
	s_wait_xcnt 0x0
	s_or_b32 exec_lo, exec_lo, s1
	scratch_load_b32 v114, off, off offset:8
	v_cmp_lt_u32_e64 s1, 2, v0
	s_wait_loadcnt 0x0
	ds_store_b32 v1, v114
	s_wait_storecnt_dscnt 0x0
	s_barrier_signal -1
	s_barrier_wait -1
	s_wait_xcnt 0x0
	s_and_saveexec_b32 s0, s1
	s_cbranch_execz .LBB54_516
; %bb.507:
	s_and_not1_b32 vcc_lo, exec_lo, s3
	s_cbranch_vccnz .LBB54_509
; %bb.508:
	scratch_load_b32 v114, v7, off
	ds_load_b32 v115, v1
	s_wait_loadcnt_dscnt 0x0
	v_mul_f32_e32 v114, v114, v115
	s_cbranch_execz .LBB54_510
	s_branch .LBB54_511
.LBB54_509:
                                        ; implicit-def: $vgpr114
.LBB54_510:
	ds_load_b32 v114, v1
.LBB54_511:
	s_and_saveexec_b32 s4, s2
	s_cbranch_execz .LBB54_515
; %bb.512:
	v_add_nc_u32_e32 v115, -3, v0
	s_or_b32 s2, 0, 12
	s_movk_i32 s8, 0xec
	s_mov_b32 s5, 0
.LBB54_513:                             ; =>This Inner Loop Header: Depth=1
	scratch_load_b32 v116, off, s2
	v_dual_mov_b32 v117, s8 :: v_dual_add_nc_u32 v115, -1, v115
	s_add_co_i32 s8, s8, 4
	s_wait_xcnt 0x0
	s_add_co_i32 s2, s2, 4
	ds_load_b32 v117, v117
	v_cmp_eq_u32_e32 vcc_lo, 0, v115
	s_or_b32 s5, vcc_lo, s5
	s_wait_loadcnt_dscnt 0x0
	v_fmac_f32_e32 v114, v116, v117
	s_and_not1_b32 exec_lo, exec_lo, s5
	s_cbranch_execnz .LBB54_513
; %bb.514:
	s_or_b32 exec_lo, exec_lo, s5
.LBB54_515:
	s_delay_alu instid0(SALU_CYCLE_1)
	s_or_b32 exec_lo, exec_lo, s4
	v_mov_b32_e32 v115, 0
	ds_load_b32 v115, v115 offset:8
	s_wait_dscnt 0x0
	v_mul_f32_e32 v114, v114, v115
	scratch_store_b32 off, v114, off offset:8
.LBB54_516:
	s_wait_xcnt 0x0
	s_or_b32 exec_lo, exec_lo, s0
	scratch_load_b32 v114, off, off offset:4
	v_cmp_lt_u32_e64 s0, 1, v0
	s_wait_loadcnt 0x0
	ds_store_b32 v1, v114
	s_wait_storecnt_dscnt 0x0
	s_barrier_signal -1
	s_barrier_wait -1
	s_wait_xcnt 0x0
	s_and_saveexec_b32 s2, s0
	s_cbranch_execz .LBB54_526
; %bb.517:
	s_and_not1_b32 vcc_lo, exec_lo, s3
	s_cbranch_vccnz .LBB54_519
; %bb.518:
	scratch_load_b32 v114, v7, off
	ds_load_b32 v115, v1
	s_wait_loadcnt_dscnt 0x0
	v_mul_f32_e32 v114, v114, v115
	s_cbranch_execz .LBB54_520
	s_branch .LBB54_521
.LBB54_519:
                                        ; implicit-def: $vgpr114
.LBB54_520:
	ds_load_b32 v114, v1
.LBB54_521:
	s_and_saveexec_b32 s4, s1
	s_cbranch_execz .LBB54_525
; %bb.522:
	v_add_nc_u32_e32 v115, -2, v0
	s_or_b32 s1, 0, 8
	s_movk_i32 s8, 0xe8
	s_mov_b32 s5, 0
.LBB54_523:                             ; =>This Inner Loop Header: Depth=1
	scratch_load_b32 v116, off, s1
	v_dual_mov_b32 v117, s8 :: v_dual_add_nc_u32 v115, -1, v115
	s_add_co_i32 s8, s8, 4
	s_wait_xcnt 0x0
	s_add_co_i32 s1, s1, 4
	ds_load_b32 v117, v117
	v_cmp_eq_u32_e32 vcc_lo, 0, v115
	s_or_b32 s5, vcc_lo, s5
	s_wait_loadcnt_dscnt 0x0
	v_fmac_f32_e32 v114, v116, v117
	s_and_not1_b32 exec_lo, exec_lo, s5
	s_cbranch_execnz .LBB54_523
; %bb.524:
	s_or_b32 exec_lo, exec_lo, s5
.LBB54_525:
	s_delay_alu instid0(SALU_CYCLE_1)
	s_or_b32 exec_lo, exec_lo, s4
	v_mov_b32_e32 v115, 0
	ds_load_b32 v115, v115 offset:4
	s_wait_dscnt 0x0
	v_mul_f32_e32 v114, v114, v115
	scratch_store_b32 off, v114, off offset:4
.LBB54_526:
	s_wait_xcnt 0x0
	s_or_b32 exec_lo, exec_lo, s2
	scratch_load_b32 v114, off, off
	s_mov_b32 s1, 0
	s_mov_b32 s2, exec_lo
	s_wait_loadcnt 0x0
	ds_store_b32 v1, v114
	s_wait_storecnt_dscnt 0x0
	s_barrier_signal -1
	s_barrier_wait -1
	s_wait_xcnt 0x0
	v_cmpx_ne_u32_e32 0, v0
	s_cbranch_execz .LBB54_536
; %bb.527:
	s_and_not1_b32 vcc_lo, exec_lo, s3
	s_cbranch_vccnz .LBB54_529
; %bb.528:
	scratch_load_b32 v114, v7, off
	ds_load_b32 v115, v1
	s_wait_loadcnt_dscnt 0x0
	v_mul_f32_e32 v114, v114, v115
	s_cbranch_execz .LBB54_530
	s_branch .LBB54_531
.LBB54_529:
                                        ; implicit-def: $vgpr114
.LBB54_530:
	ds_load_b32 v114, v1
.LBB54_531:
	s_and_saveexec_b32 s4, s0
	s_cbranch_execz .LBB54_535
; %bb.532:
	v_add_nc_u32_e32 v115, -1, v0
	s_or_b32 s0, 0, 4
	s_movk_i32 s8, 0xe4
	s_mov_b32 s5, 0
.LBB54_533:                             ; =>This Inner Loop Header: Depth=1
	scratch_load_b32 v116, off, s0
	v_dual_mov_b32 v117, s8 :: v_dual_add_nc_u32 v115, -1, v115
	s_add_co_i32 s8, s8, 4
	s_wait_xcnt 0x0
	s_add_co_i32 s0, s0, 4
	ds_load_b32 v117, v117
	v_cmp_eq_u32_e32 vcc_lo, 0, v115
	s_or_b32 s5, vcc_lo, s5
	s_wait_loadcnt_dscnt 0x0
	v_fmac_f32_e32 v114, v116, v117
	s_and_not1_b32 exec_lo, exec_lo, s5
	s_cbranch_execnz .LBB54_533
; %bb.534:
	s_or_b32 exec_lo, exec_lo, s5
.LBB54_535:
	s_delay_alu instid0(SALU_CYCLE_1)
	s_or_b32 exec_lo, exec_lo, s4
	v_mov_b32_e32 v115, 0
	ds_load_b32 v115, v115
	s_wait_dscnt 0x0
	v_mul_f32_e32 v114, v114, v115
	scratch_store_b32 off, v114, off
.LBB54_536:
	s_wait_xcnt 0x0
	s_or_b32 exec_lo, exec_lo, s2
.LBB54_537:
	v_lshl_add_u64 v[138:139], v[8:9], 2, s[6:7]
	v_lshl_add_u64 v[136:137], v[10:11], 2, s[6:7]
	;; [unrolled: 1-line block ×53, first 2 shown]
	s_and_b32 vcc_lo, exec_lo, s1
	s_cbranch_vccz .LBB54_1069
; %bb.538:
	scratch_load_b32 v88, off, off offset:4
	v_cmp_eq_u32_e64 s0, 0, v0
	s_wait_loadcnt 0x0
	ds_store_b32 v1, v88
	s_wait_storecnt_dscnt 0x0
	s_barrier_signal -1
	s_barrier_wait -1
	s_wait_xcnt 0x0
	s_and_saveexec_b32 s1, s0
	s_cbranch_execz .LBB54_544
; %bb.539:
	s_and_b32 vcc_lo, exec_lo, s3
	s_cbranch_vccz .LBB54_541
; %bb.540:
	scratch_load_b32 v88, v7, off
	ds_load_b32 v89, v1
	s_wait_loadcnt_dscnt 0x0
	v_mul_f32_e32 v88, v88, v89
	s_cbranch_execz .LBB54_542
	s_branch .LBB54_543
.LBB54_541:
                                        ; implicit-def: $vgpr88
.LBB54_542:
	ds_load_b32 v88, v1
.LBB54_543:
	v_mov_b32_e32 v89, 0
	ds_load_b32 v89, v89 offset:4
	s_wait_dscnt 0x0
	v_mul_f32_e32 v88, v88, v89
	scratch_store_b32 off, v88, off offset:4
.LBB54_544:
	s_wait_xcnt 0x0
	s_or_b32 exec_lo, exec_lo, s1
	scratch_load_b32 v89, off, off offset:8
	v_cndmask_b32_e64 v88, 0, 1, s3
	s_mov_b32 s1, exec_lo
	s_wait_loadcnt 0x0
	ds_store_b32 v1, v89
	s_wait_storecnt_dscnt 0x0
	s_barrier_signal -1
	s_barrier_wait -1
	s_wait_xcnt 0x0
	v_cmpx_gt_u32_e32 2, v0
	s_cbranch_execz .LBB54_550
; %bb.545:
	s_and_not1_b32 vcc_lo, exec_lo, s3
	s_cbranch_vccnz .LBB54_547
; %bb.546:
	scratch_load_b32 v89, v7, off
	ds_load_b32 v90, v1
	s_wait_loadcnt_dscnt 0x0
	v_mul_f32_e32 v89, v89, v90
	s_cbranch_execz .LBB54_548
	s_branch .LBB54_549
.LBB54_547:
                                        ; implicit-def: $vgpr89
.LBB54_548:
	ds_load_b32 v89, v1
.LBB54_549:
	scratch_load_b32 v92, off, off offset:4
	v_mov_b32_e32 v90, 0
	ds_load_2addr_b32 v[90:91], v90 offset0:2 offset1:57
	s_wait_loadcnt_dscnt 0x0
	v_fma_f32 v91, v92, v91, v89
	s_delay_alu instid0(VALU_DEP_1) | instskip(NEXT) | instid1(VALU_DEP_1)
	v_cndmask_b32_e64 v89, v89, v91, s0
	v_mul_f32_e32 v89, v89, v90
	scratch_store_b32 off, v89, off offset:8
.LBB54_550:
	s_wait_xcnt 0x0
	s_or_b32 exec_lo, exec_lo, s1
	scratch_load_b32 v89, off, off offset:12
	s_mov_b32 s1, exec_lo
	s_wait_loadcnt 0x0
	ds_store_b32 v1, v89
	s_wait_storecnt_dscnt 0x0
	s_barrier_signal -1
	s_barrier_wait -1
	s_wait_xcnt 0x0
	v_cmpx_gt_u32_e32 3, v0
	s_cbranch_execz .LBB54_558
; %bb.551:
	v_cmp_ne_u32_e32 vcc_lo, 1, v88
	s_cbranch_vccnz .LBB54_553
; %bb.552:
	scratch_load_b32 v89, v7, off
	ds_load_b32 v90, v1
	s_wait_loadcnt_dscnt 0x0
	v_mul_f32_e32 v89, v89, v90
	s_cbranch_execz .LBB54_554
	s_branch .LBB54_555
.LBB54_553:
                                        ; implicit-def: $vgpr89
.LBB54_554:
	ds_load_b32 v89, v1
.LBB54_555:
	s_mov_b32 s2, exec_lo
	v_cmpx_ne_u32_e32 2, v0
	s_cbranch_execz .LBB54_557
; %bb.556:
	scratch_load_b32 v90, v7, off offset:4
	scratch_load_b32 v91, off, off offset:8
	ds_load_b32 v92, v1 offset:4
	v_mov_b32_e32 v93, 0
	ds_load_b32 v93, v93 offset:232
	s_wait_loadcnt_dscnt 0x101
	v_fmac_f32_e32 v89, v90, v92
	s_wait_loadcnt_dscnt 0x0
	s_delay_alu instid0(VALU_DEP_1) | instskip(NEXT) | instid1(VALU_DEP_1)
	v_fma_f32 v90, v91, v93, v89
	v_cndmask_b32_e64 v89, v89, v90, s0
.LBB54_557:
	s_or_b32 exec_lo, exec_lo, s2
	v_mov_b32_e32 v90, 0
	ds_load_b32 v90, v90 offset:12
	s_wait_dscnt 0x0
	v_mul_f32_e32 v89, v89, v90
	scratch_store_b32 off, v89, off offset:12
.LBB54_558:
	s_wait_xcnt 0x0
	s_or_b32 exec_lo, exec_lo, s1
	scratch_load_b32 v89, off, off offset:16
	s_mov_b32 s0, exec_lo
	s_wait_loadcnt 0x0
	ds_store_b32 v1, v89
	s_wait_storecnt_dscnt 0x0
	s_barrier_signal -1
	s_barrier_wait -1
	s_wait_xcnt 0x0
	v_cmpx_gt_u32_e32 4, v0
	s_cbranch_execz .LBB54_568
; %bb.559:
	v_cmp_ne_u32_e32 vcc_lo, 1, v88
	s_cbranch_vccnz .LBB54_561
; %bb.560:
	scratch_load_b32 v89, v7, off
	ds_load_b32 v90, v1
	s_wait_loadcnt_dscnt 0x0
	v_mul_f32_e32 v89, v89, v90
	s_cbranch_execz .LBB54_562
	s_branch .LBB54_563
.LBB54_561:
                                        ; implicit-def: $vgpr89
.LBB54_562:
	ds_load_b32 v89, v1
.LBB54_563:
	s_mov_b32 s1, exec_lo
	v_cmpx_ne_u32_e32 3, v0
	s_cbranch_execz .LBB54_567
; %bb.564:
	v_add_nc_u32_e32 v90, 0xe4, v6
	v_add3_u32 v91, 0, v6, 4
	v_mov_b32_e32 v92, v0
	s_mov_b32 s2, 0
.LBB54_565:                             ; =>This Inner Loop Header: Depth=1
	scratch_load_b32 v93, v91, off
	ds_load_b32 v94, v90
	v_dual_add_nc_u32 v92, 1, v92 :: v_dual_add_nc_u32 v90, 4, v90
	s_wait_xcnt 0x0
	v_add_nc_u32_e32 v91, 4, v91
	s_delay_alu instid0(VALU_DEP_2)
	v_cmp_lt_u32_e32 vcc_lo, 2, v92
	s_or_b32 s2, vcc_lo, s2
	s_wait_loadcnt_dscnt 0x0
	v_fmac_f32_e32 v89, v93, v94
	s_and_not1_b32 exec_lo, exec_lo, s2
	s_cbranch_execnz .LBB54_565
; %bb.566:
	s_or_b32 exec_lo, exec_lo, s2
.LBB54_567:
	s_delay_alu instid0(SALU_CYCLE_1)
	s_or_b32 exec_lo, exec_lo, s1
	v_mov_b32_e32 v90, 0
	ds_load_b32 v90, v90 offset:16
	s_wait_dscnt 0x0
	v_mul_f32_e32 v89, v89, v90
	scratch_store_b32 off, v89, off offset:16
.LBB54_568:
	s_wait_xcnt 0x0
	s_or_b32 exec_lo, exec_lo, s0
	scratch_load_b32 v89, off, off offset:20
	s_mov_b32 s0, exec_lo
	s_wait_loadcnt 0x0
	ds_store_b32 v1, v89
	s_wait_storecnt_dscnt 0x0
	s_barrier_signal -1
	s_barrier_wait -1
	s_wait_xcnt 0x0
	v_cmpx_gt_u32_e32 5, v0
	s_cbranch_execz .LBB54_578
; %bb.569:
	v_cmp_ne_u32_e32 vcc_lo, 1, v88
	s_cbranch_vccnz .LBB54_571
; %bb.570:
	scratch_load_b32 v89, v7, off
	ds_load_b32 v90, v1
	s_wait_loadcnt_dscnt 0x0
	v_mul_f32_e32 v89, v89, v90
	s_cbranch_execz .LBB54_572
	s_branch .LBB54_573
.LBB54_571:
                                        ; implicit-def: $vgpr89
.LBB54_572:
	ds_load_b32 v89, v1
.LBB54_573:
	s_mov_b32 s1, exec_lo
	v_cmpx_ne_u32_e32 4, v0
	s_cbranch_execz .LBB54_577
; %bb.574:
	v_add_nc_u32_e32 v90, 0xe4, v6
	v_add3_u32 v91, 0, v6, 4
	v_mov_b32_e32 v92, v0
	s_mov_b32 s2, 0
.LBB54_575:                             ; =>This Inner Loop Header: Depth=1
	scratch_load_b32 v93, v91, off
	ds_load_b32 v94, v90
	v_dual_add_nc_u32 v92, 1, v92 :: v_dual_add_nc_u32 v90, 4, v90
	s_wait_xcnt 0x0
	v_add_nc_u32_e32 v91, 4, v91
	s_delay_alu instid0(VALU_DEP_2)
	v_cmp_lt_u32_e32 vcc_lo, 3, v92
	s_or_b32 s2, vcc_lo, s2
	s_wait_loadcnt_dscnt 0x0
	v_fmac_f32_e32 v89, v93, v94
	s_and_not1_b32 exec_lo, exec_lo, s2
	s_cbranch_execnz .LBB54_575
; %bb.576:
	s_or_b32 exec_lo, exec_lo, s2
.LBB54_577:
	s_delay_alu instid0(SALU_CYCLE_1)
	s_or_b32 exec_lo, exec_lo, s1
	v_mov_b32_e32 v90, 0
	ds_load_b32 v90, v90 offset:20
	s_wait_dscnt 0x0
	v_mul_f32_e32 v89, v89, v90
	scratch_store_b32 off, v89, off offset:20
.LBB54_578:
	;; [unrolled: 59-line block ×44, first 2 shown]
	s_wait_xcnt 0x0
	s_or_b32 exec_lo, exec_lo, s0
	scratch_load_b32 v89, off, off offset:192
	s_mov_b32 s0, exec_lo
	s_wait_loadcnt 0x0
	ds_store_b32 v1, v89
	s_wait_storecnt_dscnt 0x0
	s_barrier_signal -1
	s_barrier_wait -1
	s_wait_xcnt 0x0
	v_cmpx_gt_u32_e32 48, v0
	s_cbranch_execz .LBB54_1008
; %bb.999:
	v_cmp_ne_u32_e32 vcc_lo, 1, v88
	s_cbranch_vccnz .LBB54_1001
; %bb.1000:
	scratch_load_b32 v89, v7, off
	ds_load_b32 v90, v1
	s_wait_loadcnt_dscnt 0x0
	v_mul_f32_e32 v89, v89, v90
	s_cbranch_execz .LBB54_1002
	s_branch .LBB54_1003
.LBB54_1001:
                                        ; implicit-def: $vgpr89
.LBB54_1002:
	ds_load_b32 v89, v1
.LBB54_1003:
	s_mov_b32 s1, exec_lo
	v_cmpx_ne_u32_e32 47, v0
	s_cbranch_execz .LBB54_1007
; %bb.1004:
	v_add_nc_u32_e32 v90, 0xe4, v6
	v_add3_u32 v91, 0, v6, 4
	v_mov_b32_e32 v92, v0
	s_mov_b32 s2, 0
.LBB54_1005:                            ; =>This Inner Loop Header: Depth=1
	scratch_load_b32 v93, v91, off
	ds_load_b32 v94, v90
	v_dual_add_nc_u32 v92, 1, v92 :: v_dual_add_nc_u32 v90, 4, v90
	s_wait_xcnt 0x0
	v_add_nc_u32_e32 v91, 4, v91
	s_delay_alu instid0(VALU_DEP_2)
	v_cmp_lt_u32_e32 vcc_lo, 46, v92
	s_or_b32 s2, vcc_lo, s2
	s_wait_loadcnt_dscnt 0x0
	v_fmac_f32_e32 v89, v93, v94
	s_and_not1_b32 exec_lo, exec_lo, s2
	s_cbranch_execnz .LBB54_1005
; %bb.1006:
	s_or_b32 exec_lo, exec_lo, s2
.LBB54_1007:
	s_delay_alu instid0(SALU_CYCLE_1)
	s_or_b32 exec_lo, exec_lo, s1
	v_mov_b32_e32 v90, 0
	ds_load_b32 v90, v90 offset:192
	s_wait_dscnt 0x0
	v_mul_f32_e32 v89, v89, v90
	scratch_store_b32 off, v89, off offset:192
.LBB54_1008:
	s_wait_xcnt 0x0
	s_or_b32 exec_lo, exec_lo, s0
	scratch_load_b32 v89, off, off offset:196
	s_mov_b32 s0, exec_lo
	s_wait_loadcnt 0x0
	ds_store_b32 v1, v89
	s_wait_storecnt_dscnt 0x0
	s_barrier_signal -1
	s_barrier_wait -1
	s_wait_xcnt 0x0
	v_cmpx_gt_u32_e32 49, v0
	s_cbranch_execz .LBB54_1018
; %bb.1009:
	v_cmp_ne_u32_e32 vcc_lo, 1, v88
	s_cbranch_vccnz .LBB54_1011
; %bb.1010:
	scratch_load_b32 v89, v7, off
	ds_load_b32 v90, v1
	s_wait_loadcnt_dscnt 0x0
	v_mul_f32_e32 v89, v89, v90
	s_cbranch_execz .LBB54_1012
	s_branch .LBB54_1013
.LBB54_1011:
                                        ; implicit-def: $vgpr89
.LBB54_1012:
	ds_load_b32 v89, v1
.LBB54_1013:
	s_mov_b32 s1, exec_lo
	v_cmpx_ne_u32_e32 48, v0
	s_cbranch_execz .LBB54_1017
; %bb.1014:
	v_add_nc_u32_e32 v90, 0xe4, v6
	v_add3_u32 v91, 0, v6, 4
	v_mov_b32_e32 v92, v0
	s_mov_b32 s2, 0
.LBB54_1015:                            ; =>This Inner Loop Header: Depth=1
	scratch_load_b32 v93, v91, off
	ds_load_b32 v94, v90
	v_dual_add_nc_u32 v92, 1, v92 :: v_dual_add_nc_u32 v90, 4, v90
	s_wait_xcnt 0x0
	v_add_nc_u32_e32 v91, 4, v91
	s_delay_alu instid0(VALU_DEP_2)
	v_cmp_lt_u32_e32 vcc_lo, 47, v92
	s_or_b32 s2, vcc_lo, s2
	s_wait_loadcnt_dscnt 0x0
	v_fmac_f32_e32 v89, v93, v94
	s_and_not1_b32 exec_lo, exec_lo, s2
	s_cbranch_execnz .LBB54_1015
; %bb.1016:
	s_or_b32 exec_lo, exec_lo, s2
.LBB54_1017:
	s_delay_alu instid0(SALU_CYCLE_1)
	s_or_b32 exec_lo, exec_lo, s1
	v_mov_b32_e32 v90, 0
	ds_load_b32 v90, v90 offset:196
	s_wait_dscnt 0x0
	v_mul_f32_e32 v89, v89, v90
	scratch_store_b32 off, v89, off offset:196
.LBB54_1018:
	;; [unrolled: 59-line block ×5, first 2 shown]
	s_wait_xcnt 0x0
	s_or_b32 exec_lo, exec_lo, s0
	scratch_load_b32 v89, off, off offset:212
	v_cmp_gt_u32_e64 s0, 53, v0
	s_wait_loadcnt 0x0
	ds_store_b32 v1, v89
	s_wait_storecnt_dscnt 0x0
	s_barrier_signal -1
	s_barrier_wait -1
	s_wait_xcnt 0x0
	s_and_saveexec_b32 s1, s0
	s_cbranch_execz .LBB54_1058
; %bb.1049:
	v_cmp_ne_u32_e32 vcc_lo, 1, v88
	s_cbranch_vccnz .LBB54_1051
; %bb.1050:
	scratch_load_b32 v89, v7, off
	ds_load_b32 v90, v1
	s_wait_loadcnt_dscnt 0x0
	v_mul_f32_e32 v89, v89, v90
	s_cbranch_execz .LBB54_1052
	s_branch .LBB54_1053
.LBB54_1051:
                                        ; implicit-def: $vgpr89
.LBB54_1052:
	ds_load_b32 v89, v1
.LBB54_1053:
	s_mov_b32 s2, exec_lo
	v_cmpx_ne_u32_e32 52, v0
	s_cbranch_execz .LBB54_1057
; %bb.1054:
	v_add_nc_u32_e32 v90, 0xe4, v6
	v_add3_u32 v91, 0, v6, 4
	v_mov_b32_e32 v92, v0
	s_mov_b32 s3, 0
.LBB54_1055:                            ; =>This Inner Loop Header: Depth=1
	scratch_load_b32 v93, v91, off
	ds_load_b32 v94, v90
	v_dual_add_nc_u32 v92, 1, v92 :: v_dual_add_nc_u32 v90, 4, v90
	s_wait_xcnt 0x0
	v_add_nc_u32_e32 v91, 4, v91
	s_delay_alu instid0(VALU_DEP_2)
	v_cmp_lt_u32_e32 vcc_lo, 51, v92
	s_or_b32 s3, vcc_lo, s3
	s_wait_loadcnt_dscnt 0x0
	v_fmac_f32_e32 v89, v93, v94
	s_and_not1_b32 exec_lo, exec_lo, s3
	s_cbranch_execnz .LBB54_1055
; %bb.1056:
	s_or_b32 exec_lo, exec_lo, s3
.LBB54_1057:
	s_delay_alu instid0(SALU_CYCLE_1)
	s_or_b32 exec_lo, exec_lo, s2
	v_mov_b32_e32 v90, 0
	ds_load_b32 v90, v90 offset:212
	s_wait_dscnt 0x0
	v_mul_f32_e32 v89, v89, v90
	scratch_store_b32 off, v89, off offset:212
.LBB54_1058:
	s_wait_xcnt 0x0
	s_or_b32 exec_lo, exec_lo, s1
	scratch_load_b32 v89, off, off offset:216
	s_mov_b32 s1, exec_lo
	s_wait_loadcnt 0x0
	ds_store_b32 v1, v89
	s_wait_storecnt_dscnt 0x0
	s_barrier_signal -1
	s_barrier_wait -1
	s_wait_xcnt 0x0
	v_cmpx_ne_u32_e32 54, v0
	s_cbranch_execz .LBB54_1068
; %bb.1059:
	v_cmp_ne_u32_e32 vcc_lo, 1, v88
	s_cbranch_vccnz .LBB54_1061
; %bb.1060:
	scratch_load_b32 v7, v7, off
	ds_load_b32 v88, v1
	s_wait_loadcnt_dscnt 0x0
	v_mul_f32_e32 v7, v7, v88
	s_cbranch_execz .LBB54_1062
	s_branch .LBB54_1063
.LBB54_1061:
                                        ; implicit-def: $vgpr7
.LBB54_1062:
	ds_load_b32 v7, v1
.LBB54_1063:
	s_and_saveexec_b32 s2, s0
	s_cbranch_execz .LBB54_1067
; %bb.1064:
	v_add_nc_u32_e32 v1, 0xe4, v6
	v_add3_u32 v6, 0, v6, 4
	s_mov_b32 s0, 0
.LBB54_1065:                            ; =>This Inner Loop Header: Depth=1
	scratch_load_b32 v88, v6, off
	ds_load_b32 v89, v1
	v_dual_add_nc_u32 v0, 1, v0 :: v_dual_add_nc_u32 v1, 4, v1
	s_wait_xcnt 0x0
	v_add_nc_u32_e32 v6, 4, v6
	s_delay_alu instid0(VALU_DEP_2)
	v_cmp_lt_u32_e32 vcc_lo, 52, v0
	s_or_b32 s0, vcc_lo, s0
	s_wait_loadcnt_dscnt 0x0
	v_fmac_f32_e32 v7, v88, v89
	s_and_not1_b32 exec_lo, exec_lo, s0
	s_cbranch_execnz .LBB54_1065
; %bb.1066:
	s_or_b32 exec_lo, exec_lo, s0
.LBB54_1067:
	s_delay_alu instid0(SALU_CYCLE_1)
	s_or_b32 exec_lo, exec_lo, s2
	v_mov_b32_e32 v0, 0
	ds_load_b32 v0, v0 offset:216
	s_wait_dscnt 0x0
	v_mul_f32_e32 v0, v7, v0
	scratch_store_b32 off, v0, off offset:216
.LBB54_1068:
	s_wait_xcnt 0x0
	s_or_b32 exec_lo, exec_lo, s1
.LBB54_1069:
	s_clause 0x2
	scratch_load_b128 v[88:91], off, off
	scratch_load_b128 v[92:95], off, off offset:16
	scratch_load_b128 v[96:99], off, off offset:32
	s_wait_loadcnt 0x2
	global_store_b32 v[2:3], v88, off
	scratch_load_b128 v[0:3], off, off offset:48
	s_clause 0x1
	global_store_b32 v[4:5], v89, off
	global_store_b32 v[138:139], v90, off
	scratch_load_b128 v[4:7], off, off offset:64
	global_store_b32 v[136:137], v91, off
	s_clause 0x1
	scratch_load_b128 v[88:91], off, off offset:80
	scratch_load_b128 v[100:103], off, off offset:96
	s_wait_loadcnt 0x5
	s_clause 0x2
	global_store_b32 v[134:135], v92, off
	global_store_b32 v[130:131], v93, off
	;; [unrolled: 1-line block ×3, first 2 shown]
	scratch_load_b128 v[104:107], off, off offset:112
	global_store_b32 v[128:129], v95, off
	s_clause 0x1
	scratch_load_b128 v[92:95], off, off offset:128
	scratch_load_b128 v[108:111], off, off offset:144
	s_wait_loadcnt 0x7
	s_clause 0x2
	global_store_b32 v[126:127], v96, off
	global_store_b32 v[122:123], v97, off
	;; [unrolled: 1-line block ×3, first 2 shown]
	scratch_load_b128 v[122:125], off, off offset:160
	global_store_b32 v[120:121], v99, off
	scratch_load_b128 v[96:99], off, off offset:176
	s_wait_loadcnt 0x8
	global_store_b32 v[118:119], v0, off
	scratch_load_b128 v[118:121], off, off offset:192
	s_clause 0x1
	global_store_b32 v[114:115], v1, off
	global_store_b32 v[116:117], v2, off
	scratch_load_b96 v[0:2], off, off offset:208
	global_store_b32 v[8:9], v3, off
	s_wait_loadcnt 0x9
	s_clause 0x3
	global_store_b32 v[10:11], v4, off
	global_store_b32 v[12:13], v5, off
	global_store_b32 v[14:15], v6, off
	global_store_b32 v[16:17], v7, off
	s_wait_loadcnt 0x8
	s_clause 0x3
	global_store_b32 v[18:19], v88, off
	global_store_b32 v[20:21], v89, off
	global_store_b32 v[22:23], v90, off
	;; [unrolled: 6-line block ×10, first 2 shown]
.LBB54_1070:
	s_sendmsg sendmsg(MSG_DEALLOC_VGPRS)
	s_endpgm
	.section	.rodata,"a",@progbits
	.p2align	6, 0x0
	.amdhsa_kernel _ZN9rocsolver6v33100L18trti2_kernel_smallILi55EfPfEEv13rocblas_fill_17rocblas_diagonal_T1_iil
		.amdhsa_group_segment_fixed_size 444
		.amdhsa_private_segment_fixed_size 224
		.amdhsa_kernarg_size 32
		.amdhsa_user_sgpr_count 2
		.amdhsa_user_sgpr_dispatch_ptr 0
		.amdhsa_user_sgpr_queue_ptr 0
		.amdhsa_user_sgpr_kernarg_segment_ptr 1
		.amdhsa_user_sgpr_dispatch_id 0
		.amdhsa_user_sgpr_kernarg_preload_length 0
		.amdhsa_user_sgpr_kernarg_preload_offset 0
		.amdhsa_user_sgpr_private_segment_size 0
		.amdhsa_wavefront_size32 1
		.amdhsa_uses_dynamic_stack 0
		.amdhsa_enable_private_segment 1
		.amdhsa_system_sgpr_workgroup_id_x 1
		.amdhsa_system_sgpr_workgroup_id_y 0
		.amdhsa_system_sgpr_workgroup_id_z 0
		.amdhsa_system_sgpr_workgroup_info 0
		.amdhsa_system_vgpr_workitem_id 0
		.amdhsa_next_free_vgpr 140
		.amdhsa_next_free_sgpr 21
		.amdhsa_named_barrier_count 0
		.amdhsa_reserve_vcc 1
		.amdhsa_float_round_mode_32 0
		.amdhsa_float_round_mode_16_64 0
		.amdhsa_float_denorm_mode_32 3
		.amdhsa_float_denorm_mode_16_64 3
		.amdhsa_fp16_overflow 0
		.amdhsa_memory_ordered 1
		.amdhsa_forward_progress 1
		.amdhsa_inst_pref_size 240
		.amdhsa_round_robin_scheduling 0
		.amdhsa_exception_fp_ieee_invalid_op 0
		.amdhsa_exception_fp_denorm_src 0
		.amdhsa_exception_fp_ieee_div_zero 0
		.amdhsa_exception_fp_ieee_overflow 0
		.amdhsa_exception_fp_ieee_underflow 0
		.amdhsa_exception_fp_ieee_inexact 0
		.amdhsa_exception_int_div_zero 0
	.end_amdhsa_kernel
	.section	.text._ZN9rocsolver6v33100L18trti2_kernel_smallILi55EfPfEEv13rocblas_fill_17rocblas_diagonal_T1_iil,"axG",@progbits,_ZN9rocsolver6v33100L18trti2_kernel_smallILi55EfPfEEv13rocblas_fill_17rocblas_diagonal_T1_iil,comdat
.Lfunc_end54:
	.size	_ZN9rocsolver6v33100L18trti2_kernel_smallILi55EfPfEEv13rocblas_fill_17rocblas_diagonal_T1_iil, .Lfunc_end54-_ZN9rocsolver6v33100L18trti2_kernel_smallILi55EfPfEEv13rocblas_fill_17rocblas_diagonal_T1_iil
                                        ; -- End function
	.set _ZN9rocsolver6v33100L18trti2_kernel_smallILi55EfPfEEv13rocblas_fill_17rocblas_diagonal_T1_iil.num_vgpr, 140
	.set _ZN9rocsolver6v33100L18trti2_kernel_smallILi55EfPfEEv13rocblas_fill_17rocblas_diagonal_T1_iil.num_agpr, 0
	.set _ZN9rocsolver6v33100L18trti2_kernel_smallILi55EfPfEEv13rocblas_fill_17rocblas_diagonal_T1_iil.numbered_sgpr, 21
	.set _ZN9rocsolver6v33100L18trti2_kernel_smallILi55EfPfEEv13rocblas_fill_17rocblas_diagonal_T1_iil.num_named_barrier, 0
	.set _ZN9rocsolver6v33100L18trti2_kernel_smallILi55EfPfEEv13rocblas_fill_17rocblas_diagonal_T1_iil.private_seg_size, 224
	.set _ZN9rocsolver6v33100L18trti2_kernel_smallILi55EfPfEEv13rocblas_fill_17rocblas_diagonal_T1_iil.uses_vcc, 1
	.set _ZN9rocsolver6v33100L18trti2_kernel_smallILi55EfPfEEv13rocblas_fill_17rocblas_diagonal_T1_iil.uses_flat_scratch, 1
	.set _ZN9rocsolver6v33100L18trti2_kernel_smallILi55EfPfEEv13rocblas_fill_17rocblas_diagonal_T1_iil.has_dyn_sized_stack, 0
	.set _ZN9rocsolver6v33100L18trti2_kernel_smallILi55EfPfEEv13rocblas_fill_17rocblas_diagonal_T1_iil.has_recursion, 0
	.set _ZN9rocsolver6v33100L18trti2_kernel_smallILi55EfPfEEv13rocblas_fill_17rocblas_diagonal_T1_iil.has_indirect_call, 0
	.section	.AMDGPU.csdata,"",@progbits
; Kernel info:
; codeLenInByte = 30608
; TotalNumSgprs: 23
; NumVgprs: 140
; ScratchSize: 224
; MemoryBound: 0
; FloatMode: 240
; IeeeMode: 1
; LDSByteSize: 444 bytes/workgroup (compile time only)
; SGPRBlocks: 0
; VGPRBlocks: 8
; NumSGPRsForWavesPerEU: 23
; NumVGPRsForWavesPerEU: 140
; NamedBarCnt: 0
; Occupancy: 7
; WaveLimiterHint : 0
; COMPUTE_PGM_RSRC2:SCRATCH_EN: 1
; COMPUTE_PGM_RSRC2:USER_SGPR: 2
; COMPUTE_PGM_RSRC2:TRAP_HANDLER: 0
; COMPUTE_PGM_RSRC2:TGID_X_EN: 1
; COMPUTE_PGM_RSRC2:TGID_Y_EN: 0
; COMPUTE_PGM_RSRC2:TGID_Z_EN: 0
; COMPUTE_PGM_RSRC2:TIDIG_COMP_CNT: 0
	.section	.text._ZN9rocsolver6v33100L18trti2_kernel_smallILi56EfPfEEv13rocblas_fill_17rocblas_diagonal_T1_iil,"axG",@progbits,_ZN9rocsolver6v33100L18trti2_kernel_smallILi56EfPfEEv13rocblas_fill_17rocblas_diagonal_T1_iil,comdat
	.globl	_ZN9rocsolver6v33100L18trti2_kernel_smallILi56EfPfEEv13rocblas_fill_17rocblas_diagonal_T1_iil ; -- Begin function _ZN9rocsolver6v33100L18trti2_kernel_smallILi56EfPfEEv13rocblas_fill_17rocblas_diagonal_T1_iil
	.p2align	8
	.type	_ZN9rocsolver6v33100L18trti2_kernel_smallILi56EfPfEEv13rocblas_fill_17rocblas_diagonal_T1_iil,@function
_ZN9rocsolver6v33100L18trti2_kernel_smallILi56EfPfEEv13rocblas_fill_17rocblas_diagonal_T1_iil: ; @_ZN9rocsolver6v33100L18trti2_kernel_smallILi56EfPfEEv13rocblas_fill_17rocblas_diagonal_T1_iil
; %bb.0:
	s_mov_b32 s2, exec_lo
	v_cmpx_gt_u32_e32 56, v0
	s_cbranch_execz .LBB55_1090
; %bb.1:
	s_load_b256 s[4:11], s[0:1], 0x0
	s_wait_xcnt 0x0
	s_bfe_u32 s0, ttmp6, 0x4000c
	s_and_b32 s1, ttmp6, 15
	s_add_co_i32 s0, s0, 1
	s_getreg_b32 s2, hwreg(HW_REG_IB_STS2, 6, 4)
	s_mul_i32 s0, ttmp9, s0
	v_mov_b32_e32 v7, 0
	s_add_co_i32 s0, s1, s0
	v_lshlrev_b32_e32 v6, 2, v0
	s_wait_kmcnt 0x0
	v_add3_u32 v8, s9, s9, v0
	s_ashr_i32 s1, s8, 31
	s_cmp_eq_u32 s2, 0
	s_cselect_b32 s2, ttmp9, s0
	s_delay_alu instid0(VALU_DEP_1)
	v_add_nc_u32_e32 v10, s9, v8
	s_ashr_i32 s3, s2, 31
	s_mov_b32 s0, s8
	s_mul_u64 s[2:3], s[10:11], s[2:3]
	s_lshl_b64 s[0:1], s[0:1], 2
	v_add_nc_u32_e32 v12, s9, v10
	s_lshl_b64 s[2:3], s[2:3], 2
	v_ashrrev_i32_e32 v9, 31, v8
	s_add_nc_u64 s[2:3], s[6:7], s[2:3]
	s_delay_alu instid0(VALU_DEP_2)
	v_add_nc_u32_e32 v14, s9, v12
	s_add_nc_u64 s[6:7], s[2:3], s[0:1]
	s_mov_b32 s0, s9
	v_add_nc_u64_e32 v[2:3], s[6:7], v[6:7]
	s_ashr_i32 s1, s9, 31
	v_add_nc_u32_e32 v16, s9, v14
	v_ashrrev_i32_e32 v11, 31, v10
	s_cmp_lg_u32 s5, 0x84
	s_cselect_b32 s3, -1, 0
	s_delay_alu instid0(VALU_DEP_2) | instskip(SKIP_3) | instid1(VALU_DEP_3)
	v_add_nc_u32_e32 v18, s9, v16
	v_lshl_add_u64 v[4:5], s[0:1], 2, v[2:3]
	v_ashrrev_i32_e32 v13, 31, v12
	s_cmp_eq_u32 s5, 0x84
	v_add_nc_u32_e32 v20, s9, v18
	s_clause 0x7
	global_load_b32 v92, v0, s[6:7] scale_offset
	global_load_b32 v94, v8, s[6:7] scale_offset
	;; [unrolled: 1-line block ×7, first 2 shown]
	global_load_b32 v93, v[4:5], off
	v_ashrrev_i32_e32 v19, 31, v18
	v_dual_ashrrev_i32 v15, 31, v14 :: v_dual_add_nc_u32 v22, s9, v20
	s_delay_alu instid0(VALU_DEP_1) | instskip(NEXT) | instid1(VALU_DEP_1)
	v_add_nc_u32_e32 v24, s9, v22
	v_add_nc_u32_e32 v26, s9, v24
	s_delay_alu instid0(VALU_DEP_1) | instskip(NEXT) | instid1(VALU_DEP_1)
	v_dual_add_nc_u32 v28, s9, v26 :: v_dual_ashrrev_i32 v17, 31, v16
	v_dual_ashrrev_i32 v23, 31, v22 :: v_dual_add_nc_u32 v30, s9, v28
	s_delay_alu instid0(VALU_DEP_1) | instskip(SKIP_1) | instid1(VALU_DEP_1)
	v_dual_ashrrev_i32 v25, 31, v24 :: v_dual_ashrrev_i32 v31, 31, v30
	v_dual_add_nc_u32 v32, s9, v30 :: v_dual_ashrrev_i32 v21, 31, v20
	v_dual_ashrrev_i32 v27, 31, v26 :: v_dual_add_nc_u32 v34, s9, v32
	s_clause 0x7
	global_load_b32 v100, v20, s[6:7] scale_offset
	global_load_b32 v101, v22, s[6:7] scale_offset
	global_load_b32 v102, v24, s[6:7] scale_offset
	global_load_b32 v103, v26, s[6:7] scale_offset
	global_load_b32 v104, v28, s[6:7] scale_offset
	global_load_b32 v105, v30, s[6:7] scale_offset
	global_load_b32 v106, v32, s[6:7] scale_offset
	global_load_b32 v107, v34, s[6:7] scale_offset
	v_dual_ashrrev_i32 v29, 31, v28 :: v_dual_ashrrev_i32 v35, 31, v34
	v_add_nc_u32_e32 v36, s9, v34
	s_delay_alu instid0(VALU_DEP_1) | instskip(NEXT) | instid1(VALU_DEP_1)
	v_add_nc_u32_e32 v38, s9, v36
	v_add_nc_u32_e32 v40, s9, v38
	s_delay_alu instid0(VALU_DEP_1) | instskip(NEXT) | instid1(VALU_DEP_1)
	v_add_nc_u32_e32 v42, s9, v40
	v_dual_add_nc_u32 v44, s9, v42 :: v_dual_ashrrev_i32 v33, 31, v32
	s_delay_alu instid0(VALU_DEP_1) | instskip(NEXT) | instid1(VALU_DEP_1)
	v_dual_ashrrev_i32 v39, 31, v38 :: v_dual_add_nc_u32 v46, s9, v44
	v_dual_ashrrev_i32 v41, 31, v40 :: v_dual_ashrrev_i32 v47, 31, v46
	v_dual_add_nc_u32 v48, s9, v46 :: v_dual_ashrrev_i32 v37, 31, v36
	s_delay_alu instid0(VALU_DEP_1) | instskip(NEXT) | instid1(VALU_DEP_1)
	v_dual_ashrrev_i32 v43, 31, v42 :: v_dual_add_nc_u32 v50, s9, v48
	v_add_nc_u32_e32 v52, s9, v50
	s_delay_alu instid0(VALU_DEP_1) | instskip(NEXT) | instid1(VALU_DEP_1)
	v_add_nc_u32_e32 v54, s9, v52
	v_add_nc_u32_e32 v56, s9, v54
	s_clause 0x7
	global_load_b32 v108, v36, s[6:7] scale_offset
	global_load_b32 v109, v38, s[6:7] scale_offset
	;; [unrolled: 1-line block ×8, first 2 shown]
	v_dual_ashrrev_i32 v45, 31, v44 :: v_dual_ashrrev_i32 v51, 31, v50
	v_add_nc_u32_e32 v58, s9, v56
	s_delay_alu instid0(VALU_DEP_1)
	v_dual_ashrrev_i32 v53, 31, v52 :: v_dual_ashrrev_i32 v59, 31, v58
	v_add_nc_u32_e32 v60, s9, v58
	s_clause 0x3
	global_load_b32 v116, v52, s[6:7] scale_offset
	global_load_b32 v117, v54, s[6:7] scale_offset
	;; [unrolled: 1-line block ×4, first 2 shown]
	v_dual_ashrrev_i32 v49, 31, v48 :: v_dual_ashrrev_i32 v55, 31, v54
	v_add_nc_u32_e32 v62, s9, v60
	s_delay_alu instid0(VALU_DEP_1) | instskip(NEXT) | instid1(VALU_DEP_1)
	v_add_nc_u32_e32 v64, s9, v62
	v_add_nc_u32_e32 v66, s9, v64
	s_delay_alu instid0(VALU_DEP_1) | instskip(NEXT) | instid1(VALU_DEP_1)
	v_dual_add_nc_u32 v68, s9, v66 :: v_dual_ashrrev_i32 v57, 31, v56
	v_dual_ashrrev_i32 v63, 31, v62 :: v_dual_add_nc_u32 v70, s9, v68
	s_delay_alu instid0(VALU_DEP_1)
	v_dual_ashrrev_i32 v65, 31, v64 :: v_dual_ashrrev_i32 v71, 31, v70
	v_add_nc_u32_e32 v72, s9, v70
	s_clause 0x3
	global_load_b32 v120, v60, s[6:7] scale_offset
	global_load_b32 v121, v62, s[6:7] scale_offset
	;; [unrolled: 1-line block ×4, first 2 shown]
	v_dual_ashrrev_i32 v61, 31, v60 :: v_dual_ashrrev_i32 v67, 31, v66
	v_add_nc_u32_e32 v74, s9, v72
	s_delay_alu instid0(VALU_DEP_1) | instskip(NEXT) | instid1(VALU_DEP_1)
	v_add_nc_u32_e32 v76, s9, v74
	v_add_nc_u32_e32 v78, s9, v76
	s_delay_alu instid0(VALU_DEP_1) | instskip(NEXT) | instid1(VALU_DEP_1)
	v_dual_add_nc_u32 v80, s9, v78 :: v_dual_ashrrev_i32 v69, 31, v68
	v_dual_ashrrev_i32 v75, 31, v74 :: v_dual_add_nc_u32 v82, s9, v80
	s_delay_alu instid0(VALU_DEP_1) | instskip(SKIP_1) | instid1(VALU_DEP_1)
	v_dual_ashrrev_i32 v77, 31, v76 :: v_dual_ashrrev_i32 v83, 31, v82
	v_dual_add_nc_u32 v84, s9, v82 :: v_dual_ashrrev_i32 v73, 31, v72
	v_dual_ashrrev_i32 v79, 31, v78 :: v_dual_add_nc_u32 v86, s9, v84
	s_delay_alu instid0(VALU_DEP_1) | instskip(NEXT) | instid1(VALU_DEP_1)
	v_add_nc_u32_e32 v88, s9, v86
	v_add_nc_u32_e32 v90, s9, v88
	s_wait_loadcnt 0x19
	scratch_store_b128 off, v[96:99], off offset:16
	s_wait_loadcnt 0x18
	scratch_store_b128 off, v[92:95], off
	s_wait_xcnt 0x0
	v_add_nc_u32_e32 v92, s9, v90
	s_clause 0x3
	global_load_b32 v124, v68, s[6:7] scale_offset
	global_load_b32 v125, v70, s[6:7] scale_offset
	;; [unrolled: 1-line block ×4, first 2 shown]
	v_dual_ashrrev_i32 v81, 31, v80 :: v_dual_ashrrev_i32 v87, 31, v86
	v_add_nc_u32_e32 v94, s9, v92
	s_delay_alu instid0(VALU_DEP_1) | instskip(SKIP_1) | instid1(VALU_DEP_1)
	v_dual_ashrrev_i32 v89, 31, v88 :: v_dual_ashrrev_i32 v95, 31, v94
	v_dual_add_nc_u32 v96, s9, v94 :: v_dual_ashrrev_i32 v85, 31, v84
	v_dual_ashrrev_i32 v91, 31, v90 :: v_dual_add_nc_u32 v98, s9, v96
	s_wait_loadcnt 0x18
	scratch_store_b128 off, v[100:103], off offset:32
	s_wait_xcnt 0x0
	v_add_nc_u32_e32 v100, s9, v98
	s_wait_loadcnt 0x14
	scratch_store_b128 off, v[104:107], off offset:48
	s_clause 0x3
	global_load_b32 v128, v76, s[6:7] scale_offset
	global_load_b32 v129, v78, s[6:7] scale_offset
	;; [unrolled: 1-line block ×4, first 2 shown]
	v_add_nc_u32_e32 v102, s9, v100
	s_wait_loadcnt 0x14
	scratch_store_b128 off, v[108:111], off offset:64
	s_wait_loadcnt 0x10
	scratch_store_b128 off, v[112:115], off offset:80
	s_wait_xcnt 0x6
	v_add_nc_u32_e32 v104, s9, v102
	s_clause 0x7
	global_load_b32 v132, v84, s[6:7] scale_offset
	global_load_b32 v133, v86, s[6:7] scale_offset
	;; [unrolled: 1-line block ×8, first 2 shown]
	v_dual_ashrrev_i32 v93, 31, v92 :: v_dual_ashrrev_i32 v99, 31, v98
	v_add_nc_u32_e32 v106, s9, v104
	s_delay_alu instid0(VALU_DEP_1)
	v_dual_ashrrev_i32 v101, 31, v100 :: v_dual_ashrrev_i32 v107, 31, v106
	s_wait_xcnt 0x9
	v_add_nc_u32_e32 v108, s9, v106
	s_wait_loadcnt 0x14
	scratch_store_b128 off, v[116:119], off offset:96
	v_dual_ashrrev_i32 v97, 31, v96 :: v_dual_ashrrev_i32 v103, 31, v102
	s_wait_xcnt 0x0
	v_dual_mov_b32 v116, -1.0 :: v_dual_add_nc_u32 v110, s9, v108
	s_delay_alu instid0(VALU_DEP_1) | instskip(SKIP_1) | instid1(VALU_DEP_1)
	v_dual_ashrrev_i32 v105, 31, v104 :: v_dual_ashrrev_i32 v111, 31, v110
	v_add_nc_u32_e32 v112, s9, v110
	v_add_nc_u32_e32 v114, s9, v112
	v_ashrrev_i32_e32 v109, 31, v108
	s_delay_alu instid0(VALU_DEP_2)
	v_dual_ashrrev_i32 v113, 31, v112 :: v_dual_ashrrev_i32 v115, 31, v114
	s_wait_loadcnt 0x10
	scratch_store_b128 off, v[120:123], off offset:112
	s_wait_loadcnt 0xc
	scratch_store_b128 off, v[124:127], off offset:128
	;; [unrolled: 2-line block ×5, first 2 shown]
	s_clause 0x7
	global_load_b32 v118, v100, s[6:7] scale_offset
	global_load_b32 v119, v102, s[6:7] scale_offset
	;; [unrolled: 1-line block ×8, first 2 shown]
	s_wait_loadcnt 0x4
	scratch_store_b128 off, v[118:121], off offset:192
	s_wait_loadcnt 0x0
	scratch_store_b128 off, v[122:125], off offset:208
	s_cbranch_scc1 .LBB55_3
; %bb.2:
	scratch_load_b32 v1, v0, off scale_offset
	s_wait_loadcnt 0x0
	v_div_scale_f32 v7, null, v1, v1, 1.0
	s_delay_alu instid0(VALU_DEP_1) | instskip(SKIP_1) | instid1(TRANS32_DEP_1)
	v_rcp_f32_e32 v116, v7
	v_nop
	v_fma_f32 v117, -v7, v116, 1.0
	s_delay_alu instid0(VALU_DEP_1) | instskip(SKIP_2) | instid1(VALU_DEP_1)
	v_fmac_f32_e32 v116, v117, v116
	v_div_scale_f32 v117, vcc_lo, 1.0, v1, 1.0
	s_wait_xcnt 0x2
	v_mul_f32_e32 v118, v117, v116
	s_delay_alu instid0(VALU_DEP_1) | instskip(NEXT) | instid1(VALU_DEP_1)
	v_fma_f32 v119, -v7, v118, v117
	v_fmac_f32_e32 v118, v119, v116
	s_delay_alu instid0(VALU_DEP_1) | instskip(NEXT) | instid1(VALU_DEP_1)
	v_fma_f32 v7, -v7, v118, v117
	v_div_fmas_f32 v7, v7, v116, v118
	s_delay_alu instid0(VALU_DEP_1) | instskip(NEXT) | instid1(VALU_DEP_1)
	v_div_fixup_f32 v1, v7, v1, 1.0
	v_xor_b32_e32 v116, 0x80000000, v1
	scratch_store_b32 v0, v1, off scale_offset
.LBB55_3:
	s_wait_xcnt 0x0
	v_add_nc_u32_e32 v1, 0xe0, v6
	v_mov_b32_e32 v7, v6
	s_cmp_eq_u32 s4, 0x79
	s_mov_b32 s1, -1
	ds_store_b32 v6, v116
	s_cbranch_scc1 .LBB55_547
; %bb.4:
	scratch_load_b32 v116, off, off offset:216
	v_cmp_eq_u32_e64 s0, 55, v0
	s_movk_i32 s1, 0x50
	s_movk_i32 s10, 0x60
	;; [unrolled: 1-line block ×9, first 2 shown]
	s_wait_loadcnt 0x0
	ds_store_b32 v1, v116
	s_wait_storecnt_dscnt 0x0
	s_barrier_signal -1
	s_barrier_wait -1
	s_wait_xcnt 0x0
	s_and_saveexec_b32 s2, s0
	s_cbranch_execz .LBB55_10
; %bb.5:
	s_and_b32 vcc_lo, exec_lo, s3
	s_cbranch_vccz .LBB55_7
; %bb.6:
	scratch_load_b32 v116, v7, off
	ds_load_b32 v117, v1
	s_wait_loadcnt_dscnt 0x0
	v_mul_f32_e32 v116, v116, v117
	s_cbranch_execz .LBB55_8
	s_branch .LBB55_9
.LBB55_7:
                                        ; implicit-def: $vgpr116
.LBB55_8:
	ds_load_b32 v116, v1
.LBB55_9:
	v_mov_b32_e32 v117, 0
	ds_load_b32 v117, v117 offset:216
	s_wait_dscnt 0x0
	v_mul_f32_e32 v116, v116, v117
	scratch_store_b32 off, v116, off offset:216
.LBB55_10:
	s_wait_xcnt 0x0
	s_or_b32 exec_lo, exec_lo, s2
	scratch_load_b32 v116, off, off offset:212
	s_mov_b32 s9, s1
	v_cmp_lt_u32_e64 s1, 53, v0
	s_mov_b32 s4, 16
	s_mov_b32 s2, 32
	;; [unrolled: 1-line block ×4, first 2 shown]
	s_wait_loadcnt 0x0
	ds_store_b32 v1, v116
	s_wait_storecnt_dscnt 0x0
	s_barrier_signal -1
	s_barrier_wait -1
	s_wait_xcnt 0x0
	s_and_saveexec_b32 s18, s1
	s_cbranch_execz .LBB55_16
; %bb.11:
	s_and_not1_b32 vcc_lo, exec_lo, s3
	s_cbranch_vccnz .LBB55_13
; %bb.12:
	scratch_load_b32 v116, v7, off
	ds_load_b32 v117, v1
	s_wait_loadcnt_dscnt 0x0
	v_mul_f32_e32 v116, v116, v117
	s_cbranch_execz .LBB55_14
	s_branch .LBB55_15
.LBB55_13:
                                        ; implicit-def: $vgpr116
.LBB55_14:
	ds_load_b32 v116, v1
.LBB55_15:
	scratch_load_b32 v117, off, off offset:216
	v_mov_b32_e32 v118, 0
	ds_load_2addr_b32 v[118:119], v118 offset0:53 offset1:110
	s_wait_loadcnt_dscnt 0x0
	v_fma_f32 v117, v117, v119, v116
	s_delay_alu instid0(VALU_DEP_1) | instskip(NEXT) | instid1(VALU_DEP_1)
	v_cndmask_b32_e64 v116, v116, v117, s0
	v_mul_f32_e32 v116, v116, v118
	scratch_store_b32 off, v116, off offset:212
.LBB55_16:
	s_wait_xcnt 0x0
	s_or_b32 exec_lo, exec_lo, s18
	scratch_load_b32 v116, off, off offset:208
	v_cmp_lt_u32_e64 s0, 52, v0
	s_wait_loadcnt 0x0
	ds_store_b32 v1, v116
	s_wait_storecnt_dscnt 0x0
	s_barrier_signal -1
	s_barrier_wait -1
	s_wait_xcnt 0x0
	s_and_saveexec_b32 s18, s0
	s_cbranch_execz .LBB55_26
; %bb.17:
	s_and_not1_b32 vcc_lo, exec_lo, s3
	s_cbranch_vccnz .LBB55_19
; %bb.18:
	scratch_load_b32 v116, v7, off
	ds_load_b32 v117, v1
	s_wait_loadcnt_dscnt 0x0
	v_mul_f32_e32 v116, v116, v117
	s_cbranch_execz .LBB55_20
	s_branch .LBB55_21
.LBB55_19:
                                        ; implicit-def: $vgpr116
.LBB55_20:
	ds_load_b32 v116, v1
.LBB55_21:
	s_and_saveexec_b32 s19, s1
	s_cbranch_execz .LBB55_25
; %bb.22:
	v_subrev_nc_u32_e32 v117, 53, v0
	s_movk_i32 s1, 0xd4
	s_movk_i32 s21, 0x1b4
	s_mov_b32 s20, 0
.LBB55_23:                              ; =>This Inner Loop Header: Depth=1
	scratch_load_b32 v118, off, s1
	v_dual_mov_b32 v119, s21 :: v_dual_add_nc_u32 v117, -1, v117
	s_add_co_i32 s21, s21, 4
	s_wait_xcnt 0x0
	s_add_co_i32 s1, s1, 4
	ds_load_b32 v119, v119
	v_cmp_eq_u32_e32 vcc_lo, 0, v117
	s_or_b32 s20, vcc_lo, s20
	s_wait_loadcnt_dscnt 0x0
	v_fmac_f32_e32 v116, v118, v119
	s_and_not1_b32 exec_lo, exec_lo, s20
	s_cbranch_execnz .LBB55_23
; %bb.24:
	s_or_b32 exec_lo, exec_lo, s20
.LBB55_25:
	s_delay_alu instid0(SALU_CYCLE_1)
	s_or_b32 exec_lo, exec_lo, s19
	v_mov_b32_e32 v117, 0
	ds_load_b32 v117, v117 offset:208
	s_wait_dscnt 0x0
	v_mul_f32_e32 v116, v116, v117
	scratch_store_b32 off, v116, off offset:208
.LBB55_26:
	s_wait_xcnt 0x0
	s_or_b32 exec_lo, exec_lo, s18
	scratch_load_b32 v116, off, off offset:204
	v_cmp_lt_u32_e64 s1, 51, v0
	s_wait_loadcnt 0x0
	ds_store_b32 v1, v116
	s_wait_storecnt_dscnt 0x0
	s_barrier_signal -1
	s_barrier_wait -1
	s_wait_xcnt 0x0
	s_and_saveexec_b32 s18, s1
	s_cbranch_execz .LBB55_36
; %bb.27:
	s_and_not1_b32 vcc_lo, exec_lo, s3
	s_cbranch_vccnz .LBB55_29
; %bb.28:
	scratch_load_b32 v116, v7, off
	ds_load_b32 v117, v1
	s_wait_loadcnt_dscnt 0x0
	v_mul_f32_e32 v116, v116, v117
	s_cbranch_execz .LBB55_30
	s_branch .LBB55_31
.LBB55_29:
                                        ; implicit-def: $vgpr116
.LBB55_30:
	ds_load_b32 v116, v1
.LBB55_31:
	s_and_saveexec_b32 s19, s0
	s_cbranch_execz .LBB55_35
; %bb.32:
	v_subrev_nc_u32_e32 v117, 52, v0
	s_movk_i32 s20, 0x1b0
	s_mov_b32 s0, 0
.LBB55_33:                              ; =>This Inner Loop Header: Depth=1
	scratch_load_b32 v118, off, s17
	v_dual_mov_b32 v119, s20 :: v_dual_add_nc_u32 v117, -1, v117
	s_add_co_i32 s20, s20, 4
	s_wait_xcnt 0x0
	s_add_co_i32 s17, s17, 4
	ds_load_b32 v119, v119
	v_cmp_eq_u32_e32 vcc_lo, 0, v117
	s_or_b32 s0, vcc_lo, s0
	s_wait_loadcnt_dscnt 0x0
	v_fmac_f32_e32 v116, v118, v119
	s_and_not1_b32 exec_lo, exec_lo, s0
	s_cbranch_execnz .LBB55_33
; %bb.34:
	s_or_b32 exec_lo, exec_lo, s0
.LBB55_35:
	s_delay_alu instid0(SALU_CYCLE_1)
	s_or_b32 exec_lo, exec_lo, s19
	v_mov_b32_e32 v117, 0
	ds_load_b32 v117, v117 offset:204
	s_wait_dscnt 0x0
	v_mul_f32_e32 v116, v116, v117
	scratch_store_b32 off, v116, off offset:204
.LBB55_36:
	s_wait_xcnt 0x0
	s_or_b32 exec_lo, exec_lo, s18
	scratch_load_b32 v116, off, off offset:200
	v_cmp_lt_u32_e64 s0, 50, v0
	s_wait_loadcnt 0x0
	ds_store_b32 v1, v116
	s_wait_storecnt_dscnt 0x0
	s_barrier_signal -1
	s_barrier_wait -1
	s_wait_xcnt 0x0
	s_and_saveexec_b32 s17, s0
	s_cbranch_execz .LBB55_46
; %bb.37:
	s_and_not1_b32 vcc_lo, exec_lo, s3
	s_cbranch_vccnz .LBB55_39
; %bb.38:
	scratch_load_b32 v116, v7, off
	ds_load_b32 v117, v1
	s_wait_loadcnt_dscnt 0x0
	v_mul_f32_e32 v116, v116, v117
	s_cbranch_execz .LBB55_40
	s_branch .LBB55_41
.LBB55_39:
                                        ; implicit-def: $vgpr116
.LBB55_40:
	ds_load_b32 v116, v1
.LBB55_41:
	s_and_saveexec_b32 s18, s1
	s_cbranch_execz .LBB55_45
; %bb.42:
	v_subrev_nc_u32_e32 v117, 51, v0
	s_movk_i32 s1, 0xcc
	s_movk_i32 s20, 0x1ac
	s_mov_b32 s19, 0
.LBB55_43:                              ; =>This Inner Loop Header: Depth=1
	scratch_load_b32 v118, off, s1
	v_dual_mov_b32 v119, s20 :: v_dual_add_nc_u32 v117, -1, v117
	s_add_co_i32 s20, s20, 4
	s_wait_xcnt 0x0
	s_add_co_i32 s1, s1, 4
	ds_load_b32 v119, v119
	v_cmp_eq_u32_e32 vcc_lo, 0, v117
	s_or_b32 s19, vcc_lo, s19
	s_wait_loadcnt_dscnt 0x0
	v_fmac_f32_e32 v116, v118, v119
	s_and_not1_b32 exec_lo, exec_lo, s19
	s_cbranch_execnz .LBB55_43
; %bb.44:
	s_or_b32 exec_lo, exec_lo, s19
.LBB55_45:
	s_delay_alu instid0(SALU_CYCLE_1)
	s_or_b32 exec_lo, exec_lo, s18
	v_mov_b32_e32 v117, 0
	ds_load_b32 v117, v117 offset:200
	s_wait_dscnt 0x0
	v_mul_f32_e32 v116, v116, v117
	scratch_store_b32 off, v116, off offset:200
.LBB55_46:
	s_wait_xcnt 0x0
	s_or_b32 exec_lo, exec_lo, s17
	scratch_load_b32 v116, off, off offset:196
	v_cmp_lt_u32_e64 s1, 49, v0
	s_wait_loadcnt 0x0
	ds_store_b32 v1, v116
	s_wait_storecnt_dscnt 0x0
	s_barrier_signal -1
	s_barrier_wait -1
	s_wait_xcnt 0x0
	s_and_saveexec_b32 s17, s1
	s_cbranch_execz .LBB55_56
; %bb.47:
	s_and_not1_b32 vcc_lo, exec_lo, s3
	s_cbranch_vccnz .LBB55_49
; %bb.48:
	scratch_load_b32 v116, v7, off
	ds_load_b32 v117, v1
	s_wait_loadcnt_dscnt 0x0
	v_mul_f32_e32 v116, v116, v117
	s_cbranch_execz .LBB55_50
	s_branch .LBB55_51
.LBB55_49:
                                        ; implicit-def: $vgpr116
.LBB55_50:
	ds_load_b32 v116, v1
.LBB55_51:
	s_and_saveexec_b32 s18, s0
	s_cbranch_execz .LBB55_55
; %bb.52:
	v_subrev_nc_u32_e32 v117, 50, v0
	s_movk_i32 s0, 0xc8
	s_movk_i32 s20, 0x1a8
	s_mov_b32 s19, 0
.LBB55_53:                              ; =>This Inner Loop Header: Depth=1
	scratch_load_b32 v118, off, s0
	v_dual_mov_b32 v119, s20 :: v_dual_add_nc_u32 v117, -1, v117
	s_add_co_i32 s20, s20, 4
	s_wait_xcnt 0x0
	s_add_co_i32 s0, s0, 4
	ds_load_b32 v119, v119
	v_cmp_eq_u32_e32 vcc_lo, 0, v117
	s_or_b32 s19, vcc_lo, s19
	s_wait_loadcnt_dscnt 0x0
	v_fmac_f32_e32 v116, v118, v119
	s_and_not1_b32 exec_lo, exec_lo, s19
	s_cbranch_execnz .LBB55_53
; %bb.54:
	s_or_b32 exec_lo, exec_lo, s19
.LBB55_55:
	s_delay_alu instid0(SALU_CYCLE_1)
	s_or_b32 exec_lo, exec_lo, s18
	v_mov_b32_e32 v117, 0
	ds_load_b32 v117, v117 offset:196
	s_wait_dscnt 0x0
	v_mul_f32_e32 v116, v116, v117
	scratch_store_b32 off, v116, off offset:196
.LBB55_56:
	;; [unrolled: 58-line block ×3, first 2 shown]
	s_wait_xcnt 0x0
	s_or_b32 exec_lo, exec_lo, s17
	scratch_load_b32 v116, off, off offset:188
	v_cmp_lt_u32_e64 s1, 47, v0
	s_wait_loadcnt 0x0
	ds_store_b32 v1, v116
	s_wait_storecnt_dscnt 0x0
	s_barrier_signal -1
	s_barrier_wait -1
	s_wait_xcnt 0x0
	s_and_saveexec_b32 s17, s1
	s_cbranch_execz .LBB55_76
; %bb.67:
	s_and_not1_b32 vcc_lo, exec_lo, s3
	s_cbranch_vccnz .LBB55_69
; %bb.68:
	scratch_load_b32 v116, v7, off
	ds_load_b32 v117, v1
	s_wait_loadcnt_dscnt 0x0
	v_mul_f32_e32 v116, v116, v117
	s_cbranch_execz .LBB55_70
	s_branch .LBB55_71
.LBB55_69:
                                        ; implicit-def: $vgpr116
.LBB55_70:
	ds_load_b32 v116, v1
.LBB55_71:
	s_and_saveexec_b32 s18, s0
	s_cbranch_execz .LBB55_75
; %bb.72:
	v_subrev_nc_u32_e32 v117, 48, v0
	s_movk_i32 s19, 0x1a0
	s_mov_b32 s0, 0
.LBB55_73:                              ; =>This Inner Loop Header: Depth=1
	scratch_load_b32 v118, off, s16
	v_dual_mov_b32 v119, s19 :: v_dual_add_nc_u32 v117, -1, v117
	s_add_co_i32 s19, s19, 4
	s_wait_xcnt 0x0
	s_add_co_i32 s16, s16, 4
	ds_load_b32 v119, v119
	v_cmp_eq_u32_e32 vcc_lo, 0, v117
	s_or_b32 s0, vcc_lo, s0
	s_wait_loadcnt_dscnt 0x0
	v_fmac_f32_e32 v116, v118, v119
	s_and_not1_b32 exec_lo, exec_lo, s0
	s_cbranch_execnz .LBB55_73
; %bb.74:
	s_or_b32 exec_lo, exec_lo, s0
.LBB55_75:
	s_delay_alu instid0(SALU_CYCLE_1)
	s_or_b32 exec_lo, exec_lo, s18
	v_mov_b32_e32 v117, 0
	ds_load_b32 v117, v117 offset:188
	s_wait_dscnt 0x0
	v_mul_f32_e32 v116, v116, v117
	scratch_store_b32 off, v116, off offset:188
.LBB55_76:
	s_wait_xcnt 0x0
	s_or_b32 exec_lo, exec_lo, s17
	scratch_load_b32 v116, off, off offset:184
	v_cmp_lt_u32_e64 s0, 46, v0
	s_wait_loadcnt 0x0
	ds_store_b32 v1, v116
	s_wait_storecnt_dscnt 0x0
	s_barrier_signal -1
	s_barrier_wait -1
	s_wait_xcnt 0x0
	s_and_saveexec_b32 s16, s0
	s_cbranch_execz .LBB55_86
; %bb.77:
	s_and_not1_b32 vcc_lo, exec_lo, s3
	s_cbranch_vccnz .LBB55_79
; %bb.78:
	scratch_load_b32 v116, v7, off
	ds_load_b32 v117, v1
	s_wait_loadcnt_dscnt 0x0
	v_mul_f32_e32 v116, v116, v117
	s_cbranch_execz .LBB55_80
	s_branch .LBB55_81
.LBB55_79:
                                        ; implicit-def: $vgpr116
.LBB55_80:
	ds_load_b32 v116, v1
.LBB55_81:
	s_and_saveexec_b32 s17, s1
	s_cbranch_execz .LBB55_85
; %bb.82:
	v_subrev_nc_u32_e32 v117, 47, v0
	s_movk_i32 s1, 0xbc
	s_movk_i32 s19, 0x19c
	s_mov_b32 s18, 0
.LBB55_83:                              ; =>This Inner Loop Header: Depth=1
	scratch_load_b32 v118, off, s1
	v_dual_mov_b32 v119, s19 :: v_dual_add_nc_u32 v117, -1, v117
	s_add_co_i32 s19, s19, 4
	s_wait_xcnt 0x0
	s_add_co_i32 s1, s1, 4
	ds_load_b32 v119, v119
	v_cmp_eq_u32_e32 vcc_lo, 0, v117
	s_or_b32 s18, vcc_lo, s18
	s_wait_loadcnt_dscnt 0x0
	v_fmac_f32_e32 v116, v118, v119
	s_and_not1_b32 exec_lo, exec_lo, s18
	s_cbranch_execnz .LBB55_83
; %bb.84:
	s_or_b32 exec_lo, exec_lo, s18
.LBB55_85:
	s_delay_alu instid0(SALU_CYCLE_1)
	s_or_b32 exec_lo, exec_lo, s17
	v_mov_b32_e32 v117, 0
	ds_load_b32 v117, v117 offset:184
	s_wait_dscnt 0x0
	v_mul_f32_e32 v116, v116, v117
	scratch_store_b32 off, v116, off offset:184
.LBB55_86:
	s_wait_xcnt 0x0
	s_or_b32 exec_lo, exec_lo, s16
	scratch_load_b32 v116, off, off offset:180
	v_cmp_lt_u32_e64 s1, 45, v0
	s_wait_loadcnt 0x0
	ds_store_b32 v1, v116
	s_wait_storecnt_dscnt 0x0
	s_barrier_signal -1
	s_barrier_wait -1
	s_wait_xcnt 0x0
	s_and_saveexec_b32 s16, s1
	s_cbranch_execz .LBB55_96
; %bb.87:
	s_and_not1_b32 vcc_lo, exec_lo, s3
	s_cbranch_vccnz .LBB55_89
; %bb.88:
	scratch_load_b32 v116, v7, off
	ds_load_b32 v117, v1
	s_wait_loadcnt_dscnt 0x0
	v_mul_f32_e32 v116, v116, v117
	s_cbranch_execz .LBB55_90
	s_branch .LBB55_91
.LBB55_89:
                                        ; implicit-def: $vgpr116
.LBB55_90:
	ds_load_b32 v116, v1
.LBB55_91:
	s_and_saveexec_b32 s17, s0
	s_cbranch_execz .LBB55_95
; %bb.92:
	v_subrev_nc_u32_e32 v117, 46, v0
	s_movk_i32 s0, 0xb8
	s_movk_i32 s19, 0x198
	s_mov_b32 s18, 0
.LBB55_93:                              ; =>This Inner Loop Header: Depth=1
	scratch_load_b32 v118, off, s0
	v_dual_mov_b32 v119, s19 :: v_dual_add_nc_u32 v117, -1, v117
	s_add_co_i32 s19, s19, 4
	s_wait_xcnt 0x0
	s_add_co_i32 s0, s0, 4
	ds_load_b32 v119, v119
	v_cmp_eq_u32_e32 vcc_lo, 0, v117
	s_or_b32 s18, vcc_lo, s18
	s_wait_loadcnt_dscnt 0x0
	v_fmac_f32_e32 v116, v118, v119
	s_and_not1_b32 exec_lo, exec_lo, s18
	s_cbranch_execnz .LBB55_93
; %bb.94:
	s_or_b32 exec_lo, exec_lo, s18
.LBB55_95:
	s_delay_alu instid0(SALU_CYCLE_1)
	s_or_b32 exec_lo, exec_lo, s17
	v_mov_b32_e32 v117, 0
	ds_load_b32 v117, v117 offset:180
	s_wait_dscnt 0x0
	v_mul_f32_e32 v116, v116, v117
	scratch_store_b32 off, v116, off offset:180
.LBB55_96:
	s_wait_xcnt 0x0
	s_or_b32 exec_lo, exec_lo, s16
	scratch_load_b32 v116, off, off offset:176
	v_cmp_lt_u32_e64 s0, 44, v0
	s_wait_loadcnt 0x0
	ds_store_b32 v1, v116
	s_wait_storecnt_dscnt 0x0
	s_barrier_signal -1
	s_barrier_wait -1
	s_wait_xcnt 0x0
	s_and_saveexec_b32 s16, s0
	s_cbranch_execz .LBB55_106
; %bb.97:
	s_and_not1_b32 vcc_lo, exec_lo, s3
	s_cbranch_vccnz .LBB55_99
; %bb.98:
	scratch_load_b32 v116, v7, off
	ds_load_b32 v117, v1
	s_wait_loadcnt_dscnt 0x0
	v_mul_f32_e32 v116, v116, v117
	s_cbranch_execz .LBB55_100
	s_branch .LBB55_101
.LBB55_99:
                                        ; implicit-def: $vgpr116
.LBB55_100:
	ds_load_b32 v116, v1
.LBB55_101:
	s_and_saveexec_b32 s17, s1
	s_cbranch_execz .LBB55_105
; %bb.102:
	v_subrev_nc_u32_e32 v117, 45, v0
	s_movk_i32 s1, 0xb4
	s_movk_i32 s19, 0x194
	s_mov_b32 s18, 0
.LBB55_103:                             ; =>This Inner Loop Header: Depth=1
	scratch_load_b32 v118, off, s1
	v_dual_mov_b32 v119, s19 :: v_dual_add_nc_u32 v117, -1, v117
	s_add_co_i32 s19, s19, 4
	s_wait_xcnt 0x0
	s_add_co_i32 s1, s1, 4
	ds_load_b32 v119, v119
	v_cmp_eq_u32_e32 vcc_lo, 0, v117
	s_or_b32 s18, vcc_lo, s18
	s_wait_loadcnt_dscnt 0x0
	v_fmac_f32_e32 v116, v118, v119
	s_and_not1_b32 exec_lo, exec_lo, s18
	s_cbranch_execnz .LBB55_103
; %bb.104:
	s_or_b32 exec_lo, exec_lo, s18
.LBB55_105:
	s_delay_alu instid0(SALU_CYCLE_1)
	s_or_b32 exec_lo, exec_lo, s17
	v_mov_b32_e32 v117, 0
	ds_load_b32 v117, v117 offset:176
	s_wait_dscnt 0x0
	v_mul_f32_e32 v116, v116, v117
	scratch_store_b32 off, v116, off offset:176
.LBB55_106:
	s_wait_xcnt 0x0
	s_or_b32 exec_lo, exec_lo, s16
	scratch_load_b32 v116, off, off offset:172
	v_cmp_lt_u32_e64 s1, 43, v0
	s_wait_loadcnt 0x0
	ds_store_b32 v1, v116
	s_wait_storecnt_dscnt 0x0
	s_barrier_signal -1
	s_barrier_wait -1
	s_wait_xcnt 0x0
	s_and_saveexec_b32 s16, s1
	s_cbranch_execz .LBB55_116
; %bb.107:
	s_and_not1_b32 vcc_lo, exec_lo, s3
	s_cbranch_vccnz .LBB55_109
; %bb.108:
	scratch_load_b32 v116, v7, off
	ds_load_b32 v117, v1
	s_wait_loadcnt_dscnt 0x0
	v_mul_f32_e32 v116, v116, v117
	s_cbranch_execz .LBB55_110
	s_branch .LBB55_111
.LBB55_109:
                                        ; implicit-def: $vgpr116
.LBB55_110:
	ds_load_b32 v116, v1
.LBB55_111:
	s_and_saveexec_b32 s17, s0
	s_cbranch_execz .LBB55_115
; %bb.112:
	v_subrev_nc_u32_e32 v117, 44, v0
	s_movk_i32 s18, 0x190
	s_mov_b32 s0, 0
.LBB55_113:                             ; =>This Inner Loop Header: Depth=1
	scratch_load_b32 v118, off, s15
	v_dual_mov_b32 v119, s18 :: v_dual_add_nc_u32 v117, -1, v117
	s_add_co_i32 s18, s18, 4
	s_wait_xcnt 0x0
	s_add_co_i32 s15, s15, 4
	ds_load_b32 v119, v119
	v_cmp_eq_u32_e32 vcc_lo, 0, v117
	s_or_b32 s0, vcc_lo, s0
	s_wait_loadcnt_dscnt 0x0
	v_fmac_f32_e32 v116, v118, v119
	s_and_not1_b32 exec_lo, exec_lo, s0
	s_cbranch_execnz .LBB55_113
; %bb.114:
	s_or_b32 exec_lo, exec_lo, s0
.LBB55_115:
	s_delay_alu instid0(SALU_CYCLE_1)
	s_or_b32 exec_lo, exec_lo, s17
	v_mov_b32_e32 v117, 0
	ds_load_b32 v117, v117 offset:172
	s_wait_dscnt 0x0
	v_mul_f32_e32 v116, v116, v117
	scratch_store_b32 off, v116, off offset:172
.LBB55_116:
	s_wait_xcnt 0x0
	s_or_b32 exec_lo, exec_lo, s16
	scratch_load_b32 v116, off, off offset:168
	v_cmp_lt_u32_e64 s0, 42, v0
	s_wait_loadcnt 0x0
	ds_store_b32 v1, v116
	s_wait_storecnt_dscnt 0x0
	s_barrier_signal -1
	s_barrier_wait -1
	s_wait_xcnt 0x0
	s_and_saveexec_b32 s15, s0
	s_cbranch_execz .LBB55_126
; %bb.117:
	s_and_not1_b32 vcc_lo, exec_lo, s3
	s_cbranch_vccnz .LBB55_119
; %bb.118:
	scratch_load_b32 v116, v7, off
	ds_load_b32 v117, v1
	s_wait_loadcnt_dscnt 0x0
	v_mul_f32_e32 v116, v116, v117
	s_cbranch_execz .LBB55_120
	s_branch .LBB55_121
.LBB55_119:
                                        ; implicit-def: $vgpr116
.LBB55_120:
	ds_load_b32 v116, v1
.LBB55_121:
	s_and_saveexec_b32 s16, s1
	s_cbranch_execz .LBB55_125
; %bb.122:
	v_subrev_nc_u32_e32 v117, 43, v0
	s_movk_i32 s1, 0xac
	s_movk_i32 s18, 0x18c
	s_mov_b32 s17, 0
.LBB55_123:                             ; =>This Inner Loop Header: Depth=1
	scratch_load_b32 v118, off, s1
	v_dual_mov_b32 v119, s18 :: v_dual_add_nc_u32 v117, -1, v117
	s_add_co_i32 s18, s18, 4
	s_wait_xcnt 0x0
	s_add_co_i32 s1, s1, 4
	ds_load_b32 v119, v119
	v_cmp_eq_u32_e32 vcc_lo, 0, v117
	s_or_b32 s17, vcc_lo, s17
	s_wait_loadcnt_dscnt 0x0
	v_fmac_f32_e32 v116, v118, v119
	s_and_not1_b32 exec_lo, exec_lo, s17
	s_cbranch_execnz .LBB55_123
; %bb.124:
	s_or_b32 exec_lo, exec_lo, s17
.LBB55_125:
	s_delay_alu instid0(SALU_CYCLE_1)
	s_or_b32 exec_lo, exec_lo, s16
	v_mov_b32_e32 v117, 0
	ds_load_b32 v117, v117 offset:168
	s_wait_dscnt 0x0
	v_mul_f32_e32 v116, v116, v117
	scratch_store_b32 off, v116, off offset:168
.LBB55_126:
	s_wait_xcnt 0x0
	s_or_b32 exec_lo, exec_lo, s15
	scratch_load_b32 v116, off, off offset:164
	v_cmp_lt_u32_e64 s1, 41, v0
	s_wait_loadcnt 0x0
	ds_store_b32 v1, v116
	s_wait_storecnt_dscnt 0x0
	s_barrier_signal -1
	s_barrier_wait -1
	s_wait_xcnt 0x0
	s_and_saveexec_b32 s15, s1
	s_cbranch_execz .LBB55_136
; %bb.127:
	s_and_not1_b32 vcc_lo, exec_lo, s3
	s_cbranch_vccnz .LBB55_129
; %bb.128:
	scratch_load_b32 v116, v7, off
	ds_load_b32 v117, v1
	s_wait_loadcnt_dscnt 0x0
	v_mul_f32_e32 v116, v116, v117
	s_cbranch_execz .LBB55_130
	s_branch .LBB55_131
.LBB55_129:
                                        ; implicit-def: $vgpr116
.LBB55_130:
	ds_load_b32 v116, v1
.LBB55_131:
	s_and_saveexec_b32 s16, s0
	s_cbranch_execz .LBB55_135
; %bb.132:
	v_subrev_nc_u32_e32 v117, 42, v0
	s_movk_i32 s0, 0xa8
	s_movk_i32 s18, 0x188
	s_mov_b32 s17, 0
.LBB55_133:                             ; =>This Inner Loop Header: Depth=1
	scratch_load_b32 v118, off, s0
	v_dual_mov_b32 v119, s18 :: v_dual_add_nc_u32 v117, -1, v117
	s_add_co_i32 s18, s18, 4
	s_wait_xcnt 0x0
	s_add_co_i32 s0, s0, 4
	ds_load_b32 v119, v119
	v_cmp_eq_u32_e32 vcc_lo, 0, v117
	s_or_b32 s17, vcc_lo, s17
	s_wait_loadcnt_dscnt 0x0
	v_fmac_f32_e32 v116, v118, v119
	s_and_not1_b32 exec_lo, exec_lo, s17
	s_cbranch_execnz .LBB55_133
; %bb.134:
	s_or_b32 exec_lo, exec_lo, s17
.LBB55_135:
	s_delay_alu instid0(SALU_CYCLE_1)
	s_or_b32 exec_lo, exec_lo, s16
	v_mov_b32_e32 v117, 0
	ds_load_b32 v117, v117 offset:164
	s_wait_dscnt 0x0
	v_mul_f32_e32 v116, v116, v117
	scratch_store_b32 off, v116, off offset:164
.LBB55_136:
	;; [unrolled: 58-line block ×3, first 2 shown]
	s_wait_xcnt 0x0
	s_or_b32 exec_lo, exec_lo, s15
	scratch_load_b32 v116, off, off offset:156
	v_cmp_lt_u32_e64 s1, 39, v0
	s_wait_loadcnt 0x0
	ds_store_b32 v1, v116
	s_wait_storecnt_dscnt 0x0
	s_barrier_signal -1
	s_barrier_wait -1
	s_wait_xcnt 0x0
	s_and_saveexec_b32 s15, s1
	s_cbranch_execz .LBB55_156
; %bb.147:
	s_and_not1_b32 vcc_lo, exec_lo, s3
	s_cbranch_vccnz .LBB55_149
; %bb.148:
	scratch_load_b32 v116, v7, off
	ds_load_b32 v117, v1
	s_wait_loadcnt_dscnt 0x0
	v_mul_f32_e32 v116, v116, v117
	s_cbranch_execz .LBB55_150
	s_branch .LBB55_151
.LBB55_149:
                                        ; implicit-def: $vgpr116
.LBB55_150:
	ds_load_b32 v116, v1
.LBB55_151:
	s_and_saveexec_b32 s16, s0
	s_cbranch_execz .LBB55_155
; %bb.152:
	v_subrev_nc_u32_e32 v117, 40, v0
	s_movk_i32 s17, 0x180
	s_mov_b32 s0, 0
.LBB55_153:                             ; =>This Inner Loop Header: Depth=1
	scratch_load_b32 v118, off, s14
	v_dual_mov_b32 v119, s17 :: v_dual_add_nc_u32 v117, -1, v117
	s_add_co_i32 s17, s17, 4
	s_wait_xcnt 0x0
	s_add_co_i32 s14, s14, 4
	ds_load_b32 v119, v119
	v_cmp_eq_u32_e32 vcc_lo, 0, v117
	s_or_b32 s0, vcc_lo, s0
	s_wait_loadcnt_dscnt 0x0
	v_fmac_f32_e32 v116, v118, v119
	s_and_not1_b32 exec_lo, exec_lo, s0
	s_cbranch_execnz .LBB55_153
; %bb.154:
	s_or_b32 exec_lo, exec_lo, s0
.LBB55_155:
	s_delay_alu instid0(SALU_CYCLE_1)
	s_or_b32 exec_lo, exec_lo, s16
	v_mov_b32_e32 v117, 0
	ds_load_b32 v117, v117 offset:156
	s_wait_dscnt 0x0
	v_mul_f32_e32 v116, v116, v117
	scratch_store_b32 off, v116, off offset:156
.LBB55_156:
	s_wait_xcnt 0x0
	s_or_b32 exec_lo, exec_lo, s15
	scratch_load_b32 v116, off, off offset:152
	v_cmp_lt_u32_e64 s0, 38, v0
	s_wait_loadcnt 0x0
	ds_store_b32 v1, v116
	s_wait_storecnt_dscnt 0x0
	s_barrier_signal -1
	s_barrier_wait -1
	s_wait_xcnt 0x0
	s_and_saveexec_b32 s14, s0
	s_cbranch_execz .LBB55_166
; %bb.157:
	s_and_not1_b32 vcc_lo, exec_lo, s3
	s_cbranch_vccnz .LBB55_159
; %bb.158:
	scratch_load_b32 v116, v7, off
	ds_load_b32 v117, v1
	s_wait_loadcnt_dscnt 0x0
	v_mul_f32_e32 v116, v116, v117
	s_cbranch_execz .LBB55_160
	s_branch .LBB55_161
.LBB55_159:
                                        ; implicit-def: $vgpr116
.LBB55_160:
	ds_load_b32 v116, v1
.LBB55_161:
	s_and_saveexec_b32 s15, s1
	s_cbranch_execz .LBB55_165
; %bb.162:
	v_subrev_nc_u32_e32 v117, 39, v0
	s_movk_i32 s1, 0x9c
	s_movk_i32 s17, 0x17c
	s_mov_b32 s16, 0
.LBB55_163:                             ; =>This Inner Loop Header: Depth=1
	scratch_load_b32 v118, off, s1
	v_dual_mov_b32 v119, s17 :: v_dual_add_nc_u32 v117, -1, v117
	s_add_co_i32 s17, s17, 4
	s_wait_xcnt 0x0
	s_add_co_i32 s1, s1, 4
	ds_load_b32 v119, v119
	v_cmp_eq_u32_e32 vcc_lo, 0, v117
	s_or_b32 s16, vcc_lo, s16
	s_wait_loadcnt_dscnt 0x0
	v_fmac_f32_e32 v116, v118, v119
	s_and_not1_b32 exec_lo, exec_lo, s16
	s_cbranch_execnz .LBB55_163
; %bb.164:
	s_or_b32 exec_lo, exec_lo, s16
.LBB55_165:
	s_delay_alu instid0(SALU_CYCLE_1)
	s_or_b32 exec_lo, exec_lo, s15
	v_mov_b32_e32 v117, 0
	ds_load_b32 v117, v117 offset:152
	s_wait_dscnt 0x0
	v_mul_f32_e32 v116, v116, v117
	scratch_store_b32 off, v116, off offset:152
.LBB55_166:
	s_wait_xcnt 0x0
	s_or_b32 exec_lo, exec_lo, s14
	scratch_load_b32 v116, off, off offset:148
	v_cmp_lt_u32_e64 s1, 37, v0
	s_wait_loadcnt 0x0
	ds_store_b32 v1, v116
	s_wait_storecnt_dscnt 0x0
	s_barrier_signal -1
	s_barrier_wait -1
	s_wait_xcnt 0x0
	s_and_saveexec_b32 s14, s1
	s_cbranch_execz .LBB55_176
; %bb.167:
	s_and_not1_b32 vcc_lo, exec_lo, s3
	s_cbranch_vccnz .LBB55_169
; %bb.168:
	scratch_load_b32 v116, v7, off
	ds_load_b32 v117, v1
	s_wait_loadcnt_dscnt 0x0
	v_mul_f32_e32 v116, v116, v117
	s_cbranch_execz .LBB55_170
	s_branch .LBB55_171
.LBB55_169:
                                        ; implicit-def: $vgpr116
.LBB55_170:
	ds_load_b32 v116, v1
.LBB55_171:
	s_and_saveexec_b32 s15, s0
	s_cbranch_execz .LBB55_175
; %bb.172:
	v_subrev_nc_u32_e32 v117, 38, v0
	s_movk_i32 s0, 0x98
	s_movk_i32 s17, 0x178
	s_mov_b32 s16, 0
.LBB55_173:                             ; =>This Inner Loop Header: Depth=1
	scratch_load_b32 v118, off, s0
	v_dual_mov_b32 v119, s17 :: v_dual_add_nc_u32 v117, -1, v117
	s_add_co_i32 s17, s17, 4
	s_wait_xcnt 0x0
	s_add_co_i32 s0, s0, 4
	ds_load_b32 v119, v119
	v_cmp_eq_u32_e32 vcc_lo, 0, v117
	s_or_b32 s16, vcc_lo, s16
	s_wait_loadcnt_dscnt 0x0
	v_fmac_f32_e32 v116, v118, v119
	s_and_not1_b32 exec_lo, exec_lo, s16
	s_cbranch_execnz .LBB55_173
; %bb.174:
	s_or_b32 exec_lo, exec_lo, s16
.LBB55_175:
	s_delay_alu instid0(SALU_CYCLE_1)
	s_or_b32 exec_lo, exec_lo, s15
	v_mov_b32_e32 v117, 0
	ds_load_b32 v117, v117 offset:148
	s_wait_dscnt 0x0
	v_mul_f32_e32 v116, v116, v117
	scratch_store_b32 off, v116, off offset:148
.LBB55_176:
	s_wait_xcnt 0x0
	s_or_b32 exec_lo, exec_lo, s14
	scratch_load_b32 v116, off, off offset:144
	v_cmp_lt_u32_e64 s0, 36, v0
	s_wait_loadcnt 0x0
	ds_store_b32 v1, v116
	s_wait_storecnt_dscnt 0x0
	s_barrier_signal -1
	s_barrier_wait -1
	s_wait_xcnt 0x0
	s_and_saveexec_b32 s14, s0
	s_cbranch_execz .LBB55_186
; %bb.177:
	s_and_not1_b32 vcc_lo, exec_lo, s3
	s_cbranch_vccnz .LBB55_179
; %bb.178:
	scratch_load_b32 v116, v7, off
	ds_load_b32 v117, v1
	s_wait_loadcnt_dscnt 0x0
	v_mul_f32_e32 v116, v116, v117
	s_cbranch_execz .LBB55_180
	s_branch .LBB55_181
.LBB55_179:
                                        ; implicit-def: $vgpr116
.LBB55_180:
	ds_load_b32 v116, v1
.LBB55_181:
	s_and_saveexec_b32 s15, s1
	s_cbranch_execz .LBB55_185
; %bb.182:
	v_subrev_nc_u32_e32 v117, 37, v0
	s_movk_i32 s1, 0x94
	s_movk_i32 s17, 0x174
	s_mov_b32 s16, 0
.LBB55_183:                             ; =>This Inner Loop Header: Depth=1
	scratch_load_b32 v118, off, s1
	v_dual_mov_b32 v119, s17 :: v_dual_add_nc_u32 v117, -1, v117
	s_add_co_i32 s17, s17, 4
	s_wait_xcnt 0x0
	s_add_co_i32 s1, s1, 4
	ds_load_b32 v119, v119
	v_cmp_eq_u32_e32 vcc_lo, 0, v117
	s_or_b32 s16, vcc_lo, s16
	s_wait_loadcnt_dscnt 0x0
	v_fmac_f32_e32 v116, v118, v119
	s_and_not1_b32 exec_lo, exec_lo, s16
	s_cbranch_execnz .LBB55_183
; %bb.184:
	s_or_b32 exec_lo, exec_lo, s16
.LBB55_185:
	s_delay_alu instid0(SALU_CYCLE_1)
	s_or_b32 exec_lo, exec_lo, s15
	v_mov_b32_e32 v117, 0
	ds_load_b32 v117, v117 offset:144
	s_wait_dscnt 0x0
	v_mul_f32_e32 v116, v116, v117
	scratch_store_b32 off, v116, off offset:144
.LBB55_186:
	s_wait_xcnt 0x0
	s_or_b32 exec_lo, exec_lo, s14
	scratch_load_b32 v116, off, off offset:140
	v_cmp_lt_u32_e64 s1, 35, v0
	s_wait_loadcnt 0x0
	ds_store_b32 v1, v116
	s_wait_storecnt_dscnt 0x0
	s_barrier_signal -1
	s_barrier_wait -1
	s_wait_xcnt 0x0
	s_and_saveexec_b32 s14, s1
	s_cbranch_execz .LBB55_196
; %bb.187:
	s_and_not1_b32 vcc_lo, exec_lo, s3
	s_cbranch_vccnz .LBB55_189
; %bb.188:
	scratch_load_b32 v116, v7, off
	ds_load_b32 v117, v1
	s_wait_loadcnt_dscnt 0x0
	v_mul_f32_e32 v116, v116, v117
	s_cbranch_execz .LBB55_190
	s_branch .LBB55_191
.LBB55_189:
                                        ; implicit-def: $vgpr116
.LBB55_190:
	ds_load_b32 v116, v1
.LBB55_191:
	s_and_saveexec_b32 s15, s0
	s_cbranch_execz .LBB55_195
; %bb.192:
	v_subrev_nc_u32_e32 v117, 36, v0
	s_movk_i32 s16, 0x170
	s_mov_b32 s0, 0
.LBB55_193:                             ; =>This Inner Loop Header: Depth=1
	scratch_load_b32 v118, off, s13
	v_dual_mov_b32 v119, s16 :: v_dual_add_nc_u32 v117, -1, v117
	s_add_co_i32 s16, s16, 4
	s_wait_xcnt 0x0
	s_add_co_i32 s13, s13, 4
	ds_load_b32 v119, v119
	v_cmp_eq_u32_e32 vcc_lo, 0, v117
	s_or_b32 s0, vcc_lo, s0
	s_wait_loadcnt_dscnt 0x0
	v_fmac_f32_e32 v116, v118, v119
	s_and_not1_b32 exec_lo, exec_lo, s0
	s_cbranch_execnz .LBB55_193
; %bb.194:
	s_or_b32 exec_lo, exec_lo, s0
.LBB55_195:
	s_delay_alu instid0(SALU_CYCLE_1)
	s_or_b32 exec_lo, exec_lo, s15
	v_mov_b32_e32 v117, 0
	ds_load_b32 v117, v117 offset:140
	s_wait_dscnt 0x0
	v_mul_f32_e32 v116, v116, v117
	scratch_store_b32 off, v116, off offset:140
.LBB55_196:
	s_wait_xcnt 0x0
	s_or_b32 exec_lo, exec_lo, s14
	scratch_load_b32 v116, off, off offset:136
	v_cmp_lt_u32_e64 s0, 34, v0
	s_wait_loadcnt 0x0
	ds_store_b32 v1, v116
	s_wait_storecnt_dscnt 0x0
	s_barrier_signal -1
	s_barrier_wait -1
	s_wait_xcnt 0x0
	s_and_saveexec_b32 s13, s0
	s_cbranch_execz .LBB55_206
; %bb.197:
	s_and_not1_b32 vcc_lo, exec_lo, s3
	s_cbranch_vccnz .LBB55_199
; %bb.198:
	scratch_load_b32 v116, v7, off
	ds_load_b32 v117, v1
	s_wait_loadcnt_dscnt 0x0
	v_mul_f32_e32 v116, v116, v117
	s_cbranch_execz .LBB55_200
	s_branch .LBB55_201
.LBB55_199:
                                        ; implicit-def: $vgpr116
.LBB55_200:
	ds_load_b32 v116, v1
.LBB55_201:
	s_and_saveexec_b32 s14, s1
	s_cbranch_execz .LBB55_205
; %bb.202:
	v_subrev_nc_u32_e32 v117, 35, v0
	s_movk_i32 s1, 0x8c
	s_movk_i32 s16, 0x16c
	s_mov_b32 s15, 0
.LBB55_203:                             ; =>This Inner Loop Header: Depth=1
	scratch_load_b32 v118, off, s1
	v_dual_mov_b32 v119, s16 :: v_dual_add_nc_u32 v117, -1, v117
	s_add_co_i32 s16, s16, 4
	s_wait_xcnt 0x0
	s_add_co_i32 s1, s1, 4
	ds_load_b32 v119, v119
	v_cmp_eq_u32_e32 vcc_lo, 0, v117
	s_or_b32 s15, vcc_lo, s15
	s_wait_loadcnt_dscnt 0x0
	v_fmac_f32_e32 v116, v118, v119
	s_and_not1_b32 exec_lo, exec_lo, s15
	s_cbranch_execnz .LBB55_203
; %bb.204:
	s_or_b32 exec_lo, exec_lo, s15
.LBB55_205:
	s_delay_alu instid0(SALU_CYCLE_1)
	s_or_b32 exec_lo, exec_lo, s14
	v_mov_b32_e32 v117, 0
	ds_load_b32 v117, v117 offset:136
	s_wait_dscnt 0x0
	v_mul_f32_e32 v116, v116, v117
	scratch_store_b32 off, v116, off offset:136
.LBB55_206:
	s_wait_xcnt 0x0
	s_or_b32 exec_lo, exec_lo, s13
	scratch_load_b32 v116, off, off offset:132
	v_cmp_lt_u32_e64 s1, 33, v0
	s_wait_loadcnt 0x0
	ds_store_b32 v1, v116
	s_wait_storecnt_dscnt 0x0
	s_barrier_signal -1
	s_barrier_wait -1
	s_wait_xcnt 0x0
	s_and_saveexec_b32 s13, s1
	s_cbranch_execz .LBB55_216
; %bb.207:
	s_and_not1_b32 vcc_lo, exec_lo, s3
	s_cbranch_vccnz .LBB55_209
; %bb.208:
	scratch_load_b32 v116, v7, off
	ds_load_b32 v117, v1
	s_wait_loadcnt_dscnt 0x0
	v_mul_f32_e32 v116, v116, v117
	s_cbranch_execz .LBB55_210
	s_branch .LBB55_211
.LBB55_209:
                                        ; implicit-def: $vgpr116
.LBB55_210:
	ds_load_b32 v116, v1
.LBB55_211:
	s_and_saveexec_b32 s14, s0
	s_cbranch_execz .LBB55_215
; %bb.212:
	v_subrev_nc_u32_e32 v117, 34, v0
	s_movk_i32 s0, 0x88
	s_movk_i32 s16, 0x168
	s_mov_b32 s15, 0
.LBB55_213:                             ; =>This Inner Loop Header: Depth=1
	scratch_load_b32 v118, off, s0
	v_dual_mov_b32 v119, s16 :: v_dual_add_nc_u32 v117, -1, v117
	s_add_co_i32 s16, s16, 4
	s_wait_xcnt 0x0
	s_add_co_i32 s0, s0, 4
	ds_load_b32 v119, v119
	v_cmp_eq_u32_e32 vcc_lo, 0, v117
	s_or_b32 s15, vcc_lo, s15
	s_wait_loadcnt_dscnt 0x0
	v_fmac_f32_e32 v116, v118, v119
	s_and_not1_b32 exec_lo, exec_lo, s15
	s_cbranch_execnz .LBB55_213
; %bb.214:
	s_or_b32 exec_lo, exec_lo, s15
.LBB55_215:
	s_delay_alu instid0(SALU_CYCLE_1)
	s_or_b32 exec_lo, exec_lo, s14
	v_mov_b32_e32 v117, 0
	ds_load_b32 v117, v117 offset:132
	s_wait_dscnt 0x0
	v_mul_f32_e32 v116, v116, v117
	scratch_store_b32 off, v116, off offset:132
.LBB55_216:
	;; [unrolled: 58-line block ×3, first 2 shown]
	s_wait_xcnt 0x0
	s_or_b32 exec_lo, exec_lo, s13
	scratch_load_b32 v116, off, off offset:124
	v_cmp_lt_u32_e64 s1, 31, v0
	s_wait_loadcnt 0x0
	ds_store_b32 v1, v116
	s_wait_storecnt_dscnt 0x0
	s_barrier_signal -1
	s_barrier_wait -1
	s_wait_xcnt 0x0
	s_and_saveexec_b32 s13, s1
	s_cbranch_execz .LBB55_236
; %bb.227:
	s_and_not1_b32 vcc_lo, exec_lo, s3
	s_cbranch_vccnz .LBB55_229
; %bb.228:
	scratch_load_b32 v116, v7, off
	ds_load_b32 v117, v1
	s_wait_loadcnt_dscnt 0x0
	v_mul_f32_e32 v116, v116, v117
	s_cbranch_execz .LBB55_230
	s_branch .LBB55_231
.LBB55_229:
                                        ; implicit-def: $vgpr116
.LBB55_230:
	ds_load_b32 v116, v1
.LBB55_231:
	s_and_saveexec_b32 s14, s0
	s_cbranch_execz .LBB55_235
; %bb.232:
	v_subrev_nc_u32_e32 v117, 32, v0
	s_movk_i32 s15, 0x160
	s_mov_b32 s0, 0
.LBB55_233:                             ; =>This Inner Loop Header: Depth=1
	scratch_load_b32 v118, off, s12
	v_dual_mov_b32 v119, s15 :: v_dual_add_nc_u32 v117, -1, v117
	s_add_co_i32 s15, s15, 4
	s_wait_xcnt 0x0
	s_add_co_i32 s12, s12, 4
	ds_load_b32 v119, v119
	v_cmp_eq_u32_e32 vcc_lo, 0, v117
	s_or_b32 s0, vcc_lo, s0
	s_wait_loadcnt_dscnt 0x0
	v_fmac_f32_e32 v116, v118, v119
	s_and_not1_b32 exec_lo, exec_lo, s0
	s_cbranch_execnz .LBB55_233
; %bb.234:
	s_or_b32 exec_lo, exec_lo, s0
.LBB55_235:
	s_delay_alu instid0(SALU_CYCLE_1)
	s_or_b32 exec_lo, exec_lo, s14
	v_mov_b32_e32 v117, 0
	ds_load_b32 v117, v117 offset:124
	s_wait_dscnt 0x0
	v_mul_f32_e32 v116, v116, v117
	scratch_store_b32 off, v116, off offset:124
.LBB55_236:
	s_wait_xcnt 0x0
	s_or_b32 exec_lo, exec_lo, s13
	scratch_load_b32 v116, off, off offset:120
	v_cmp_lt_u32_e64 s0, 30, v0
	s_wait_loadcnt 0x0
	ds_store_b32 v1, v116
	s_wait_storecnt_dscnt 0x0
	s_barrier_signal -1
	s_barrier_wait -1
	s_wait_xcnt 0x0
	s_and_saveexec_b32 s12, s0
	s_cbranch_execz .LBB55_246
; %bb.237:
	s_and_not1_b32 vcc_lo, exec_lo, s3
	s_cbranch_vccnz .LBB55_239
; %bb.238:
	scratch_load_b32 v116, v7, off
	ds_load_b32 v117, v1
	s_wait_loadcnt_dscnt 0x0
	v_mul_f32_e32 v116, v116, v117
	s_cbranch_execz .LBB55_240
	s_branch .LBB55_241
.LBB55_239:
                                        ; implicit-def: $vgpr116
.LBB55_240:
	ds_load_b32 v116, v1
.LBB55_241:
	s_and_saveexec_b32 s13, s1
	s_cbranch_execz .LBB55_245
; %bb.242:
	v_subrev_nc_u32_e32 v117, 31, v0
	s_movk_i32 s1, 0x7c
	s_movk_i32 s15, 0x15c
	s_mov_b32 s14, 0
.LBB55_243:                             ; =>This Inner Loop Header: Depth=1
	scratch_load_b32 v118, off, s1
	v_dual_mov_b32 v119, s15 :: v_dual_add_nc_u32 v117, -1, v117
	s_add_co_i32 s15, s15, 4
	s_wait_xcnt 0x0
	s_add_co_i32 s1, s1, 4
	ds_load_b32 v119, v119
	v_cmp_eq_u32_e32 vcc_lo, 0, v117
	s_or_b32 s14, vcc_lo, s14
	s_wait_loadcnt_dscnt 0x0
	v_fmac_f32_e32 v116, v118, v119
	s_and_not1_b32 exec_lo, exec_lo, s14
	s_cbranch_execnz .LBB55_243
; %bb.244:
	s_or_b32 exec_lo, exec_lo, s14
.LBB55_245:
	s_delay_alu instid0(SALU_CYCLE_1)
	s_or_b32 exec_lo, exec_lo, s13
	v_mov_b32_e32 v117, 0
	ds_load_b32 v117, v117 offset:120
	s_wait_dscnt 0x0
	v_mul_f32_e32 v116, v116, v117
	scratch_store_b32 off, v116, off offset:120
.LBB55_246:
	s_wait_xcnt 0x0
	s_or_b32 exec_lo, exec_lo, s12
	scratch_load_b32 v116, off, off offset:116
	v_cmp_lt_u32_e64 s1, 29, v0
	s_wait_loadcnt 0x0
	ds_store_b32 v1, v116
	s_wait_storecnt_dscnt 0x0
	s_barrier_signal -1
	s_barrier_wait -1
	s_wait_xcnt 0x0
	s_and_saveexec_b32 s12, s1
	s_cbranch_execz .LBB55_256
; %bb.247:
	s_and_not1_b32 vcc_lo, exec_lo, s3
	s_cbranch_vccnz .LBB55_249
; %bb.248:
	scratch_load_b32 v116, v7, off
	ds_load_b32 v117, v1
	s_wait_loadcnt_dscnt 0x0
	v_mul_f32_e32 v116, v116, v117
	s_cbranch_execz .LBB55_250
	s_branch .LBB55_251
.LBB55_249:
                                        ; implicit-def: $vgpr116
.LBB55_250:
	ds_load_b32 v116, v1
.LBB55_251:
	s_and_saveexec_b32 s13, s0
	s_cbranch_execz .LBB55_255
; %bb.252:
	v_subrev_nc_u32_e32 v117, 30, v0
	s_movk_i32 s0, 0x78
	s_movk_i32 s15, 0x158
	s_mov_b32 s14, 0
.LBB55_253:                             ; =>This Inner Loop Header: Depth=1
	scratch_load_b32 v118, off, s0
	v_dual_mov_b32 v119, s15 :: v_dual_add_nc_u32 v117, -1, v117
	s_add_co_i32 s15, s15, 4
	s_wait_xcnt 0x0
	s_add_co_i32 s0, s0, 4
	ds_load_b32 v119, v119
	v_cmp_eq_u32_e32 vcc_lo, 0, v117
	s_or_b32 s14, vcc_lo, s14
	s_wait_loadcnt_dscnt 0x0
	v_fmac_f32_e32 v116, v118, v119
	s_and_not1_b32 exec_lo, exec_lo, s14
	s_cbranch_execnz .LBB55_253
; %bb.254:
	s_or_b32 exec_lo, exec_lo, s14
.LBB55_255:
	s_delay_alu instid0(SALU_CYCLE_1)
	s_or_b32 exec_lo, exec_lo, s13
	v_mov_b32_e32 v117, 0
	ds_load_b32 v117, v117 offset:116
	s_wait_dscnt 0x0
	v_mul_f32_e32 v116, v116, v117
	scratch_store_b32 off, v116, off offset:116
.LBB55_256:
	;; [unrolled: 58-line block ×3, first 2 shown]
	s_wait_xcnt 0x0
	s_or_b32 exec_lo, exec_lo, s12
	scratch_load_b32 v116, off, off offset:108
	v_cmp_lt_u32_e64 s1, 27, v0
	s_wait_loadcnt 0x0
	ds_store_b32 v1, v116
	s_wait_storecnt_dscnt 0x0
	s_barrier_signal -1
	s_barrier_wait -1
	s_wait_xcnt 0x0
	s_and_saveexec_b32 s12, s1
	s_cbranch_execz .LBB55_276
; %bb.267:
	s_and_not1_b32 vcc_lo, exec_lo, s3
	s_cbranch_vccnz .LBB55_269
; %bb.268:
	scratch_load_b32 v116, v7, off
	ds_load_b32 v117, v1
	s_wait_loadcnt_dscnt 0x0
	v_mul_f32_e32 v116, v116, v117
	s_cbranch_execz .LBB55_270
	s_branch .LBB55_271
.LBB55_269:
                                        ; implicit-def: $vgpr116
.LBB55_270:
	ds_load_b32 v116, v1
.LBB55_271:
	s_and_saveexec_b32 s13, s0
	s_cbranch_execz .LBB55_275
; %bb.272:
	v_subrev_nc_u32_e32 v117, 28, v0
	s_movk_i32 s14, 0x150
	s_mov_b32 s0, 0
.LBB55_273:                             ; =>This Inner Loop Header: Depth=1
	scratch_load_b32 v118, off, s11
	v_dual_mov_b32 v119, s14 :: v_dual_add_nc_u32 v117, -1, v117
	s_add_co_i32 s14, s14, 4
	s_wait_xcnt 0x0
	s_add_co_i32 s11, s11, 4
	ds_load_b32 v119, v119
	v_cmp_eq_u32_e32 vcc_lo, 0, v117
	s_or_b32 s0, vcc_lo, s0
	s_wait_loadcnt_dscnt 0x0
	v_fmac_f32_e32 v116, v118, v119
	s_and_not1_b32 exec_lo, exec_lo, s0
	s_cbranch_execnz .LBB55_273
; %bb.274:
	s_or_b32 exec_lo, exec_lo, s0
.LBB55_275:
	s_delay_alu instid0(SALU_CYCLE_1)
	s_or_b32 exec_lo, exec_lo, s13
	v_mov_b32_e32 v117, 0
	ds_load_b32 v117, v117 offset:108
	s_wait_dscnt 0x0
	v_mul_f32_e32 v116, v116, v117
	scratch_store_b32 off, v116, off offset:108
.LBB55_276:
	s_wait_xcnt 0x0
	s_or_b32 exec_lo, exec_lo, s12
	scratch_load_b32 v116, off, off offset:104
	v_cmp_lt_u32_e64 s0, 26, v0
	s_wait_loadcnt 0x0
	ds_store_b32 v1, v116
	s_wait_storecnt_dscnt 0x0
	s_barrier_signal -1
	s_barrier_wait -1
	s_wait_xcnt 0x0
	s_and_saveexec_b32 s11, s0
	s_cbranch_execz .LBB55_286
; %bb.277:
	s_and_not1_b32 vcc_lo, exec_lo, s3
	s_cbranch_vccnz .LBB55_279
; %bb.278:
	scratch_load_b32 v116, v7, off
	ds_load_b32 v117, v1
	s_wait_loadcnt_dscnt 0x0
	v_mul_f32_e32 v116, v116, v117
	s_cbranch_execz .LBB55_280
	s_branch .LBB55_281
.LBB55_279:
                                        ; implicit-def: $vgpr116
.LBB55_280:
	ds_load_b32 v116, v1
.LBB55_281:
	s_and_saveexec_b32 s12, s1
	s_cbranch_execz .LBB55_285
; %bb.282:
	v_subrev_nc_u32_e32 v117, 27, v0
	s_movk_i32 s1, 0x6c
	s_movk_i32 s14, 0x14c
	s_mov_b32 s13, 0
.LBB55_283:                             ; =>This Inner Loop Header: Depth=1
	scratch_load_b32 v118, off, s1
	v_dual_mov_b32 v119, s14 :: v_dual_add_nc_u32 v117, -1, v117
	s_add_co_i32 s14, s14, 4
	s_wait_xcnt 0x0
	s_add_co_i32 s1, s1, 4
	ds_load_b32 v119, v119
	v_cmp_eq_u32_e32 vcc_lo, 0, v117
	s_or_b32 s13, vcc_lo, s13
	s_wait_loadcnt_dscnt 0x0
	v_fmac_f32_e32 v116, v118, v119
	s_and_not1_b32 exec_lo, exec_lo, s13
	s_cbranch_execnz .LBB55_283
; %bb.284:
	s_or_b32 exec_lo, exec_lo, s13
.LBB55_285:
	s_delay_alu instid0(SALU_CYCLE_1)
	s_or_b32 exec_lo, exec_lo, s12
	v_mov_b32_e32 v117, 0
	ds_load_b32 v117, v117 offset:104
	s_wait_dscnt 0x0
	v_mul_f32_e32 v116, v116, v117
	scratch_store_b32 off, v116, off offset:104
.LBB55_286:
	s_wait_xcnt 0x0
	s_or_b32 exec_lo, exec_lo, s11
	scratch_load_b32 v116, off, off offset:100
	v_cmp_lt_u32_e64 s1, 25, v0
	s_wait_loadcnt 0x0
	ds_store_b32 v1, v116
	s_wait_storecnt_dscnt 0x0
	s_barrier_signal -1
	s_barrier_wait -1
	s_wait_xcnt 0x0
	s_and_saveexec_b32 s11, s1
	s_cbranch_execz .LBB55_296
; %bb.287:
	s_and_not1_b32 vcc_lo, exec_lo, s3
	s_cbranch_vccnz .LBB55_289
; %bb.288:
	scratch_load_b32 v116, v7, off
	ds_load_b32 v117, v1
	s_wait_loadcnt_dscnt 0x0
	v_mul_f32_e32 v116, v116, v117
	s_cbranch_execz .LBB55_290
	s_branch .LBB55_291
.LBB55_289:
                                        ; implicit-def: $vgpr116
.LBB55_290:
	ds_load_b32 v116, v1
.LBB55_291:
	s_and_saveexec_b32 s12, s0
	s_cbranch_execz .LBB55_295
; %bb.292:
	v_subrev_nc_u32_e32 v117, 26, v0
	s_movk_i32 s0, 0x68
	s_movk_i32 s14, 0x148
	s_mov_b32 s13, 0
.LBB55_293:                             ; =>This Inner Loop Header: Depth=1
	scratch_load_b32 v118, off, s0
	v_dual_mov_b32 v119, s14 :: v_dual_add_nc_u32 v117, -1, v117
	s_add_co_i32 s14, s14, 4
	s_wait_xcnt 0x0
	s_add_co_i32 s0, s0, 4
	ds_load_b32 v119, v119
	v_cmp_eq_u32_e32 vcc_lo, 0, v117
	s_or_b32 s13, vcc_lo, s13
	s_wait_loadcnt_dscnt 0x0
	v_fmac_f32_e32 v116, v118, v119
	s_and_not1_b32 exec_lo, exec_lo, s13
	s_cbranch_execnz .LBB55_293
; %bb.294:
	s_or_b32 exec_lo, exec_lo, s13
.LBB55_295:
	s_delay_alu instid0(SALU_CYCLE_1)
	s_or_b32 exec_lo, exec_lo, s12
	v_mov_b32_e32 v117, 0
	ds_load_b32 v117, v117 offset:100
	s_wait_dscnt 0x0
	v_mul_f32_e32 v116, v116, v117
	scratch_store_b32 off, v116, off offset:100
.LBB55_296:
	;; [unrolled: 58-line block ×3, first 2 shown]
	s_wait_xcnt 0x0
	s_or_b32 exec_lo, exec_lo, s11
	scratch_load_b32 v116, off, off offset:92
	v_cmp_lt_u32_e64 s1, 23, v0
	s_wait_loadcnt 0x0
	ds_store_b32 v1, v116
	s_wait_storecnt_dscnt 0x0
	s_barrier_signal -1
	s_barrier_wait -1
	s_wait_xcnt 0x0
	s_and_saveexec_b32 s11, s1
	s_cbranch_execz .LBB55_316
; %bb.307:
	s_and_not1_b32 vcc_lo, exec_lo, s3
	s_cbranch_vccnz .LBB55_309
; %bb.308:
	scratch_load_b32 v116, v7, off
	ds_load_b32 v117, v1
	s_wait_loadcnt_dscnt 0x0
	v_mul_f32_e32 v116, v116, v117
	s_cbranch_execz .LBB55_310
	s_branch .LBB55_311
.LBB55_309:
                                        ; implicit-def: $vgpr116
.LBB55_310:
	ds_load_b32 v116, v1
.LBB55_311:
	s_and_saveexec_b32 s12, s0
	s_cbranch_execz .LBB55_315
; %bb.312:
	v_subrev_nc_u32_e32 v117, 24, v0
	s_movk_i32 s13, 0x140
	s_mov_b32 s0, 0
.LBB55_313:                             ; =>This Inner Loop Header: Depth=1
	scratch_load_b32 v118, off, s10
	v_dual_mov_b32 v119, s13 :: v_dual_add_nc_u32 v117, -1, v117
	s_add_co_i32 s13, s13, 4
	s_wait_xcnt 0x0
	s_add_co_i32 s10, s10, 4
	ds_load_b32 v119, v119
	v_cmp_eq_u32_e32 vcc_lo, 0, v117
	s_or_b32 s0, vcc_lo, s0
	s_wait_loadcnt_dscnt 0x0
	v_fmac_f32_e32 v116, v118, v119
	s_and_not1_b32 exec_lo, exec_lo, s0
	s_cbranch_execnz .LBB55_313
; %bb.314:
	s_or_b32 exec_lo, exec_lo, s0
.LBB55_315:
	s_delay_alu instid0(SALU_CYCLE_1)
	s_or_b32 exec_lo, exec_lo, s12
	v_mov_b32_e32 v117, 0
	ds_load_b32 v117, v117 offset:92
	s_wait_dscnt 0x0
	v_mul_f32_e32 v116, v116, v117
	scratch_store_b32 off, v116, off offset:92
.LBB55_316:
	s_wait_xcnt 0x0
	s_or_b32 exec_lo, exec_lo, s11
	scratch_load_b32 v116, off, off offset:88
	v_cmp_lt_u32_e64 s0, 22, v0
	s_wait_loadcnt 0x0
	ds_store_b32 v1, v116
	s_wait_storecnt_dscnt 0x0
	s_barrier_signal -1
	s_barrier_wait -1
	s_wait_xcnt 0x0
	s_and_saveexec_b32 s10, s0
	s_cbranch_execz .LBB55_326
; %bb.317:
	s_and_not1_b32 vcc_lo, exec_lo, s3
	s_cbranch_vccnz .LBB55_319
; %bb.318:
	scratch_load_b32 v116, v7, off
	ds_load_b32 v117, v1
	s_wait_loadcnt_dscnt 0x0
	v_mul_f32_e32 v116, v116, v117
	s_cbranch_execz .LBB55_320
	s_branch .LBB55_321
.LBB55_319:
                                        ; implicit-def: $vgpr116
.LBB55_320:
	ds_load_b32 v116, v1
.LBB55_321:
	s_and_saveexec_b32 s11, s1
	s_cbranch_execz .LBB55_325
; %bb.322:
	v_subrev_nc_u32_e32 v117, 23, v0
	s_movk_i32 s1, 0x5c
	s_movk_i32 s13, 0x13c
	s_mov_b32 s12, 0
.LBB55_323:                             ; =>This Inner Loop Header: Depth=1
	scratch_load_b32 v118, off, s1
	v_dual_mov_b32 v119, s13 :: v_dual_add_nc_u32 v117, -1, v117
	s_add_co_i32 s13, s13, 4
	s_wait_xcnt 0x0
	s_add_co_i32 s1, s1, 4
	ds_load_b32 v119, v119
	v_cmp_eq_u32_e32 vcc_lo, 0, v117
	s_or_b32 s12, vcc_lo, s12
	s_wait_loadcnt_dscnt 0x0
	v_fmac_f32_e32 v116, v118, v119
	s_and_not1_b32 exec_lo, exec_lo, s12
	s_cbranch_execnz .LBB55_323
; %bb.324:
	s_or_b32 exec_lo, exec_lo, s12
.LBB55_325:
	s_delay_alu instid0(SALU_CYCLE_1)
	s_or_b32 exec_lo, exec_lo, s11
	v_mov_b32_e32 v117, 0
	ds_load_b32 v117, v117 offset:88
	s_wait_dscnt 0x0
	v_mul_f32_e32 v116, v116, v117
	scratch_store_b32 off, v116, off offset:88
.LBB55_326:
	s_wait_xcnt 0x0
	s_or_b32 exec_lo, exec_lo, s10
	scratch_load_b32 v116, off, off offset:84
	v_cmp_lt_u32_e64 s1, 21, v0
	s_wait_loadcnt 0x0
	ds_store_b32 v1, v116
	s_wait_storecnt_dscnt 0x0
	s_barrier_signal -1
	s_barrier_wait -1
	s_wait_xcnt 0x0
	s_and_saveexec_b32 s10, s1
	s_cbranch_execz .LBB55_336
; %bb.327:
	s_and_not1_b32 vcc_lo, exec_lo, s3
	s_cbranch_vccnz .LBB55_329
; %bb.328:
	scratch_load_b32 v116, v7, off
	ds_load_b32 v117, v1
	s_wait_loadcnt_dscnt 0x0
	v_mul_f32_e32 v116, v116, v117
	s_cbranch_execz .LBB55_330
	s_branch .LBB55_331
.LBB55_329:
                                        ; implicit-def: $vgpr116
.LBB55_330:
	ds_load_b32 v116, v1
.LBB55_331:
	s_and_saveexec_b32 s11, s0
	s_cbranch_execz .LBB55_335
; %bb.332:
	v_subrev_nc_u32_e32 v117, 22, v0
	s_movk_i32 s0, 0x58
	s_movk_i32 s13, 0x138
	s_mov_b32 s12, 0
.LBB55_333:                             ; =>This Inner Loop Header: Depth=1
	scratch_load_b32 v118, off, s0
	v_dual_mov_b32 v119, s13 :: v_dual_add_nc_u32 v117, -1, v117
	s_add_co_i32 s13, s13, 4
	s_wait_xcnt 0x0
	s_add_co_i32 s0, s0, 4
	ds_load_b32 v119, v119
	v_cmp_eq_u32_e32 vcc_lo, 0, v117
	s_or_b32 s12, vcc_lo, s12
	s_wait_loadcnt_dscnt 0x0
	v_fmac_f32_e32 v116, v118, v119
	s_and_not1_b32 exec_lo, exec_lo, s12
	s_cbranch_execnz .LBB55_333
; %bb.334:
	s_or_b32 exec_lo, exec_lo, s12
.LBB55_335:
	s_delay_alu instid0(SALU_CYCLE_1)
	s_or_b32 exec_lo, exec_lo, s11
	v_mov_b32_e32 v117, 0
	ds_load_b32 v117, v117 offset:84
	s_wait_dscnt 0x0
	v_mul_f32_e32 v116, v116, v117
	scratch_store_b32 off, v116, off offset:84
.LBB55_336:
	;; [unrolled: 58-line block ×3, first 2 shown]
	s_wait_xcnt 0x0
	s_or_b32 exec_lo, exec_lo, s10
	scratch_load_b32 v116, off, off offset:76
	v_cmp_lt_u32_e64 s1, 19, v0
	s_wait_loadcnt 0x0
	ds_store_b32 v1, v116
	s_wait_storecnt_dscnt 0x0
	s_barrier_signal -1
	s_barrier_wait -1
	s_wait_xcnt 0x0
	s_and_saveexec_b32 s10, s1
	s_cbranch_execz .LBB55_356
; %bb.347:
	s_and_not1_b32 vcc_lo, exec_lo, s3
	s_cbranch_vccnz .LBB55_349
; %bb.348:
	scratch_load_b32 v116, v7, off
	ds_load_b32 v117, v1
	s_wait_loadcnt_dscnt 0x0
	v_mul_f32_e32 v116, v116, v117
	s_cbranch_execz .LBB55_350
	s_branch .LBB55_351
.LBB55_349:
                                        ; implicit-def: $vgpr116
.LBB55_350:
	ds_load_b32 v116, v1
.LBB55_351:
	s_and_saveexec_b32 s11, s0
	s_cbranch_execz .LBB55_355
; %bb.352:
	v_subrev_nc_u32_e32 v117, 20, v0
	s_movk_i32 s12, 0x130
	s_mov_b32 s0, 0
.LBB55_353:                             ; =>This Inner Loop Header: Depth=1
	scratch_load_b32 v118, off, s9
	v_dual_mov_b32 v119, s12 :: v_dual_add_nc_u32 v117, -1, v117
	s_add_co_i32 s12, s12, 4
	s_wait_xcnt 0x0
	s_add_co_i32 s9, s9, 4
	ds_load_b32 v119, v119
	v_cmp_eq_u32_e32 vcc_lo, 0, v117
	s_or_b32 s0, vcc_lo, s0
	s_wait_loadcnt_dscnt 0x0
	v_fmac_f32_e32 v116, v118, v119
	s_and_not1_b32 exec_lo, exec_lo, s0
	s_cbranch_execnz .LBB55_353
; %bb.354:
	s_or_b32 exec_lo, exec_lo, s0
.LBB55_355:
	s_delay_alu instid0(SALU_CYCLE_1)
	s_or_b32 exec_lo, exec_lo, s11
	v_mov_b32_e32 v117, 0
	ds_load_b32 v117, v117 offset:76
	s_wait_dscnt 0x0
	v_mul_f32_e32 v116, v116, v117
	scratch_store_b32 off, v116, off offset:76
.LBB55_356:
	s_wait_xcnt 0x0
	s_or_b32 exec_lo, exec_lo, s10
	scratch_load_b32 v116, off, off offset:72
	v_cmp_lt_u32_e64 s0, 18, v0
	s_wait_loadcnt 0x0
	ds_store_b32 v1, v116
	s_wait_storecnt_dscnt 0x0
	s_barrier_signal -1
	s_barrier_wait -1
	s_wait_xcnt 0x0
	s_and_saveexec_b32 s9, s0
	s_cbranch_execz .LBB55_366
; %bb.357:
	s_and_not1_b32 vcc_lo, exec_lo, s3
	s_cbranch_vccnz .LBB55_359
; %bb.358:
	scratch_load_b32 v116, v7, off
	ds_load_b32 v117, v1
	s_wait_loadcnt_dscnt 0x0
	v_mul_f32_e32 v116, v116, v117
	s_cbranch_execz .LBB55_360
	s_branch .LBB55_361
.LBB55_359:
                                        ; implicit-def: $vgpr116
.LBB55_360:
	ds_load_b32 v116, v1
.LBB55_361:
	s_and_saveexec_b32 s10, s1
	s_cbranch_execz .LBB55_365
; %bb.362:
	v_subrev_nc_u32_e32 v117, 19, v0
	s_movk_i32 s1, 0x4c
	s_movk_i32 s12, 0x12c
	s_mov_b32 s11, 0
.LBB55_363:                             ; =>This Inner Loop Header: Depth=1
	scratch_load_b32 v118, off, s1
	v_dual_mov_b32 v119, s12 :: v_dual_add_nc_u32 v117, -1, v117
	s_add_co_i32 s12, s12, 4
	s_wait_xcnt 0x0
	s_add_co_i32 s1, s1, 4
	ds_load_b32 v119, v119
	v_cmp_eq_u32_e32 vcc_lo, 0, v117
	s_or_b32 s11, vcc_lo, s11
	s_wait_loadcnt_dscnt 0x0
	v_fmac_f32_e32 v116, v118, v119
	s_and_not1_b32 exec_lo, exec_lo, s11
	s_cbranch_execnz .LBB55_363
; %bb.364:
	s_or_b32 exec_lo, exec_lo, s11
.LBB55_365:
	s_delay_alu instid0(SALU_CYCLE_1)
	s_or_b32 exec_lo, exec_lo, s10
	v_mov_b32_e32 v117, 0
	ds_load_b32 v117, v117 offset:72
	s_wait_dscnt 0x0
	v_mul_f32_e32 v116, v116, v117
	scratch_store_b32 off, v116, off offset:72
.LBB55_366:
	s_wait_xcnt 0x0
	s_or_b32 exec_lo, exec_lo, s9
	scratch_load_b32 v116, off, off offset:68
	v_cmp_lt_u32_e64 s1, 17, v0
	s_wait_loadcnt 0x0
	ds_store_b32 v1, v116
	s_wait_storecnt_dscnt 0x0
	s_barrier_signal -1
	s_barrier_wait -1
	s_wait_xcnt 0x0
	s_and_saveexec_b32 s9, s1
	s_cbranch_execz .LBB55_376
; %bb.367:
	s_and_not1_b32 vcc_lo, exec_lo, s3
	s_cbranch_vccnz .LBB55_369
; %bb.368:
	scratch_load_b32 v116, v7, off
	ds_load_b32 v117, v1
	s_wait_loadcnt_dscnt 0x0
	v_mul_f32_e32 v116, v116, v117
	s_cbranch_execz .LBB55_370
	s_branch .LBB55_371
.LBB55_369:
                                        ; implicit-def: $vgpr116
.LBB55_370:
	ds_load_b32 v116, v1
.LBB55_371:
	s_and_saveexec_b32 s10, s0
	s_cbranch_execz .LBB55_375
; %bb.372:
	v_subrev_nc_u32_e32 v117, 18, v0
	s_movk_i32 s0, 0x48
	s_movk_i32 s12, 0x128
	s_mov_b32 s11, 0
.LBB55_373:                             ; =>This Inner Loop Header: Depth=1
	scratch_load_b32 v118, off, s0
	v_dual_mov_b32 v119, s12 :: v_dual_add_nc_u32 v117, -1, v117
	s_add_co_i32 s12, s12, 4
	s_wait_xcnt 0x0
	s_add_co_i32 s0, s0, 4
	ds_load_b32 v119, v119
	v_cmp_eq_u32_e32 vcc_lo, 0, v117
	s_or_b32 s11, vcc_lo, s11
	s_wait_loadcnt_dscnt 0x0
	v_fmac_f32_e32 v116, v118, v119
	s_and_not1_b32 exec_lo, exec_lo, s11
	s_cbranch_execnz .LBB55_373
; %bb.374:
	s_or_b32 exec_lo, exec_lo, s11
.LBB55_375:
	s_delay_alu instid0(SALU_CYCLE_1)
	s_or_b32 exec_lo, exec_lo, s10
	v_mov_b32_e32 v117, 0
	ds_load_b32 v117, v117 offset:68
	s_wait_dscnt 0x0
	v_mul_f32_e32 v116, v116, v117
	scratch_store_b32 off, v116, off offset:68
.LBB55_376:
	;; [unrolled: 58-line block ×3, first 2 shown]
	s_wait_xcnt 0x0
	s_or_b32 exec_lo, exec_lo, s9
	scratch_load_b32 v116, off, off offset:60
	v_cmp_lt_u32_e64 s1, 15, v0
	s_wait_loadcnt 0x0
	ds_store_b32 v1, v116
	s_wait_storecnt_dscnt 0x0
	s_barrier_signal -1
	s_barrier_wait -1
	s_wait_xcnt 0x0
	s_and_saveexec_b32 s9, s1
	s_cbranch_execz .LBB55_396
; %bb.387:
	s_and_not1_b32 vcc_lo, exec_lo, s3
	s_cbranch_vccnz .LBB55_389
; %bb.388:
	scratch_load_b32 v116, v7, off
	ds_load_b32 v117, v1
	s_wait_loadcnt_dscnt 0x0
	v_mul_f32_e32 v116, v116, v117
	s_cbranch_execz .LBB55_390
	s_branch .LBB55_391
.LBB55_389:
                                        ; implicit-def: $vgpr116
.LBB55_390:
	ds_load_b32 v116, v1
.LBB55_391:
	s_and_saveexec_b32 s10, s0
	s_cbranch_execz .LBB55_395
; %bb.392:
	v_add_nc_u32_e32 v117, -16, v0
	s_movk_i32 s11, 0x120
	s_mov_b32 s0, 0
.LBB55_393:                             ; =>This Inner Loop Header: Depth=1
	scratch_load_b32 v118, off, s8
	v_dual_mov_b32 v119, s11 :: v_dual_add_nc_u32 v117, -1, v117
	s_add_co_i32 s11, s11, 4
	s_wait_xcnt 0x0
	s_add_co_i32 s8, s8, 4
	ds_load_b32 v119, v119
	v_cmp_eq_u32_e32 vcc_lo, 0, v117
	s_or_b32 s0, vcc_lo, s0
	s_wait_loadcnt_dscnt 0x0
	v_fmac_f32_e32 v116, v118, v119
	s_and_not1_b32 exec_lo, exec_lo, s0
	s_cbranch_execnz .LBB55_393
; %bb.394:
	s_or_b32 exec_lo, exec_lo, s0
.LBB55_395:
	s_delay_alu instid0(SALU_CYCLE_1)
	s_or_b32 exec_lo, exec_lo, s10
	v_mov_b32_e32 v117, 0
	ds_load_b32 v117, v117 offset:60
	s_wait_dscnt 0x0
	v_mul_f32_e32 v116, v116, v117
	scratch_store_b32 off, v116, off offset:60
.LBB55_396:
	s_wait_xcnt 0x0
	s_or_b32 exec_lo, exec_lo, s9
	scratch_load_b32 v116, off, off offset:56
	v_cmp_lt_u32_e64 s0, 14, v0
	s_wait_loadcnt 0x0
	ds_store_b32 v1, v116
	s_wait_storecnt_dscnt 0x0
	s_barrier_signal -1
	s_barrier_wait -1
	s_wait_xcnt 0x0
	s_and_saveexec_b32 s8, s0
	s_cbranch_execz .LBB55_406
; %bb.397:
	s_and_not1_b32 vcc_lo, exec_lo, s3
	s_cbranch_vccnz .LBB55_399
; %bb.398:
	scratch_load_b32 v116, v7, off
	ds_load_b32 v117, v1
	s_wait_loadcnt_dscnt 0x0
	v_mul_f32_e32 v116, v116, v117
	s_cbranch_execz .LBB55_400
	s_branch .LBB55_401
.LBB55_399:
                                        ; implicit-def: $vgpr116
.LBB55_400:
	ds_load_b32 v116, v1
.LBB55_401:
	s_and_saveexec_b32 s9, s1
	s_cbranch_execz .LBB55_405
; %bb.402:
	v_add_nc_u32_e32 v117, -15, v0
	s_mov_b32 s1, 60
	s_movk_i32 s11, 0x11c
	s_mov_b32 s10, 0
.LBB55_403:                             ; =>This Inner Loop Header: Depth=1
	scratch_load_b32 v118, off, s1
	v_dual_mov_b32 v119, s11 :: v_dual_add_nc_u32 v117, -1, v117
	s_add_co_i32 s11, s11, 4
	s_wait_xcnt 0x0
	s_add_co_i32 s1, s1, 4
	ds_load_b32 v119, v119
	v_cmp_eq_u32_e32 vcc_lo, 0, v117
	s_or_b32 s10, vcc_lo, s10
	s_wait_loadcnt_dscnt 0x0
	v_fmac_f32_e32 v116, v118, v119
	s_and_not1_b32 exec_lo, exec_lo, s10
	s_cbranch_execnz .LBB55_403
; %bb.404:
	s_or_b32 exec_lo, exec_lo, s10
.LBB55_405:
	s_delay_alu instid0(SALU_CYCLE_1)
	s_or_b32 exec_lo, exec_lo, s9
	v_mov_b32_e32 v117, 0
	ds_load_b32 v117, v117 offset:56
	s_wait_dscnt 0x0
	v_mul_f32_e32 v116, v116, v117
	scratch_store_b32 off, v116, off offset:56
.LBB55_406:
	s_wait_xcnt 0x0
	s_or_b32 exec_lo, exec_lo, s8
	scratch_load_b32 v116, off, off offset:52
	v_cmp_lt_u32_e64 s1, 13, v0
	s_wait_loadcnt 0x0
	ds_store_b32 v1, v116
	s_wait_storecnt_dscnt 0x0
	s_barrier_signal -1
	s_barrier_wait -1
	s_wait_xcnt 0x0
	s_and_saveexec_b32 s8, s1
	s_cbranch_execz .LBB55_416
; %bb.407:
	s_and_not1_b32 vcc_lo, exec_lo, s3
	s_cbranch_vccnz .LBB55_409
; %bb.408:
	scratch_load_b32 v116, v7, off
	ds_load_b32 v117, v1
	s_wait_loadcnt_dscnt 0x0
	v_mul_f32_e32 v116, v116, v117
	s_cbranch_execz .LBB55_410
	s_branch .LBB55_411
.LBB55_409:
                                        ; implicit-def: $vgpr116
.LBB55_410:
	ds_load_b32 v116, v1
.LBB55_411:
	s_and_saveexec_b32 s9, s0
	s_cbranch_execz .LBB55_415
; %bb.412:
	v_add_nc_u32_e32 v117, -14, v0
	s_mov_b32 s0, 56
	s_movk_i32 s11, 0x118
	s_mov_b32 s10, 0
.LBB55_413:                             ; =>This Inner Loop Header: Depth=1
	scratch_load_b32 v118, off, s0
	v_dual_mov_b32 v119, s11 :: v_dual_add_nc_u32 v117, -1, v117
	s_add_co_i32 s11, s11, 4
	s_wait_xcnt 0x0
	s_add_co_i32 s0, s0, 4
	ds_load_b32 v119, v119
	v_cmp_eq_u32_e32 vcc_lo, 0, v117
	s_or_b32 s10, vcc_lo, s10
	s_wait_loadcnt_dscnt 0x0
	v_fmac_f32_e32 v116, v118, v119
	s_and_not1_b32 exec_lo, exec_lo, s10
	s_cbranch_execnz .LBB55_413
; %bb.414:
	s_or_b32 exec_lo, exec_lo, s10
.LBB55_415:
	s_delay_alu instid0(SALU_CYCLE_1)
	s_or_b32 exec_lo, exec_lo, s9
	v_mov_b32_e32 v117, 0
	ds_load_b32 v117, v117 offset:52
	s_wait_dscnt 0x0
	v_mul_f32_e32 v116, v116, v117
	scratch_store_b32 off, v116, off offset:52
.LBB55_416:
	;; [unrolled: 58-line block ×3, first 2 shown]
	s_wait_xcnt 0x0
	s_or_b32 exec_lo, exec_lo, s8
	scratch_load_b32 v116, off, off offset:44
	v_cmp_lt_u32_e64 s1, 11, v0
	s_wait_loadcnt 0x0
	ds_store_b32 v1, v116
	s_wait_storecnt_dscnt 0x0
	s_barrier_signal -1
	s_barrier_wait -1
	s_wait_xcnt 0x0
	s_and_saveexec_b32 s8, s1
	s_cbranch_execz .LBB55_436
; %bb.427:
	s_and_not1_b32 vcc_lo, exec_lo, s3
	s_cbranch_vccnz .LBB55_429
; %bb.428:
	scratch_load_b32 v116, v7, off
	ds_load_b32 v117, v1
	s_wait_loadcnt_dscnt 0x0
	v_mul_f32_e32 v116, v116, v117
	s_cbranch_execz .LBB55_430
	s_branch .LBB55_431
.LBB55_429:
                                        ; implicit-def: $vgpr116
.LBB55_430:
	ds_load_b32 v116, v1
.LBB55_431:
	s_and_saveexec_b32 s9, s0
	s_cbranch_execz .LBB55_435
; %bb.432:
	v_add_nc_u32_e32 v117, -12, v0
	s_movk_i32 s10, 0x110
	s_mov_b32 s0, 0
.LBB55_433:                             ; =>This Inner Loop Header: Depth=1
	scratch_load_b32 v118, off, s5
	v_dual_mov_b32 v119, s10 :: v_dual_add_nc_u32 v117, -1, v117
	s_add_co_i32 s10, s10, 4
	s_wait_xcnt 0x0
	s_add_co_i32 s5, s5, 4
	ds_load_b32 v119, v119
	v_cmp_eq_u32_e32 vcc_lo, 0, v117
	s_or_b32 s0, vcc_lo, s0
	s_wait_loadcnt_dscnt 0x0
	v_fmac_f32_e32 v116, v118, v119
	s_and_not1_b32 exec_lo, exec_lo, s0
	s_cbranch_execnz .LBB55_433
; %bb.434:
	s_or_b32 exec_lo, exec_lo, s0
.LBB55_435:
	s_delay_alu instid0(SALU_CYCLE_1)
	s_or_b32 exec_lo, exec_lo, s9
	v_mov_b32_e32 v117, 0
	ds_load_b32 v117, v117 offset:44
	s_wait_dscnt 0x0
	v_mul_f32_e32 v116, v116, v117
	scratch_store_b32 off, v116, off offset:44
.LBB55_436:
	s_wait_xcnt 0x0
	s_or_b32 exec_lo, exec_lo, s8
	scratch_load_b32 v116, off, off offset:40
	v_cmp_lt_u32_e64 s0, 10, v0
	s_wait_loadcnt 0x0
	ds_store_b32 v1, v116
	s_wait_storecnt_dscnt 0x0
	s_barrier_signal -1
	s_barrier_wait -1
	s_wait_xcnt 0x0
	s_and_saveexec_b32 s5, s0
	s_cbranch_execz .LBB55_446
; %bb.437:
	s_and_not1_b32 vcc_lo, exec_lo, s3
	s_cbranch_vccnz .LBB55_439
; %bb.438:
	scratch_load_b32 v116, v7, off
	ds_load_b32 v117, v1
	s_wait_loadcnt_dscnt 0x0
	v_mul_f32_e32 v116, v116, v117
	s_cbranch_execz .LBB55_440
	s_branch .LBB55_441
.LBB55_439:
                                        ; implicit-def: $vgpr116
.LBB55_440:
	ds_load_b32 v116, v1
.LBB55_441:
	s_and_saveexec_b32 s8, s1
	s_cbranch_execz .LBB55_445
; %bb.442:
	v_add_nc_u32_e32 v117, -11, v0
	s_mov_b32 s1, 44
	s_movk_i32 s10, 0x10c
	s_mov_b32 s9, 0
.LBB55_443:                             ; =>This Inner Loop Header: Depth=1
	scratch_load_b32 v118, off, s1
	v_dual_mov_b32 v119, s10 :: v_dual_add_nc_u32 v117, -1, v117
	s_add_co_i32 s10, s10, 4
	s_wait_xcnt 0x0
	s_add_co_i32 s1, s1, 4
	ds_load_b32 v119, v119
	v_cmp_eq_u32_e32 vcc_lo, 0, v117
	s_or_b32 s9, vcc_lo, s9
	s_wait_loadcnt_dscnt 0x0
	v_fmac_f32_e32 v116, v118, v119
	s_and_not1_b32 exec_lo, exec_lo, s9
	s_cbranch_execnz .LBB55_443
; %bb.444:
	s_or_b32 exec_lo, exec_lo, s9
.LBB55_445:
	s_delay_alu instid0(SALU_CYCLE_1)
	s_or_b32 exec_lo, exec_lo, s8
	v_mov_b32_e32 v117, 0
	ds_load_b32 v117, v117 offset:40
	s_wait_dscnt 0x0
	v_mul_f32_e32 v116, v116, v117
	scratch_store_b32 off, v116, off offset:40
.LBB55_446:
	s_wait_xcnt 0x0
	s_or_b32 exec_lo, exec_lo, s5
	scratch_load_b32 v116, off, off offset:36
	v_cmp_lt_u32_e64 s1, 9, v0
	s_wait_loadcnt 0x0
	ds_store_b32 v1, v116
	s_wait_storecnt_dscnt 0x0
	s_barrier_signal -1
	s_barrier_wait -1
	s_wait_xcnt 0x0
	s_and_saveexec_b32 s5, s1
	s_cbranch_execz .LBB55_456
; %bb.447:
	s_and_not1_b32 vcc_lo, exec_lo, s3
	s_cbranch_vccnz .LBB55_449
; %bb.448:
	scratch_load_b32 v116, v7, off
	ds_load_b32 v117, v1
	s_wait_loadcnt_dscnt 0x0
	v_mul_f32_e32 v116, v116, v117
	s_cbranch_execz .LBB55_450
	s_branch .LBB55_451
.LBB55_449:
                                        ; implicit-def: $vgpr116
.LBB55_450:
	ds_load_b32 v116, v1
.LBB55_451:
	s_and_saveexec_b32 s8, s0
	s_cbranch_execz .LBB55_455
; %bb.452:
	v_add_nc_u32_e32 v117, -10, v0
	s_mov_b32 s0, 40
	s_movk_i32 s10, 0x108
	s_mov_b32 s9, 0
.LBB55_453:                             ; =>This Inner Loop Header: Depth=1
	scratch_load_b32 v118, off, s0
	v_dual_mov_b32 v119, s10 :: v_dual_add_nc_u32 v117, -1, v117
	s_add_co_i32 s10, s10, 4
	s_wait_xcnt 0x0
	s_add_co_i32 s0, s0, 4
	ds_load_b32 v119, v119
	v_cmp_eq_u32_e32 vcc_lo, 0, v117
	s_or_b32 s9, vcc_lo, s9
	s_wait_loadcnt_dscnt 0x0
	v_fmac_f32_e32 v116, v118, v119
	s_and_not1_b32 exec_lo, exec_lo, s9
	s_cbranch_execnz .LBB55_453
; %bb.454:
	s_or_b32 exec_lo, exec_lo, s9
.LBB55_455:
	s_delay_alu instid0(SALU_CYCLE_1)
	s_or_b32 exec_lo, exec_lo, s8
	v_mov_b32_e32 v117, 0
	ds_load_b32 v117, v117 offset:36
	s_wait_dscnt 0x0
	v_mul_f32_e32 v116, v116, v117
	scratch_store_b32 off, v116, off offset:36
.LBB55_456:
	;; [unrolled: 58-line block ×3, first 2 shown]
	s_wait_xcnt 0x0
	s_or_b32 exec_lo, exec_lo, s5
	scratch_load_b32 v116, off, off offset:28
	v_cmp_lt_u32_e64 s1, 7, v0
	s_wait_loadcnt 0x0
	ds_store_b32 v1, v116
	s_wait_storecnt_dscnt 0x0
	s_barrier_signal -1
	s_barrier_wait -1
	s_wait_xcnt 0x0
	s_and_saveexec_b32 s5, s1
	s_cbranch_execz .LBB55_476
; %bb.467:
	s_and_not1_b32 vcc_lo, exec_lo, s3
	s_cbranch_vccnz .LBB55_469
; %bb.468:
	scratch_load_b32 v116, v7, off
	ds_load_b32 v117, v1
	s_wait_loadcnt_dscnt 0x0
	v_mul_f32_e32 v116, v116, v117
	s_cbranch_execz .LBB55_470
	s_branch .LBB55_471
.LBB55_469:
                                        ; implicit-def: $vgpr116
.LBB55_470:
	ds_load_b32 v116, v1
.LBB55_471:
	s_and_saveexec_b32 s8, s0
	s_cbranch_execz .LBB55_475
; %bb.472:
	v_add_nc_u32_e32 v117, -8, v0
	s_movk_i32 s9, 0x100
	s_mov_b32 s0, 0
.LBB55_473:                             ; =>This Inner Loop Header: Depth=1
	scratch_load_b32 v118, off, s2
	v_dual_mov_b32 v119, s9 :: v_dual_add_nc_u32 v117, -1, v117
	s_add_co_i32 s9, s9, 4
	s_wait_xcnt 0x0
	s_add_co_i32 s2, s2, 4
	ds_load_b32 v119, v119
	v_cmp_eq_u32_e32 vcc_lo, 0, v117
	s_or_b32 s0, vcc_lo, s0
	s_wait_loadcnt_dscnt 0x0
	v_fmac_f32_e32 v116, v118, v119
	s_and_not1_b32 exec_lo, exec_lo, s0
	s_cbranch_execnz .LBB55_473
; %bb.474:
	s_or_b32 exec_lo, exec_lo, s0
.LBB55_475:
	s_delay_alu instid0(SALU_CYCLE_1)
	s_or_b32 exec_lo, exec_lo, s8
	v_mov_b32_e32 v117, 0
	ds_load_b32 v117, v117 offset:28
	s_wait_dscnt 0x0
	v_mul_f32_e32 v116, v116, v117
	scratch_store_b32 off, v116, off offset:28
.LBB55_476:
	s_wait_xcnt 0x0
	s_or_b32 exec_lo, exec_lo, s5
	scratch_load_b32 v116, off, off offset:24
	v_cmp_lt_u32_e64 s0, 6, v0
	s_wait_loadcnt 0x0
	ds_store_b32 v1, v116
	s_wait_storecnt_dscnt 0x0
	s_barrier_signal -1
	s_barrier_wait -1
	s_wait_xcnt 0x0
	s_and_saveexec_b32 s2, s0
	s_cbranch_execz .LBB55_486
; %bb.477:
	s_and_not1_b32 vcc_lo, exec_lo, s3
	s_cbranch_vccnz .LBB55_479
; %bb.478:
	scratch_load_b32 v116, v7, off
	ds_load_b32 v117, v1
	s_wait_loadcnt_dscnt 0x0
	v_mul_f32_e32 v116, v116, v117
	s_cbranch_execz .LBB55_480
	s_branch .LBB55_481
.LBB55_479:
                                        ; implicit-def: $vgpr116
.LBB55_480:
	ds_load_b32 v116, v1
.LBB55_481:
	s_and_saveexec_b32 s5, s1
	s_cbranch_execz .LBB55_485
; %bb.482:
	v_add_nc_u32_e32 v117, -7, v0
	s_mov_b32 s1, 28
	s_movk_i32 s9, 0xfc
	s_mov_b32 s8, 0
.LBB55_483:                             ; =>This Inner Loop Header: Depth=1
	scratch_load_b32 v118, off, s1
	v_dual_mov_b32 v119, s9 :: v_dual_add_nc_u32 v117, -1, v117
	s_add_co_i32 s9, s9, 4
	s_wait_xcnt 0x0
	s_add_co_i32 s1, s1, 4
	ds_load_b32 v119, v119
	v_cmp_eq_u32_e32 vcc_lo, 0, v117
	s_or_b32 s8, vcc_lo, s8
	s_wait_loadcnt_dscnt 0x0
	v_fmac_f32_e32 v116, v118, v119
	s_and_not1_b32 exec_lo, exec_lo, s8
	s_cbranch_execnz .LBB55_483
; %bb.484:
	s_or_b32 exec_lo, exec_lo, s8
.LBB55_485:
	s_delay_alu instid0(SALU_CYCLE_1)
	s_or_b32 exec_lo, exec_lo, s5
	v_mov_b32_e32 v117, 0
	ds_load_b32 v117, v117 offset:24
	s_wait_dscnt 0x0
	v_mul_f32_e32 v116, v116, v117
	scratch_store_b32 off, v116, off offset:24
.LBB55_486:
	s_wait_xcnt 0x0
	s_or_b32 exec_lo, exec_lo, s2
	scratch_load_b32 v116, off, off offset:20
	v_cmp_lt_u32_e64 s1, 5, v0
	s_wait_loadcnt 0x0
	ds_store_b32 v1, v116
	s_wait_storecnt_dscnt 0x0
	s_barrier_signal -1
	s_barrier_wait -1
	s_wait_xcnt 0x0
	s_and_saveexec_b32 s2, s1
	s_cbranch_execz .LBB55_496
; %bb.487:
	s_and_not1_b32 vcc_lo, exec_lo, s3
	s_cbranch_vccnz .LBB55_489
; %bb.488:
	scratch_load_b32 v116, v7, off
	ds_load_b32 v117, v1
	s_wait_loadcnt_dscnt 0x0
	v_mul_f32_e32 v116, v116, v117
	s_cbranch_execz .LBB55_490
	s_branch .LBB55_491
.LBB55_489:
                                        ; implicit-def: $vgpr116
.LBB55_490:
	ds_load_b32 v116, v1
.LBB55_491:
	s_and_saveexec_b32 s5, s0
	s_cbranch_execz .LBB55_495
; %bb.492:
	v_add_nc_u32_e32 v117, -6, v0
	s_mov_b32 s0, 24
	s_movk_i32 s9, 0xf8
	s_mov_b32 s8, 0
.LBB55_493:                             ; =>This Inner Loop Header: Depth=1
	scratch_load_b32 v118, off, s0
	v_dual_mov_b32 v119, s9 :: v_dual_add_nc_u32 v117, -1, v117
	s_add_co_i32 s9, s9, 4
	s_wait_xcnt 0x0
	s_add_co_i32 s0, s0, 4
	ds_load_b32 v119, v119
	v_cmp_eq_u32_e32 vcc_lo, 0, v117
	s_or_b32 s8, vcc_lo, s8
	s_wait_loadcnt_dscnt 0x0
	v_fmac_f32_e32 v116, v118, v119
	s_and_not1_b32 exec_lo, exec_lo, s8
	s_cbranch_execnz .LBB55_493
; %bb.494:
	s_or_b32 exec_lo, exec_lo, s8
.LBB55_495:
	s_delay_alu instid0(SALU_CYCLE_1)
	s_or_b32 exec_lo, exec_lo, s5
	v_mov_b32_e32 v117, 0
	ds_load_b32 v117, v117 offset:20
	s_wait_dscnt 0x0
	v_mul_f32_e32 v116, v116, v117
	scratch_store_b32 off, v116, off offset:20
.LBB55_496:
	;; [unrolled: 58-line block ×3, first 2 shown]
	s_wait_xcnt 0x0
	s_or_b32 exec_lo, exec_lo, s2
	scratch_load_b32 v116, off, off offset:12
	v_cmp_lt_u32_e64 s2, 3, v0
	s_wait_loadcnt 0x0
	ds_store_b32 v1, v116
	s_wait_storecnt_dscnt 0x0
	s_barrier_signal -1
	s_barrier_wait -1
	s_wait_xcnt 0x0
	s_and_saveexec_b32 s1, s2
	s_cbranch_execz .LBB55_516
; %bb.507:
	s_and_not1_b32 vcc_lo, exec_lo, s3
	s_cbranch_vccnz .LBB55_509
; %bb.508:
	scratch_load_b32 v116, v7, off
	ds_load_b32 v117, v1
	s_wait_loadcnt_dscnt 0x0
	v_mul_f32_e32 v116, v116, v117
	s_cbranch_execz .LBB55_510
	s_branch .LBB55_511
.LBB55_509:
                                        ; implicit-def: $vgpr116
.LBB55_510:
	ds_load_b32 v116, v1
.LBB55_511:
	s_and_saveexec_b32 s5, s0
	s_cbranch_execz .LBB55_515
; %bb.512:
	v_add_nc_u32_e32 v117, -4, v0
	s_movk_i32 s8, 0xf0
	s_mov_b32 s0, 0
.LBB55_513:                             ; =>This Inner Loop Header: Depth=1
	scratch_load_b32 v118, off, s4
	v_dual_mov_b32 v119, s8 :: v_dual_add_nc_u32 v117, -1, v117
	s_add_co_i32 s8, s8, 4
	s_wait_xcnt 0x0
	s_add_co_i32 s4, s4, 4
	ds_load_b32 v119, v119
	v_cmp_eq_u32_e32 vcc_lo, 0, v117
	s_or_b32 s0, vcc_lo, s0
	s_wait_loadcnt_dscnt 0x0
	v_fmac_f32_e32 v116, v118, v119
	s_and_not1_b32 exec_lo, exec_lo, s0
	s_cbranch_execnz .LBB55_513
; %bb.514:
	s_or_b32 exec_lo, exec_lo, s0
.LBB55_515:
	s_delay_alu instid0(SALU_CYCLE_1)
	s_or_b32 exec_lo, exec_lo, s5
	v_mov_b32_e32 v117, 0
	ds_load_b32 v117, v117 offset:12
	s_wait_dscnt 0x0
	v_mul_f32_e32 v116, v116, v117
	scratch_store_b32 off, v116, off offset:12
.LBB55_516:
	s_wait_xcnt 0x0
	s_or_b32 exec_lo, exec_lo, s1
	scratch_load_b32 v116, off, off offset:8
	v_cmp_lt_u32_e64 s1, 2, v0
	s_wait_loadcnt 0x0
	ds_store_b32 v1, v116
	s_wait_storecnt_dscnt 0x0
	s_barrier_signal -1
	s_barrier_wait -1
	s_wait_xcnt 0x0
	s_and_saveexec_b32 s0, s1
	s_cbranch_execz .LBB55_526
; %bb.517:
	s_and_not1_b32 vcc_lo, exec_lo, s3
	s_cbranch_vccnz .LBB55_519
; %bb.518:
	scratch_load_b32 v116, v7, off
	ds_load_b32 v117, v1
	s_wait_loadcnt_dscnt 0x0
	v_mul_f32_e32 v116, v116, v117
	s_cbranch_execz .LBB55_520
	s_branch .LBB55_521
.LBB55_519:
                                        ; implicit-def: $vgpr116
.LBB55_520:
	ds_load_b32 v116, v1
.LBB55_521:
	s_and_saveexec_b32 s4, s2
	s_cbranch_execz .LBB55_525
; %bb.522:
	v_add_nc_u32_e32 v117, -3, v0
	s_or_b32 s2, 0, 12
	s_movk_i32 s8, 0xec
	s_mov_b32 s5, 0
.LBB55_523:                             ; =>This Inner Loop Header: Depth=1
	scratch_load_b32 v118, off, s2
	v_dual_mov_b32 v119, s8 :: v_dual_add_nc_u32 v117, -1, v117
	s_add_co_i32 s8, s8, 4
	s_wait_xcnt 0x0
	s_add_co_i32 s2, s2, 4
	ds_load_b32 v119, v119
	v_cmp_eq_u32_e32 vcc_lo, 0, v117
	s_or_b32 s5, vcc_lo, s5
	s_wait_loadcnt_dscnt 0x0
	v_fmac_f32_e32 v116, v118, v119
	s_and_not1_b32 exec_lo, exec_lo, s5
	s_cbranch_execnz .LBB55_523
; %bb.524:
	s_or_b32 exec_lo, exec_lo, s5
.LBB55_525:
	s_delay_alu instid0(SALU_CYCLE_1)
	s_or_b32 exec_lo, exec_lo, s4
	v_mov_b32_e32 v117, 0
	ds_load_b32 v117, v117 offset:8
	s_wait_dscnt 0x0
	v_mul_f32_e32 v116, v116, v117
	scratch_store_b32 off, v116, off offset:8
.LBB55_526:
	s_wait_xcnt 0x0
	s_or_b32 exec_lo, exec_lo, s0
	scratch_load_b32 v116, off, off offset:4
	v_cmp_lt_u32_e64 s0, 1, v0
	s_wait_loadcnt 0x0
	ds_store_b32 v1, v116
	s_wait_storecnt_dscnt 0x0
	s_barrier_signal -1
	s_barrier_wait -1
	s_wait_xcnt 0x0
	s_and_saveexec_b32 s2, s0
	s_cbranch_execz .LBB55_536
; %bb.527:
	s_and_not1_b32 vcc_lo, exec_lo, s3
	s_cbranch_vccnz .LBB55_529
; %bb.528:
	scratch_load_b32 v116, v7, off
	ds_load_b32 v117, v1
	s_wait_loadcnt_dscnt 0x0
	v_mul_f32_e32 v116, v116, v117
	s_cbranch_execz .LBB55_530
	s_branch .LBB55_531
.LBB55_529:
                                        ; implicit-def: $vgpr116
.LBB55_530:
	ds_load_b32 v116, v1
.LBB55_531:
	s_and_saveexec_b32 s4, s1
	s_cbranch_execz .LBB55_535
; %bb.532:
	v_add_nc_u32_e32 v117, -2, v0
	s_or_b32 s1, 0, 8
	s_movk_i32 s8, 0xe8
	s_mov_b32 s5, 0
.LBB55_533:                             ; =>This Inner Loop Header: Depth=1
	scratch_load_b32 v118, off, s1
	v_dual_mov_b32 v119, s8 :: v_dual_add_nc_u32 v117, -1, v117
	s_add_co_i32 s8, s8, 4
	s_wait_xcnt 0x0
	s_add_co_i32 s1, s1, 4
	ds_load_b32 v119, v119
	v_cmp_eq_u32_e32 vcc_lo, 0, v117
	s_or_b32 s5, vcc_lo, s5
	s_wait_loadcnt_dscnt 0x0
	v_fmac_f32_e32 v116, v118, v119
	s_and_not1_b32 exec_lo, exec_lo, s5
	s_cbranch_execnz .LBB55_533
; %bb.534:
	s_or_b32 exec_lo, exec_lo, s5
.LBB55_535:
	s_delay_alu instid0(SALU_CYCLE_1)
	s_or_b32 exec_lo, exec_lo, s4
	v_mov_b32_e32 v117, 0
	ds_load_b32 v117, v117 offset:4
	s_wait_dscnt 0x0
	v_mul_f32_e32 v116, v116, v117
	scratch_store_b32 off, v116, off offset:4
.LBB55_536:
	s_wait_xcnt 0x0
	s_or_b32 exec_lo, exec_lo, s2
	scratch_load_b32 v116, off, off
	s_mov_b32 s1, 0
	s_mov_b32 s2, exec_lo
	s_wait_loadcnt 0x0
	ds_store_b32 v1, v116
	s_wait_storecnt_dscnt 0x0
	s_barrier_signal -1
	s_barrier_wait -1
	s_wait_xcnt 0x0
	v_cmpx_ne_u32_e32 0, v0
	s_cbranch_execz .LBB55_546
; %bb.537:
	s_and_not1_b32 vcc_lo, exec_lo, s3
	s_cbranch_vccnz .LBB55_539
; %bb.538:
	scratch_load_b32 v116, v7, off
	ds_load_b32 v117, v1
	s_wait_loadcnt_dscnt 0x0
	v_mul_f32_e32 v116, v116, v117
	s_cbranch_execz .LBB55_540
	s_branch .LBB55_541
.LBB55_539:
                                        ; implicit-def: $vgpr116
.LBB55_540:
	ds_load_b32 v116, v1
.LBB55_541:
	s_and_saveexec_b32 s4, s0
	s_cbranch_execz .LBB55_545
; %bb.542:
	v_add_nc_u32_e32 v117, -1, v0
	s_or_b32 s0, 0, 4
	s_movk_i32 s8, 0xe4
	s_mov_b32 s5, 0
.LBB55_543:                             ; =>This Inner Loop Header: Depth=1
	scratch_load_b32 v118, off, s0
	v_dual_mov_b32 v119, s8 :: v_dual_add_nc_u32 v117, -1, v117
	s_add_co_i32 s8, s8, 4
	s_wait_xcnt 0x0
	s_add_co_i32 s0, s0, 4
	ds_load_b32 v119, v119
	v_cmp_eq_u32_e32 vcc_lo, 0, v117
	s_or_b32 s5, vcc_lo, s5
	s_wait_loadcnt_dscnt 0x0
	v_fmac_f32_e32 v116, v118, v119
	s_and_not1_b32 exec_lo, exec_lo, s5
	s_cbranch_execnz .LBB55_543
; %bb.544:
	s_or_b32 exec_lo, exec_lo, s5
.LBB55_545:
	s_delay_alu instid0(SALU_CYCLE_1)
	s_or_b32 exec_lo, exec_lo, s4
	v_mov_b32_e32 v117, 0
	ds_load_b32 v117, v117
	s_wait_dscnt 0x0
	v_mul_f32_e32 v116, v116, v117
	scratch_store_b32 off, v116, off
.LBB55_546:
	s_wait_xcnt 0x0
	s_or_b32 exec_lo, exec_lo, s2
.LBB55_547:
	v_lshl_add_u64 v[140:141], v[8:9], 2, s[6:7]
	v_lshl_add_u64 v[142:143], v[10:11], 2, s[6:7]
	;; [unrolled: 1-line block ×54, first 2 shown]
	s_and_b32 vcc_lo, exec_lo, s1
	s_cbranch_vccz .LBB55_1089
; %bb.548:
	scratch_load_b32 v88, off, off offset:4
	v_cmp_eq_u32_e64 s0, 0, v0
	s_wait_loadcnt 0x0
	ds_store_b32 v1, v88
	s_wait_storecnt_dscnt 0x0
	s_barrier_signal -1
	s_barrier_wait -1
	s_wait_xcnt 0x0
	s_and_saveexec_b32 s1, s0
	s_cbranch_execz .LBB55_554
; %bb.549:
	s_and_b32 vcc_lo, exec_lo, s3
	s_cbranch_vccz .LBB55_551
; %bb.550:
	scratch_load_b32 v88, v7, off
	ds_load_b32 v89, v1
	s_wait_loadcnt_dscnt 0x0
	v_mul_f32_e32 v88, v88, v89
	s_cbranch_execz .LBB55_552
	s_branch .LBB55_553
.LBB55_551:
                                        ; implicit-def: $vgpr88
.LBB55_552:
	ds_load_b32 v88, v1
.LBB55_553:
	v_mov_b32_e32 v89, 0
	ds_load_b32 v89, v89 offset:4
	s_wait_dscnt 0x0
	v_mul_f32_e32 v88, v88, v89
	scratch_store_b32 off, v88, off offset:4
.LBB55_554:
	s_wait_xcnt 0x0
	s_or_b32 exec_lo, exec_lo, s1
	scratch_load_b32 v89, off, off offset:8
	v_cndmask_b32_e64 v88, 0, 1, s3
	s_mov_b32 s1, exec_lo
	s_wait_loadcnt 0x0
	ds_store_b32 v1, v89
	s_wait_storecnt_dscnt 0x0
	s_barrier_signal -1
	s_barrier_wait -1
	s_wait_xcnt 0x0
	v_cmpx_gt_u32_e32 2, v0
	s_cbranch_execz .LBB55_560
; %bb.555:
	s_and_not1_b32 vcc_lo, exec_lo, s3
	s_cbranch_vccnz .LBB55_557
; %bb.556:
	scratch_load_b32 v89, v7, off
	ds_load_b32 v90, v1
	s_wait_loadcnt_dscnt 0x0
	v_mul_f32_e32 v89, v89, v90
	s_cbranch_execz .LBB55_558
	s_branch .LBB55_559
.LBB55_557:
                                        ; implicit-def: $vgpr89
.LBB55_558:
	ds_load_b32 v89, v1
.LBB55_559:
	scratch_load_b32 v92, off, off offset:4
	v_mov_b32_e32 v90, 0
	ds_load_2addr_b32 v[90:91], v90 offset0:2 offset1:57
	s_wait_loadcnt_dscnt 0x0
	v_fma_f32 v91, v92, v91, v89
	s_delay_alu instid0(VALU_DEP_1) | instskip(NEXT) | instid1(VALU_DEP_1)
	v_cndmask_b32_e64 v89, v89, v91, s0
	v_mul_f32_e32 v89, v89, v90
	scratch_store_b32 off, v89, off offset:8
.LBB55_560:
	s_wait_xcnt 0x0
	s_or_b32 exec_lo, exec_lo, s1
	scratch_load_b32 v89, off, off offset:12
	s_mov_b32 s1, exec_lo
	s_wait_loadcnt 0x0
	ds_store_b32 v1, v89
	s_wait_storecnt_dscnt 0x0
	s_barrier_signal -1
	s_barrier_wait -1
	s_wait_xcnt 0x0
	v_cmpx_gt_u32_e32 3, v0
	s_cbranch_execz .LBB55_568
; %bb.561:
	v_cmp_ne_u32_e32 vcc_lo, 1, v88
	s_cbranch_vccnz .LBB55_563
; %bb.562:
	scratch_load_b32 v89, v7, off
	ds_load_b32 v90, v1
	s_wait_loadcnt_dscnt 0x0
	v_mul_f32_e32 v89, v89, v90
	s_cbranch_execz .LBB55_564
	s_branch .LBB55_565
.LBB55_563:
                                        ; implicit-def: $vgpr89
.LBB55_564:
	ds_load_b32 v89, v1
.LBB55_565:
	s_mov_b32 s2, exec_lo
	v_cmpx_ne_u32_e32 2, v0
	s_cbranch_execz .LBB55_567
; %bb.566:
	scratch_load_b32 v90, v7, off offset:4
	scratch_load_b32 v91, off, off offset:8
	ds_load_b32 v92, v1 offset:4
	v_mov_b32_e32 v93, 0
	ds_load_b32 v93, v93 offset:232
	s_wait_loadcnt_dscnt 0x101
	v_fmac_f32_e32 v89, v90, v92
	s_wait_loadcnt_dscnt 0x0
	s_delay_alu instid0(VALU_DEP_1) | instskip(NEXT) | instid1(VALU_DEP_1)
	v_fma_f32 v90, v91, v93, v89
	v_cndmask_b32_e64 v89, v89, v90, s0
.LBB55_567:
	s_or_b32 exec_lo, exec_lo, s2
	v_mov_b32_e32 v90, 0
	ds_load_b32 v90, v90 offset:12
	s_wait_dscnt 0x0
	v_mul_f32_e32 v89, v89, v90
	scratch_store_b32 off, v89, off offset:12
.LBB55_568:
	s_wait_xcnt 0x0
	s_or_b32 exec_lo, exec_lo, s1
	scratch_load_b32 v89, off, off offset:16
	s_mov_b32 s0, exec_lo
	s_wait_loadcnt 0x0
	ds_store_b32 v1, v89
	s_wait_storecnt_dscnt 0x0
	s_barrier_signal -1
	s_barrier_wait -1
	s_wait_xcnt 0x0
	v_cmpx_gt_u32_e32 4, v0
	s_cbranch_execz .LBB55_578
; %bb.569:
	v_cmp_ne_u32_e32 vcc_lo, 1, v88
	s_cbranch_vccnz .LBB55_571
; %bb.570:
	scratch_load_b32 v89, v7, off
	ds_load_b32 v90, v1
	s_wait_loadcnt_dscnt 0x0
	v_mul_f32_e32 v89, v89, v90
	s_cbranch_execz .LBB55_572
	s_branch .LBB55_573
.LBB55_571:
                                        ; implicit-def: $vgpr89
.LBB55_572:
	ds_load_b32 v89, v1
.LBB55_573:
	s_mov_b32 s1, exec_lo
	v_cmpx_ne_u32_e32 3, v0
	s_cbranch_execz .LBB55_577
; %bb.574:
	v_add_nc_u32_e32 v90, 0xe4, v6
	v_add3_u32 v91, 0, v6, 4
	v_mov_b32_e32 v92, v0
	s_mov_b32 s2, 0
.LBB55_575:                             ; =>This Inner Loop Header: Depth=1
	scratch_load_b32 v93, v91, off
	ds_load_b32 v94, v90
	v_dual_add_nc_u32 v92, 1, v92 :: v_dual_add_nc_u32 v90, 4, v90
	s_wait_xcnt 0x0
	v_add_nc_u32_e32 v91, 4, v91
	s_delay_alu instid0(VALU_DEP_2)
	v_cmp_lt_u32_e32 vcc_lo, 2, v92
	s_or_b32 s2, vcc_lo, s2
	s_wait_loadcnt_dscnt 0x0
	v_fmac_f32_e32 v89, v93, v94
	s_and_not1_b32 exec_lo, exec_lo, s2
	s_cbranch_execnz .LBB55_575
; %bb.576:
	s_or_b32 exec_lo, exec_lo, s2
.LBB55_577:
	s_delay_alu instid0(SALU_CYCLE_1)
	s_or_b32 exec_lo, exec_lo, s1
	v_mov_b32_e32 v90, 0
	ds_load_b32 v90, v90 offset:16
	s_wait_dscnt 0x0
	v_mul_f32_e32 v89, v89, v90
	scratch_store_b32 off, v89, off offset:16
.LBB55_578:
	s_wait_xcnt 0x0
	s_or_b32 exec_lo, exec_lo, s0
	scratch_load_b32 v89, off, off offset:20
	s_mov_b32 s0, exec_lo
	s_wait_loadcnt 0x0
	ds_store_b32 v1, v89
	s_wait_storecnt_dscnt 0x0
	s_barrier_signal -1
	s_barrier_wait -1
	s_wait_xcnt 0x0
	v_cmpx_gt_u32_e32 5, v0
	s_cbranch_execz .LBB55_588
; %bb.579:
	v_cmp_ne_u32_e32 vcc_lo, 1, v88
	s_cbranch_vccnz .LBB55_581
; %bb.580:
	scratch_load_b32 v89, v7, off
	ds_load_b32 v90, v1
	s_wait_loadcnt_dscnt 0x0
	v_mul_f32_e32 v89, v89, v90
	s_cbranch_execz .LBB55_582
	s_branch .LBB55_583
.LBB55_581:
                                        ; implicit-def: $vgpr89
.LBB55_582:
	ds_load_b32 v89, v1
.LBB55_583:
	s_mov_b32 s1, exec_lo
	v_cmpx_ne_u32_e32 4, v0
	s_cbranch_execz .LBB55_587
; %bb.584:
	v_add_nc_u32_e32 v90, 0xe4, v6
	v_add3_u32 v91, 0, v6, 4
	v_mov_b32_e32 v92, v0
	s_mov_b32 s2, 0
.LBB55_585:                             ; =>This Inner Loop Header: Depth=1
	scratch_load_b32 v93, v91, off
	ds_load_b32 v94, v90
	v_dual_add_nc_u32 v92, 1, v92 :: v_dual_add_nc_u32 v90, 4, v90
	s_wait_xcnt 0x0
	v_add_nc_u32_e32 v91, 4, v91
	s_delay_alu instid0(VALU_DEP_2)
	v_cmp_lt_u32_e32 vcc_lo, 3, v92
	s_or_b32 s2, vcc_lo, s2
	s_wait_loadcnt_dscnt 0x0
	v_fmac_f32_e32 v89, v93, v94
	s_and_not1_b32 exec_lo, exec_lo, s2
	s_cbranch_execnz .LBB55_585
; %bb.586:
	s_or_b32 exec_lo, exec_lo, s2
.LBB55_587:
	s_delay_alu instid0(SALU_CYCLE_1)
	s_or_b32 exec_lo, exec_lo, s1
	v_mov_b32_e32 v90, 0
	ds_load_b32 v90, v90 offset:20
	s_wait_dscnt 0x0
	v_mul_f32_e32 v89, v89, v90
	scratch_store_b32 off, v89, off offset:20
.LBB55_588:
	;; [unrolled: 59-line block ×43, first 2 shown]
	s_wait_xcnt 0x0
	s_or_b32 exec_lo, exec_lo, s0
	scratch_load_b32 v89, off, off offset:188
	s_mov_b32 s0, exec_lo
	s_wait_loadcnt 0x0
	ds_store_b32 v1, v89
	s_wait_storecnt_dscnt 0x0
	s_barrier_signal -1
	s_barrier_wait -1
	s_wait_xcnt 0x0
	v_cmpx_gt_u32_e32 47, v0
	s_cbranch_execz .LBB55_1008
; %bb.999:
	v_cmp_ne_u32_e32 vcc_lo, 1, v88
	s_cbranch_vccnz .LBB55_1001
; %bb.1000:
	scratch_load_b32 v89, v7, off
	ds_load_b32 v90, v1
	s_wait_loadcnt_dscnt 0x0
	v_mul_f32_e32 v89, v89, v90
	s_cbranch_execz .LBB55_1002
	s_branch .LBB55_1003
.LBB55_1001:
                                        ; implicit-def: $vgpr89
.LBB55_1002:
	ds_load_b32 v89, v1
.LBB55_1003:
	s_mov_b32 s1, exec_lo
	v_cmpx_ne_u32_e32 46, v0
	s_cbranch_execz .LBB55_1007
; %bb.1004:
	v_add_nc_u32_e32 v90, 0xe4, v6
	v_add3_u32 v91, 0, v6, 4
	v_mov_b32_e32 v92, v0
	s_mov_b32 s2, 0
.LBB55_1005:                            ; =>This Inner Loop Header: Depth=1
	scratch_load_b32 v93, v91, off
	ds_load_b32 v94, v90
	v_dual_add_nc_u32 v92, 1, v92 :: v_dual_add_nc_u32 v90, 4, v90
	s_wait_xcnt 0x0
	v_add_nc_u32_e32 v91, 4, v91
	s_delay_alu instid0(VALU_DEP_2)
	v_cmp_lt_u32_e32 vcc_lo, 45, v92
	s_or_b32 s2, vcc_lo, s2
	s_wait_loadcnt_dscnt 0x0
	v_fmac_f32_e32 v89, v93, v94
	s_and_not1_b32 exec_lo, exec_lo, s2
	s_cbranch_execnz .LBB55_1005
; %bb.1006:
	s_or_b32 exec_lo, exec_lo, s2
.LBB55_1007:
	s_delay_alu instid0(SALU_CYCLE_1)
	s_or_b32 exec_lo, exec_lo, s1
	v_mov_b32_e32 v90, 0
	ds_load_b32 v90, v90 offset:188
	s_wait_dscnt 0x0
	v_mul_f32_e32 v89, v89, v90
	scratch_store_b32 off, v89, off offset:188
.LBB55_1008:
	s_wait_xcnt 0x0
	s_or_b32 exec_lo, exec_lo, s0
	scratch_load_b32 v89, off, off offset:192
	s_mov_b32 s0, exec_lo
	s_wait_loadcnt 0x0
	ds_store_b32 v1, v89
	s_wait_storecnt_dscnt 0x0
	s_barrier_signal -1
	s_barrier_wait -1
	s_wait_xcnt 0x0
	v_cmpx_gt_u32_e32 48, v0
	s_cbranch_execz .LBB55_1018
; %bb.1009:
	v_cmp_ne_u32_e32 vcc_lo, 1, v88
	s_cbranch_vccnz .LBB55_1011
; %bb.1010:
	scratch_load_b32 v89, v7, off
	ds_load_b32 v90, v1
	s_wait_loadcnt_dscnt 0x0
	v_mul_f32_e32 v89, v89, v90
	s_cbranch_execz .LBB55_1012
	s_branch .LBB55_1013
.LBB55_1011:
                                        ; implicit-def: $vgpr89
.LBB55_1012:
	ds_load_b32 v89, v1
.LBB55_1013:
	s_mov_b32 s1, exec_lo
	v_cmpx_ne_u32_e32 47, v0
	s_cbranch_execz .LBB55_1017
; %bb.1014:
	v_add_nc_u32_e32 v90, 0xe4, v6
	v_add3_u32 v91, 0, v6, 4
	v_mov_b32_e32 v92, v0
	s_mov_b32 s2, 0
.LBB55_1015:                            ; =>This Inner Loop Header: Depth=1
	scratch_load_b32 v93, v91, off
	ds_load_b32 v94, v90
	v_dual_add_nc_u32 v92, 1, v92 :: v_dual_add_nc_u32 v90, 4, v90
	s_wait_xcnt 0x0
	v_add_nc_u32_e32 v91, 4, v91
	s_delay_alu instid0(VALU_DEP_2)
	v_cmp_lt_u32_e32 vcc_lo, 46, v92
	s_or_b32 s2, vcc_lo, s2
	s_wait_loadcnt_dscnt 0x0
	v_fmac_f32_e32 v89, v93, v94
	s_and_not1_b32 exec_lo, exec_lo, s2
	s_cbranch_execnz .LBB55_1015
; %bb.1016:
	s_or_b32 exec_lo, exec_lo, s2
.LBB55_1017:
	s_delay_alu instid0(SALU_CYCLE_1)
	s_or_b32 exec_lo, exec_lo, s1
	v_mov_b32_e32 v90, 0
	ds_load_b32 v90, v90 offset:192
	s_wait_dscnt 0x0
	v_mul_f32_e32 v89, v89, v90
	scratch_store_b32 off, v89, off offset:192
.LBB55_1018:
	;; [unrolled: 59-line block ×7, first 2 shown]
	s_wait_xcnt 0x0
	s_or_b32 exec_lo, exec_lo, s0
	scratch_load_b32 v89, off, off offset:216
	v_cmp_gt_u32_e64 s0, 54, v0
	s_wait_loadcnt 0x0
	ds_store_b32 v1, v89
	s_wait_storecnt_dscnt 0x0
	s_barrier_signal -1
	s_barrier_wait -1
	s_wait_xcnt 0x0
	s_and_saveexec_b32 s1, s0
	s_cbranch_execz .LBB55_1078
; %bb.1069:
	v_cmp_ne_u32_e32 vcc_lo, 1, v88
	s_cbranch_vccnz .LBB55_1071
; %bb.1070:
	scratch_load_b32 v89, v7, off
	ds_load_b32 v90, v1
	s_wait_loadcnt_dscnt 0x0
	v_mul_f32_e32 v89, v89, v90
	s_cbranch_execz .LBB55_1072
	s_branch .LBB55_1073
.LBB55_1071:
                                        ; implicit-def: $vgpr89
.LBB55_1072:
	ds_load_b32 v89, v1
.LBB55_1073:
	s_mov_b32 s2, exec_lo
	v_cmpx_ne_u32_e32 53, v0
	s_cbranch_execz .LBB55_1077
; %bb.1074:
	v_add_nc_u32_e32 v90, 0xe4, v6
	v_add3_u32 v91, 0, v6, 4
	v_mov_b32_e32 v92, v0
	s_mov_b32 s3, 0
.LBB55_1075:                            ; =>This Inner Loop Header: Depth=1
	scratch_load_b32 v93, v91, off
	ds_load_b32 v94, v90
	v_dual_add_nc_u32 v92, 1, v92 :: v_dual_add_nc_u32 v90, 4, v90
	s_wait_xcnt 0x0
	v_add_nc_u32_e32 v91, 4, v91
	s_delay_alu instid0(VALU_DEP_2)
	v_cmp_lt_u32_e32 vcc_lo, 52, v92
	s_or_b32 s3, vcc_lo, s3
	s_wait_loadcnt_dscnt 0x0
	v_fmac_f32_e32 v89, v93, v94
	s_and_not1_b32 exec_lo, exec_lo, s3
	s_cbranch_execnz .LBB55_1075
; %bb.1076:
	s_or_b32 exec_lo, exec_lo, s3
.LBB55_1077:
	s_delay_alu instid0(SALU_CYCLE_1)
	s_or_b32 exec_lo, exec_lo, s2
	v_mov_b32_e32 v90, 0
	ds_load_b32 v90, v90 offset:216
	s_wait_dscnt 0x0
	v_mul_f32_e32 v89, v89, v90
	scratch_store_b32 off, v89, off offset:216
.LBB55_1078:
	s_wait_xcnt 0x0
	s_or_b32 exec_lo, exec_lo, s1
	scratch_load_b32 v89, off, off offset:220
	s_mov_b32 s1, exec_lo
	s_wait_loadcnt 0x0
	ds_store_b32 v1, v89
	s_wait_storecnt_dscnt 0x0
	s_barrier_signal -1
	s_barrier_wait -1
	s_wait_xcnt 0x0
	v_cmpx_ne_u32_e32 55, v0
	s_cbranch_execz .LBB55_1088
; %bb.1079:
	v_cmp_ne_u32_e32 vcc_lo, 1, v88
	s_cbranch_vccnz .LBB55_1081
; %bb.1080:
	scratch_load_b32 v7, v7, off
	ds_load_b32 v88, v1
	s_wait_loadcnt_dscnt 0x0
	v_mul_f32_e32 v7, v7, v88
	s_cbranch_execz .LBB55_1082
	s_branch .LBB55_1083
.LBB55_1081:
                                        ; implicit-def: $vgpr7
.LBB55_1082:
	ds_load_b32 v7, v1
.LBB55_1083:
	s_and_saveexec_b32 s2, s0
	s_cbranch_execz .LBB55_1087
; %bb.1084:
	v_add_nc_u32_e32 v1, 0xe4, v6
	v_add3_u32 v6, 0, v6, 4
	s_mov_b32 s0, 0
.LBB55_1085:                            ; =>This Inner Loop Header: Depth=1
	scratch_load_b32 v88, v6, off
	ds_load_b32 v89, v1
	v_dual_add_nc_u32 v0, 1, v0 :: v_dual_add_nc_u32 v1, 4, v1
	s_wait_xcnt 0x0
	v_add_nc_u32_e32 v6, 4, v6
	s_delay_alu instid0(VALU_DEP_2)
	v_cmp_lt_u32_e32 vcc_lo, 53, v0
	s_or_b32 s0, vcc_lo, s0
	s_wait_loadcnt_dscnt 0x0
	v_fmac_f32_e32 v7, v88, v89
	s_and_not1_b32 exec_lo, exec_lo, s0
	s_cbranch_execnz .LBB55_1085
; %bb.1086:
	s_or_b32 exec_lo, exec_lo, s0
.LBB55_1087:
	s_delay_alu instid0(SALU_CYCLE_1)
	s_or_b32 exec_lo, exec_lo, s2
	v_mov_b32_e32 v0, 0
	ds_load_b32 v0, v0 offset:220
	s_wait_dscnt 0x0
	v_mul_f32_e32 v0, v7, v0
	scratch_store_b32 off, v0, off offset:220
.LBB55_1088:
	s_wait_xcnt 0x0
	s_or_b32 exec_lo, exec_lo, s1
.LBB55_1089:
	s_clause 0x2
	scratch_load_b128 v[88:91], off, off
	scratch_load_b128 v[92:95], off, off offset:16
	scratch_load_b128 v[96:99], off, off offset:32
	s_wait_loadcnt 0x2
	s_clause 0x1
	global_store_b32 v[2:3], v88, off
	global_store_b32 v[4:5], v89, off
	scratch_load_b128 v[0:3], off, off offset:48
	s_clause 0x1
	global_store_b32 v[140:141], v90, off
	global_store_b32 v[142:143], v91, off
	s_clause 0x1
	scratch_load_b128 v[4:7], off, off offset:64
	scratch_load_b128 v[88:91], off, off offset:80
	s_wait_loadcnt 0x4
	s_clause 0x1
	global_store_b32 v[136:137], v92, off
	global_store_b32 v[138:139], v93, off
	scratch_load_b128 v[100:103], off, off offset:96
	s_clause 0x1
	global_store_b32 v[132:133], v94, off
	global_store_b32 v[134:135], v95, off
	s_clause 0x1
	;; [unrolled: 11-line block ×3, first 2 shown]
	scratch_load_b128 v[96:99], off, off offset:160
	scratch_load_b128 v[112:115], off, off offset:176
	s_wait_loadcnt 0x8
	s_clause 0x1
	global_store_b32 v[120:121], v0, off
	global_store_b32 v[122:123], v1, off
	scratch_load_b128 v[120:123], off, off offset:192
	s_clause 0x1
	global_store_b32 v[116:117], v2, off
	global_store_b32 v[118:119], v3, off
	scratch_load_b128 v[0:3], off, off offset:208
	s_wait_loadcnt 0x9
	s_clause 0x3
	global_store_b32 v[8:9], v4, off
	global_store_b32 v[10:11], v5, off
	global_store_b32 v[12:13], v6, off
	global_store_b32 v[14:15], v7, off
	s_wait_loadcnt 0x8
	s_clause 0x3
	global_store_b32 v[16:17], v88, off
	global_store_b32 v[18:19], v89, off
	global_store_b32 v[20:21], v90, off
	global_store_b32 v[22:23], v91, off
	;; [unrolled: 6-line block ×10, first 2 shown]
.LBB55_1090:
	s_sendmsg sendmsg(MSG_DEALLOC_VGPRS)
	s_endpgm
	.section	.rodata,"a",@progbits
	.p2align	6, 0x0
	.amdhsa_kernel _ZN9rocsolver6v33100L18trti2_kernel_smallILi56EfPfEEv13rocblas_fill_17rocblas_diagonal_T1_iil
		.amdhsa_group_segment_fixed_size 448
		.amdhsa_private_segment_fixed_size 240
		.amdhsa_kernarg_size 32
		.amdhsa_user_sgpr_count 2
		.amdhsa_user_sgpr_dispatch_ptr 0
		.amdhsa_user_sgpr_queue_ptr 0
		.amdhsa_user_sgpr_kernarg_segment_ptr 1
		.amdhsa_user_sgpr_dispatch_id 0
		.amdhsa_user_sgpr_kernarg_preload_length 0
		.amdhsa_user_sgpr_kernarg_preload_offset 0
		.amdhsa_user_sgpr_private_segment_size 0
		.amdhsa_wavefront_size32 1
		.amdhsa_uses_dynamic_stack 0
		.amdhsa_enable_private_segment 1
		.amdhsa_system_sgpr_workgroup_id_x 1
		.amdhsa_system_sgpr_workgroup_id_y 0
		.amdhsa_system_sgpr_workgroup_id_z 0
		.amdhsa_system_sgpr_workgroup_info 0
		.amdhsa_system_vgpr_workitem_id 0
		.amdhsa_next_free_vgpr 144
		.amdhsa_next_free_sgpr 22
		.amdhsa_named_barrier_count 0
		.amdhsa_reserve_vcc 1
		.amdhsa_float_round_mode_32 0
		.amdhsa_float_round_mode_16_64 0
		.amdhsa_float_denorm_mode_32 3
		.amdhsa_float_denorm_mode_16_64 3
		.amdhsa_fp16_overflow 0
		.amdhsa_memory_ordered 1
		.amdhsa_forward_progress 1
		.amdhsa_inst_pref_size 244
		.amdhsa_round_robin_scheduling 0
		.amdhsa_exception_fp_ieee_invalid_op 0
		.amdhsa_exception_fp_denorm_src 0
		.amdhsa_exception_fp_ieee_div_zero 0
		.amdhsa_exception_fp_ieee_overflow 0
		.amdhsa_exception_fp_ieee_underflow 0
		.amdhsa_exception_fp_ieee_inexact 0
		.amdhsa_exception_int_div_zero 0
	.end_amdhsa_kernel
	.section	.text._ZN9rocsolver6v33100L18trti2_kernel_smallILi56EfPfEEv13rocblas_fill_17rocblas_diagonal_T1_iil,"axG",@progbits,_ZN9rocsolver6v33100L18trti2_kernel_smallILi56EfPfEEv13rocblas_fill_17rocblas_diagonal_T1_iil,comdat
.Lfunc_end55:
	.size	_ZN9rocsolver6v33100L18trti2_kernel_smallILi56EfPfEEv13rocblas_fill_17rocblas_diagonal_T1_iil, .Lfunc_end55-_ZN9rocsolver6v33100L18trti2_kernel_smallILi56EfPfEEv13rocblas_fill_17rocblas_diagonal_T1_iil
                                        ; -- End function
	.set _ZN9rocsolver6v33100L18trti2_kernel_smallILi56EfPfEEv13rocblas_fill_17rocblas_diagonal_T1_iil.num_vgpr, 144
	.set _ZN9rocsolver6v33100L18trti2_kernel_smallILi56EfPfEEv13rocblas_fill_17rocblas_diagonal_T1_iil.num_agpr, 0
	.set _ZN9rocsolver6v33100L18trti2_kernel_smallILi56EfPfEEv13rocblas_fill_17rocblas_diagonal_T1_iil.numbered_sgpr, 22
	.set _ZN9rocsolver6v33100L18trti2_kernel_smallILi56EfPfEEv13rocblas_fill_17rocblas_diagonal_T1_iil.num_named_barrier, 0
	.set _ZN9rocsolver6v33100L18trti2_kernel_smallILi56EfPfEEv13rocblas_fill_17rocblas_diagonal_T1_iil.private_seg_size, 240
	.set _ZN9rocsolver6v33100L18trti2_kernel_smallILi56EfPfEEv13rocblas_fill_17rocblas_diagonal_T1_iil.uses_vcc, 1
	.set _ZN9rocsolver6v33100L18trti2_kernel_smallILi56EfPfEEv13rocblas_fill_17rocblas_diagonal_T1_iil.uses_flat_scratch, 1
	.set _ZN9rocsolver6v33100L18trti2_kernel_smallILi56EfPfEEv13rocblas_fill_17rocblas_diagonal_T1_iil.has_dyn_sized_stack, 0
	.set _ZN9rocsolver6v33100L18trti2_kernel_smallILi56EfPfEEv13rocblas_fill_17rocblas_diagonal_T1_iil.has_recursion, 0
	.set _ZN9rocsolver6v33100L18trti2_kernel_smallILi56EfPfEEv13rocblas_fill_17rocblas_diagonal_T1_iil.has_indirect_call, 0
	.section	.AMDGPU.csdata,"",@progbits
; Kernel info:
; codeLenInByte = 31148
; TotalNumSgprs: 24
; NumVgprs: 144
; ScratchSize: 240
; MemoryBound: 0
; FloatMode: 240
; IeeeMode: 1
; LDSByteSize: 448 bytes/workgroup (compile time only)
; SGPRBlocks: 0
; VGPRBlocks: 8
; NumSGPRsForWavesPerEU: 24
; NumVGPRsForWavesPerEU: 144
; NamedBarCnt: 0
; Occupancy: 7
; WaveLimiterHint : 0
; COMPUTE_PGM_RSRC2:SCRATCH_EN: 1
; COMPUTE_PGM_RSRC2:USER_SGPR: 2
; COMPUTE_PGM_RSRC2:TRAP_HANDLER: 0
; COMPUTE_PGM_RSRC2:TGID_X_EN: 1
; COMPUTE_PGM_RSRC2:TGID_Y_EN: 0
; COMPUTE_PGM_RSRC2:TGID_Z_EN: 0
; COMPUTE_PGM_RSRC2:TIDIG_COMP_CNT: 0
	.section	.text._ZN9rocsolver6v33100L18trti2_kernel_smallILi57EfPfEEv13rocblas_fill_17rocblas_diagonal_T1_iil,"axG",@progbits,_ZN9rocsolver6v33100L18trti2_kernel_smallILi57EfPfEEv13rocblas_fill_17rocblas_diagonal_T1_iil,comdat
	.globl	_ZN9rocsolver6v33100L18trti2_kernel_smallILi57EfPfEEv13rocblas_fill_17rocblas_diagonal_T1_iil ; -- Begin function _ZN9rocsolver6v33100L18trti2_kernel_smallILi57EfPfEEv13rocblas_fill_17rocblas_diagonal_T1_iil
	.p2align	8
	.type	_ZN9rocsolver6v33100L18trti2_kernel_smallILi57EfPfEEv13rocblas_fill_17rocblas_diagonal_T1_iil,@function
_ZN9rocsolver6v33100L18trti2_kernel_smallILi57EfPfEEv13rocblas_fill_17rocblas_diagonal_T1_iil: ; @_ZN9rocsolver6v33100L18trti2_kernel_smallILi57EfPfEEv13rocblas_fill_17rocblas_diagonal_T1_iil
; %bb.0:
	s_mov_b32 s2, exec_lo
	v_cmpx_gt_u32_e32 57, v0
	s_cbranch_execz .LBB56_1110
; %bb.1:
	s_load_b256 s[4:11], s[0:1], 0x0
	s_wait_xcnt 0x0
	s_bfe_u32 s0, ttmp6, 0x4000c
	s_and_b32 s1, ttmp6, 15
	s_add_co_i32 s0, s0, 1
	s_getreg_b32 s2, hwreg(HW_REG_IB_STS2, 6, 4)
	s_mul_i32 s0, ttmp9, s0
	v_mov_b32_e32 v7, 0
	s_add_co_i32 s0, s1, s0
	s_wait_kmcnt 0x0
	v_add3_u32 v8, s9, s9, v0
	s_ashr_i32 s1, s8, 31
	s_cmp_eq_u32 s2, 0
	s_cselect_b32 s2, ttmp9, s0
	s_delay_alu instid0(VALU_DEP_1)
	v_add_nc_u32_e32 v10, s9, v8
	s_ashr_i32 s3, s2, 31
	s_mov_b32 s0, s8
	s_mul_u64 s[2:3], s[10:11], s[2:3]
	s_lshl_b64 s[0:1], s[0:1], 2
	v_add_nc_u32_e32 v12, s9, v10
	s_lshl_b64 s[2:3], s[2:3], 2
	v_ashrrev_i32_e32 v9, 31, v8
	s_add_nc_u64 s[2:3], s[6:7], s[2:3]
	s_delay_alu instid0(VALU_DEP_2)
	v_add_nc_u32_e32 v14, s9, v12
	s_add_nc_u64 s[6:7], s[2:3], s[0:1]
	s_mov_b32 s0, s9
	s_ashr_i32 s1, s9, 31
	s_cmp_lg_u32 s5, 0x84
	v_add_nc_u32_e32 v16, s9, v14
	s_cselect_b32 s3, -1, 0
	s_cmp_eq_u32 s5, 0x84
	s_delay_alu instid0(VALU_DEP_1) | instskip(NEXT) | instid1(VALU_DEP_1)
	v_dual_ashrrev_i32 v11, 31, v10 :: v_dual_add_nc_u32 v18, s9, v16
	v_dual_ashrrev_i32 v17, 31, v16 :: v_dual_ashrrev_i32 v19, 31, v18
	v_dual_add_nc_u32 v20, s9, v18 :: v_dual_ashrrev_i32 v13, 31, v12
	s_delay_alu instid0(VALU_DEP_1) | instskip(NEXT) | instid1(VALU_DEP_1)
	v_dual_ashrrev_i32 v15, 31, v14 :: v_dual_add_nc_u32 v22, s9, v20
	v_add_nc_u32_e32 v24, s9, v22
	s_delay_alu instid0(VALU_DEP_1) | instskip(NEXT) | instid1(VALU_DEP_1)
	v_add_nc_u32_e32 v26, s9, v24
	v_dual_add_nc_u32 v28, s9, v26 :: v_dual_ashrrev_i32 v21, 31, v20
	s_delay_alu instid0(VALU_DEP_1) | instskip(NEXT) | instid1(VALU_DEP_1)
	v_dual_ashrrev_i32 v23, 31, v22 :: v_dual_add_nc_u32 v30, s9, v28
	v_dual_ashrrev_i32 v29, 31, v28 :: v_dual_ashrrev_i32 v31, 31, v30
	v_dual_add_nc_u32 v32, s9, v30 :: v_dual_ashrrev_i32 v25, 31, v24
	s_delay_alu instid0(VALU_DEP_1) | instskip(NEXT) | instid1(VALU_DEP_1)
	v_dual_ashrrev_i32 v27, 31, v26 :: v_dual_add_nc_u32 v34, s9, v32
	v_add_nc_u32_e32 v36, s9, v34
	s_delay_alu instid0(VALU_DEP_1) | instskip(NEXT) | instid1(VALU_DEP_1)
	v_add_nc_u32_e32 v38, s9, v36
	v_dual_add_nc_u32 v40, s9, v38 :: v_dual_ashrrev_i32 v33, 31, v32
	s_delay_alu instid0(VALU_DEP_1) | instskip(NEXT) | instid1(VALU_DEP_1)
	v_dual_ashrrev_i32 v35, 31, v34 :: v_dual_add_nc_u32 v42, s9, v40
	v_dual_ashrrev_i32 v41, 31, v40 :: v_dual_ashrrev_i32 v43, 31, v42
	v_dual_add_nc_u32 v44, s9, v42 :: v_dual_ashrrev_i32 v37, 31, v36
	s_delay_alu instid0(VALU_DEP_1) | instskip(SKIP_1) | instid1(VALU_DEP_2)
	v_dual_ashrrev_i32 v39, 31, v38 :: v_dual_add_nc_u32 v46, s9, v44
	v_lshlrev_b32_e32 v6, 2, v0
	v_dual_ashrrev_i32 v45, 31, v44 :: v_dual_ashrrev_i32 v47, 31, v46
	v_add_nc_u32_e32 v48, s9, v46
	s_delay_alu instid0(VALU_DEP_3) | instskip(NEXT) | instid1(VALU_DEP_2)
	v_add_nc_u64_e32 v[2:3], s[6:7], v[6:7]
	v_add_nc_u32_e32 v50, s9, v48
	s_delay_alu instid0(VALU_DEP_2)
	v_lshl_add_u64 v[4:5], s[0:1], 2, v[2:3]
	s_clause 0x7
	global_load_b32 v88, v0, s[6:7] scale_offset
	global_load_b32 v90, v8, s[6:7] scale_offset
	;; [unrolled: 1-line block ×7, first 2 shown]
	global_load_b32 v89, v[4:5], off
	v_add_nc_u32_e32 v52, s9, v50
	s_clause 0xb
	global_load_b32 v96, v20, s[6:7] scale_offset
	global_load_b32 v97, v22, s[6:7] scale_offset
	;; [unrolled: 1-line block ×12, first 2 shown]
	v_add_nc_u32_e32 v54, s9, v52
	s_delay_alu instid0(VALU_DEP_1)
	v_add_nc_u32_e32 v56, s9, v54
	s_clause 0x3
	global_load_b32 v108, v44, s[6:7] scale_offset
	global_load_b32 v109, v46, s[6:7] scale_offset
	;; [unrolled: 1-line block ×4, first 2 shown]
	v_dual_ashrrev_i32 v49, 31, v48 :: v_dual_ashrrev_i32 v51, 31, v50
	v_dual_add_nc_u32 v58, s9, v56 :: v_dual_ashrrev_i32 v57, 31, v56
	s_delay_alu instid0(VALU_DEP_1) | instskip(SKIP_1) | instid1(VALU_DEP_2)
	v_dual_ashrrev_i32 v59, 31, v58 :: v_dual_add_nc_u32 v60, s9, v58
	v_dual_ashrrev_i32 v53, 31, v52 :: v_dual_ashrrev_i32 v55, 31, v54
	v_add_nc_u32_e32 v62, s9, v60
	s_delay_alu instid0(VALU_DEP_1) | instskip(NEXT) | instid1(VALU_DEP_1)
	v_add_nc_u32_e32 v64, s9, v62
	v_add_nc_u32_e32 v66, s9, v64
	s_delay_alu instid0(VALU_DEP_1) | instskip(NEXT) | instid1(VALU_DEP_1)
	v_dual_add_nc_u32 v68, s9, v66 :: v_dual_ashrrev_i32 v61, 31, v60
	v_dual_ashrrev_i32 v63, 31, v62 :: v_dual_add_nc_u32 v70, s9, v68
	s_delay_alu instid0(VALU_DEP_1)
	v_dual_ashrrev_i32 v69, 31, v68 :: v_dual_ashrrev_i32 v71, 31, v70
	v_add_nc_u32_e32 v72, s9, v70
	s_clause 0x7
	global_load_b32 v112, v52, s[6:7] scale_offset
	global_load_b32 v113, v54, s[6:7] scale_offset
	;; [unrolled: 1-line block ×8, first 2 shown]
	v_dual_ashrrev_i32 v65, 31, v64 :: v_dual_ashrrev_i32 v67, 31, v66
	v_add_nc_u32_e32 v74, s9, v72
	s_delay_alu instid0(VALU_DEP_1) | instskip(NEXT) | instid1(VALU_DEP_1)
	v_add_nc_u32_e32 v76, s9, v74
	v_add_nc_u32_e32 v78, s9, v76
	s_delay_alu instid0(VALU_DEP_1)
	v_add_nc_u32_e32 v80, s9, v78
	s_clause 0x3
	global_load_b32 v120, v68, s[6:7] scale_offset
	global_load_b32 v121, v70, s[6:7] scale_offset
	;; [unrolled: 1-line block ×4, first 2 shown]
	v_dual_ashrrev_i32 v73, 31, v72 :: v_dual_ashrrev_i32 v75, 31, v74
	v_dual_add_nc_u32 v82, s9, v80 :: v_dual_ashrrev_i32 v81, 31, v80
	s_delay_alu instid0(VALU_DEP_1) | instskip(SKIP_1) | instid1(VALU_DEP_2)
	v_dual_ashrrev_i32 v83, 31, v82 :: v_dual_add_nc_u32 v84, s9, v82
	v_dual_ashrrev_i32 v77, 31, v76 :: v_dual_ashrrev_i32 v79, 31, v78
	v_add_nc_u32_e32 v86, s9, v84
	s_wait_loadcnt 0x1d
	scratch_store_b128 off, v[92:95], off offset:16
	s_wait_loadcnt 0x1c
	scratch_store_b128 off, v[88:91], off
	s_wait_xcnt 0x0
	v_add_nc_u32_e32 v88, s9, v86
	s_wait_loadcnt 0x18
	scratch_store_b128 off, v[96:99], off offset:32
	s_wait_loadcnt 0x14
	scratch_store_b128 off, v[100:103], off offset:48
	;; [unrolled: 2-line block ×3, first 2 shown]
	s_clause 0x3
	global_load_b32 v124, v76, s[6:7] scale_offset
	global_load_b32 v125, v78, s[6:7] scale_offset
	global_load_b32 v126, v80, s[6:7] scale_offset
	global_load_b32 v127, v82, s[6:7] scale_offset
	v_add_nc_u32_e32 v90, s9, v88
	s_delay_alu instid0(VALU_DEP_1)
	v_add_nc_u32_e32 v92, s9, v90
	s_wait_loadcnt 0x10
	scratch_store_b128 off, v[108:111], off offset:80
	v_dual_ashrrev_i32 v85, 31, v84 :: v_dual_ashrrev_i32 v87, 31, v86
	v_dual_add_nc_u32 v94, s9, v92 :: v_dual_ashrrev_i32 v93, 31, v92
	s_wait_xcnt 0x7
	s_delay_alu instid0(VALU_DEP_1)
	v_dual_ashrrev_i32 v95, 31, v94 :: v_dual_add_nc_u32 v96, s9, v94
	s_clause 0x3
	global_load_b32 v128, v84, s[6:7] scale_offset
	global_load_b32 v129, v86, s[6:7] scale_offset
	;; [unrolled: 1-line block ×4, first 2 shown]
	v_dual_ashrrev_i32 v89, 31, v88 :: v_dual_ashrrev_i32 v91, 31, v90
	v_add_nc_u32_e32 v98, s9, v96
	s_wait_xcnt 0xa
	s_delay_alu instid0(VALU_DEP_1) | instskip(NEXT) | instid1(VALU_DEP_1)
	v_add_nc_u32_e32 v100, s9, v98
	v_add_nc_u32_e32 v102, s9, v100
	s_wait_xcnt 0x9
	s_delay_alu instid0(VALU_DEP_1) | instskip(NEXT) | instid1(VALU_DEP_1)
	v_dual_add_nc_u32 v104, s9, v102 :: v_dual_ashrrev_i32 v97, 31, v96
	v_dual_ashrrev_i32 v99, 31, v98 :: v_dual_add_nc_u32 v106, s9, v104
	v_ashrrev_i32_e32 v105, 31, v104
	s_wait_loadcnt 0x10
	scratch_store_b128 off, v[112:115], off offset:96
	s_wait_xcnt 0x5
	v_dual_add_nc_u32 v108, s9, v106 :: v_dual_ashrrev_i32 v101, 31, v100
	v_ashrrev_i32_e32 v103, 31, v102
	s_wait_loadcnt 0xc
	scratch_store_b128 off, v[116:119], off offset:112
	s_clause 0x3
	global_load_b32 v116, v92, s[6:7] scale_offset
	global_load_b32 v117, v94, s[6:7] scale_offset
	;; [unrolled: 1-line block ×4, first 2 shown]
	v_dual_add_nc_u32 v110, s9, v108 :: v_dual_ashrrev_i32 v107, 31, v106
	s_delay_alu instid0(VALU_DEP_1) | instskip(NEXT) | instid1(VALU_DEP_1)
	v_add_nc_u32_e32 v112, s9, v110
	v_dual_add_nc_u32 v114, s9, v112 :: v_dual_ashrrev_i32 v113, 31, v112
	s_delay_alu instid0(VALU_DEP_1)
	v_ashrrev_i32_e32 v115, 31, v114
	s_wait_loadcnt 0xc
	scratch_store_b128 off, v[120:123], off offset:128
	s_clause 0x3
	global_load_b32 v120, v100, s[6:7] scale_offset
	global_load_b32 v121, v102, s[6:7] scale_offset
	global_load_b32 v122, v104, s[6:7] scale_offset
	global_load_b32 v123, v106, s[6:7] scale_offset
	s_wait_loadcnt 0xc
	scratch_store_b128 off, v[124:127], off offset:144
	s_wait_loadcnt 0x8
	scratch_store_b128 off, v[128:131], off offset:160
	;; [unrolled: 2-line block ×3, first 2 shown]
	s_wait_xcnt 0x0
	v_add_nc_u32_e32 v116, s9, v114
	s_clause 0x3
	global_load_b32 v124, v108, s[6:7] scale_offset
	global_load_b32 v125, v110, s[6:7] scale_offset
	;; [unrolled: 1-line block ×4, first 2 shown]
	v_dual_ashrrev_i32 v109, 31, v108 :: v_dual_ashrrev_i32 v111, 31, v110
	v_dual_mov_b32 v118, -1.0 :: v_dual_ashrrev_i32 v117, 31, v116
	global_load_b32 v1, v116, s[6:7] scale_offset
	s_wait_loadcnt 0x5
	scratch_store_b128 off, v[120:123], off offset:192
	s_wait_loadcnt 0x1
	scratch_store_b128 off, v[124:127], off offset:208
	s_wait_loadcnt 0x0
	scratch_store_b32 off, v1, off offset:224
	s_cbranch_scc1 .LBB56_3
; %bb.2:
	scratch_load_b32 v1, v0, off scale_offset
	s_wait_loadcnt 0x0
	v_div_scale_f32 v7, null, v1, v1, 1.0
	s_delay_alu instid0(VALU_DEP_1) | instskip(SKIP_1) | instid1(TRANS32_DEP_1)
	v_rcp_f32_e32 v118, v7
	v_nop
	v_fma_f32 v119, -v7, v118, 1.0
	s_delay_alu instid0(VALU_DEP_1) | instskip(SKIP_1) | instid1(VALU_DEP_1)
	v_fmac_f32_e32 v118, v119, v118
	v_div_scale_f32 v119, vcc_lo, 1.0, v1, 1.0
	v_mul_f32_e32 v120, v119, v118
	s_delay_alu instid0(VALU_DEP_1) | instskip(NEXT) | instid1(VALU_DEP_1)
	v_fma_f32 v121, -v7, v120, v119
	v_fmac_f32_e32 v120, v121, v118
	s_delay_alu instid0(VALU_DEP_1) | instskip(NEXT) | instid1(VALU_DEP_1)
	v_fma_f32 v7, -v7, v120, v119
	v_div_fmas_f32 v7, v7, v118, v120
	s_delay_alu instid0(VALU_DEP_1) | instskip(NEXT) | instid1(VALU_DEP_1)
	v_div_fixup_f32 v1, v7, v1, 1.0
	v_xor_b32_e32 v118, 0x80000000, v1
	scratch_store_b32 v0, v1, off scale_offset
.LBB56_3:
	s_wait_xcnt 0x0
	v_add_nc_u32_e32 v1, 0xf0, v6
	v_mov_b32_e32 v7, v6
	s_cmp_eq_u32 s4, 0x79
	s_mov_b32 s1, -1
	ds_store_b32 v6, v118
	s_cbranch_scc1 .LBB56_557
; %bb.4:
	scratch_load_b32 v118, off, off offset:220
	v_cmp_eq_u32_e64 s0, 56, v0
	s_movk_i32 s1, 0x50
	s_movk_i32 s2, 0x60
	;; [unrolled: 1-line block ×9, first 2 shown]
	s_wait_loadcnt 0x0
	ds_store_b32 v1, v118
	s_wait_storecnt_dscnt 0x0
	s_barrier_signal -1
	s_barrier_wait -1
	s_wait_xcnt 0x0
	s_and_saveexec_b32 s4, s0
	s_cbranch_execz .LBB56_10
; %bb.5:
	s_and_b32 vcc_lo, exec_lo, s3
	s_cbranch_vccz .LBB56_7
; %bb.6:
	scratch_load_b32 v118, v7, off
	ds_load_b32 v119, v1
	s_wait_loadcnt_dscnt 0x0
	v_mul_f32_e32 v118, v118, v119
	s_cbranch_execz .LBB56_8
	s_branch .LBB56_9
.LBB56_7:
                                        ; implicit-def: $vgpr118
.LBB56_8:
	ds_load_b32 v118, v1
.LBB56_9:
	v_mov_b32_e32 v119, 0
	ds_load_b32 v119, v119 offset:220
	s_wait_dscnt 0x0
	v_mul_f32_e32 v118, v118, v119
	scratch_store_b32 off, v118, off offset:220
.LBB56_10:
	s_wait_xcnt 0x0
	s_or_b32 exec_lo, exec_lo, s4
	scratch_load_b32 v118, off, off offset:216
	s_mov_b32 s10, s1
	v_cmp_lt_u32_e64 s1, 54, v0
	s_mov_b32 s4, 16
	s_mov_b32 s5, 32
	;; [unrolled: 1-line block ×5, first 2 shown]
	s_wait_loadcnt 0x0
	ds_store_b32 v1, v118
	s_wait_storecnt_dscnt 0x0
	s_barrier_signal -1
	s_barrier_wait -1
	s_wait_xcnt 0x0
	s_and_saveexec_b32 s2, s1
	s_cbranch_execz .LBB56_16
; %bb.11:
	s_and_not1_b32 vcc_lo, exec_lo, s3
	s_cbranch_vccnz .LBB56_13
; %bb.12:
	scratch_load_b32 v118, v7, off
	ds_load_b32 v119, v1
	s_wait_loadcnt_dscnt 0x0
	v_mul_f32_e32 v118, v118, v119
	s_cbranch_execz .LBB56_14
	s_branch .LBB56_15
.LBB56_13:
                                        ; implicit-def: $vgpr118
.LBB56_14:
	ds_load_b32 v118, v1
.LBB56_15:
	scratch_load_b32 v119, off, off offset:220
	v_mov_b32_e32 v120, 0
	ds_load_2addr_b32 v[120:121], v120 offset0:54 offset1:115
	s_wait_loadcnt_dscnt 0x0
	v_fma_f32 v119, v119, v121, v118
	s_delay_alu instid0(VALU_DEP_1) | instskip(NEXT) | instid1(VALU_DEP_1)
	v_cndmask_b32_e64 v118, v118, v119, s0
	v_mul_f32_e32 v118, v118, v120
	scratch_store_b32 off, v118, off offset:216
.LBB56_16:
	s_wait_xcnt 0x0
	s_or_b32 exec_lo, exec_lo, s2
	scratch_load_b32 v118, off, off offset:212
	v_cmp_lt_u32_e64 s0, 53, v0
	s_wait_loadcnt 0x0
	ds_store_b32 v1, v118
	s_wait_storecnt_dscnt 0x0
	s_barrier_signal -1
	s_barrier_wait -1
	s_wait_xcnt 0x0
	s_and_saveexec_b32 s2, s0
	s_cbranch_execz .LBB56_26
; %bb.17:
	s_and_not1_b32 vcc_lo, exec_lo, s3
	s_cbranch_vccnz .LBB56_19
; %bb.18:
	scratch_load_b32 v118, v7, off
	ds_load_b32 v119, v1
	s_wait_loadcnt_dscnt 0x0
	v_mul_f32_e32 v118, v118, v119
	s_cbranch_execz .LBB56_20
	s_branch .LBB56_21
.LBB56_19:
                                        ; implicit-def: $vgpr118
.LBB56_20:
	ds_load_b32 v118, v1
.LBB56_21:
	s_and_saveexec_b32 s19, s1
	s_cbranch_execz .LBB56_25
; %bb.22:
	v_subrev_nc_u32_e32 v119, 54, v0
	s_movk_i32 s1, 0xd8
	s_movk_i32 s21, 0x1c8
	s_mov_b32 s20, 0
.LBB56_23:                              ; =>This Inner Loop Header: Depth=1
	scratch_load_b32 v120, off, s1
	v_dual_mov_b32 v121, s21 :: v_dual_add_nc_u32 v119, -1, v119
	s_add_co_i32 s21, s21, 4
	s_wait_xcnt 0x0
	s_add_co_i32 s1, s1, 4
	ds_load_b32 v121, v121
	v_cmp_eq_u32_e32 vcc_lo, 0, v119
	s_or_b32 s20, vcc_lo, s20
	s_wait_loadcnt_dscnt 0x0
	v_fmac_f32_e32 v118, v120, v121
	s_and_not1_b32 exec_lo, exec_lo, s20
	s_cbranch_execnz .LBB56_23
; %bb.24:
	s_or_b32 exec_lo, exec_lo, s20
.LBB56_25:
	s_delay_alu instid0(SALU_CYCLE_1)
	s_or_b32 exec_lo, exec_lo, s19
	v_mov_b32_e32 v119, 0
	ds_load_b32 v119, v119 offset:212
	s_wait_dscnt 0x0
	v_mul_f32_e32 v118, v118, v119
	scratch_store_b32 off, v118, off offset:212
.LBB56_26:
	s_wait_xcnt 0x0
	s_or_b32 exec_lo, exec_lo, s2
	scratch_load_b32 v118, off, off offset:208
	v_cmp_lt_u32_e64 s1, 52, v0
	s_wait_loadcnt 0x0
	ds_store_b32 v1, v118
	s_wait_storecnt_dscnt 0x0
	s_barrier_signal -1
	s_barrier_wait -1
	s_wait_xcnt 0x0
	s_and_saveexec_b32 s2, s1
	s_cbranch_execz .LBB56_36
; %bb.27:
	s_and_not1_b32 vcc_lo, exec_lo, s3
	s_cbranch_vccnz .LBB56_29
; %bb.28:
	scratch_load_b32 v118, v7, off
	ds_load_b32 v119, v1
	s_wait_loadcnt_dscnt 0x0
	v_mul_f32_e32 v118, v118, v119
	s_cbranch_execz .LBB56_30
	s_branch .LBB56_31
.LBB56_29:
                                        ; implicit-def: $vgpr118
.LBB56_30:
	ds_load_b32 v118, v1
.LBB56_31:
	s_and_saveexec_b32 s19, s0
	s_cbranch_execz .LBB56_35
; %bb.32:
	v_subrev_nc_u32_e32 v119, 53, v0
	s_movk_i32 s0, 0xd4
	s_movk_i32 s21, 0x1c4
	s_mov_b32 s20, 0
.LBB56_33:                              ; =>This Inner Loop Header: Depth=1
	scratch_load_b32 v120, off, s0
	v_dual_mov_b32 v121, s21 :: v_dual_add_nc_u32 v119, -1, v119
	s_add_co_i32 s21, s21, 4
	s_wait_xcnt 0x0
	s_add_co_i32 s0, s0, 4
	ds_load_b32 v121, v121
	v_cmp_eq_u32_e32 vcc_lo, 0, v119
	s_or_b32 s20, vcc_lo, s20
	s_wait_loadcnt_dscnt 0x0
	v_fmac_f32_e32 v118, v120, v121
	s_and_not1_b32 exec_lo, exec_lo, s20
	s_cbranch_execnz .LBB56_33
; %bb.34:
	s_or_b32 exec_lo, exec_lo, s20
.LBB56_35:
	s_delay_alu instid0(SALU_CYCLE_1)
	s_or_b32 exec_lo, exec_lo, s19
	v_mov_b32_e32 v119, 0
	ds_load_b32 v119, v119 offset:208
	s_wait_dscnt 0x0
	v_mul_f32_e32 v118, v118, v119
	scratch_store_b32 off, v118, off offset:208
.LBB56_36:
	s_wait_xcnt 0x0
	s_or_b32 exec_lo, exec_lo, s2
	scratch_load_b32 v118, off, off offset:204
	v_cmp_lt_u32_e64 s2, 51, v0
	s_wait_loadcnt 0x0
	ds_store_b32 v1, v118
	s_wait_storecnt_dscnt 0x0
	s_barrier_signal -1
	s_barrier_wait -1
	s_wait_xcnt 0x0
	s_and_saveexec_b32 s0, s2
	s_cbranch_execz .LBB56_46
; %bb.37:
	s_and_not1_b32 vcc_lo, exec_lo, s3
	s_cbranch_vccnz .LBB56_39
; %bb.38:
	scratch_load_b32 v118, v7, off
	ds_load_b32 v119, v1
	s_wait_loadcnt_dscnt 0x0
	v_mul_f32_e32 v118, v118, v119
	s_cbranch_execz .LBB56_40
	s_branch .LBB56_41
.LBB56_39:
                                        ; implicit-def: $vgpr118
.LBB56_40:
	ds_load_b32 v118, v1
.LBB56_41:
	s_and_saveexec_b32 s19, s1
	s_cbranch_execz .LBB56_45
; %bb.42:
	v_subrev_nc_u32_e32 v119, 52, v0
	s_movk_i32 s20, 0x1c0
	s_mov_b32 s1, 0
.LBB56_43:                              ; =>This Inner Loop Header: Depth=1
	scratch_load_b32 v120, off, s18
	v_dual_mov_b32 v121, s20 :: v_dual_add_nc_u32 v119, -1, v119
	s_add_co_i32 s20, s20, 4
	s_wait_xcnt 0x0
	s_add_co_i32 s18, s18, 4
	ds_load_b32 v121, v121
	v_cmp_eq_u32_e32 vcc_lo, 0, v119
	s_or_b32 s1, vcc_lo, s1
	s_wait_loadcnt_dscnt 0x0
	v_fmac_f32_e32 v118, v120, v121
	s_and_not1_b32 exec_lo, exec_lo, s1
	s_cbranch_execnz .LBB56_43
; %bb.44:
	s_or_b32 exec_lo, exec_lo, s1
.LBB56_45:
	s_delay_alu instid0(SALU_CYCLE_1)
	s_or_b32 exec_lo, exec_lo, s19
	v_mov_b32_e32 v119, 0
	ds_load_b32 v119, v119 offset:204
	s_wait_dscnt 0x0
	v_mul_f32_e32 v118, v118, v119
	scratch_store_b32 off, v118, off offset:204
.LBB56_46:
	s_wait_xcnt 0x0
	s_or_b32 exec_lo, exec_lo, s0
	scratch_load_b32 v118, off, off offset:200
	v_cmp_lt_u32_e64 s0, 50, v0
	s_wait_loadcnt 0x0
	ds_store_b32 v1, v118
	s_wait_storecnt_dscnt 0x0
	s_barrier_signal -1
	s_barrier_wait -1
	s_wait_xcnt 0x0
	s_and_saveexec_b32 s1, s0
	s_cbranch_execz .LBB56_56
; %bb.47:
	s_and_not1_b32 vcc_lo, exec_lo, s3
	s_cbranch_vccnz .LBB56_49
; %bb.48:
	scratch_load_b32 v118, v7, off
	ds_load_b32 v119, v1
	s_wait_loadcnt_dscnt 0x0
	v_mul_f32_e32 v118, v118, v119
	s_cbranch_execz .LBB56_50
	s_branch .LBB56_51
.LBB56_49:
                                        ; implicit-def: $vgpr118
.LBB56_50:
	ds_load_b32 v118, v1
.LBB56_51:
	s_and_saveexec_b32 s18, s2
	s_cbranch_execz .LBB56_55
; %bb.52:
	v_subrev_nc_u32_e32 v119, 51, v0
	s_movk_i32 s2, 0xcc
	s_movk_i32 s20, 0x1bc
	s_mov_b32 s19, 0
.LBB56_53:                              ; =>This Inner Loop Header: Depth=1
	scratch_load_b32 v120, off, s2
	v_dual_mov_b32 v121, s20 :: v_dual_add_nc_u32 v119, -1, v119
	s_add_co_i32 s20, s20, 4
	s_wait_xcnt 0x0
	s_add_co_i32 s2, s2, 4
	ds_load_b32 v121, v121
	v_cmp_eq_u32_e32 vcc_lo, 0, v119
	s_or_b32 s19, vcc_lo, s19
	s_wait_loadcnt_dscnt 0x0
	v_fmac_f32_e32 v118, v120, v121
	s_and_not1_b32 exec_lo, exec_lo, s19
	s_cbranch_execnz .LBB56_53
; %bb.54:
	s_or_b32 exec_lo, exec_lo, s19
.LBB56_55:
	s_delay_alu instid0(SALU_CYCLE_1)
	s_or_b32 exec_lo, exec_lo, s18
	v_mov_b32_e32 v119, 0
	ds_load_b32 v119, v119 offset:200
	s_wait_dscnt 0x0
	v_mul_f32_e32 v118, v118, v119
	scratch_store_b32 off, v118, off offset:200
.LBB56_56:
	s_wait_xcnt 0x0
	s_or_b32 exec_lo, exec_lo, s1
	scratch_load_b32 v118, off, off offset:196
	v_cmp_lt_u32_e64 s1, 49, v0
	s_wait_loadcnt 0x0
	ds_store_b32 v1, v118
	s_wait_storecnt_dscnt 0x0
	s_barrier_signal -1
	s_barrier_wait -1
	s_wait_xcnt 0x0
	s_and_saveexec_b32 s2, s1
	s_cbranch_execz .LBB56_66
; %bb.57:
	s_and_not1_b32 vcc_lo, exec_lo, s3
	s_cbranch_vccnz .LBB56_59
; %bb.58:
	scratch_load_b32 v118, v7, off
	ds_load_b32 v119, v1
	s_wait_loadcnt_dscnt 0x0
	v_mul_f32_e32 v118, v118, v119
	s_cbranch_execz .LBB56_60
	s_branch .LBB56_61
.LBB56_59:
                                        ; implicit-def: $vgpr118
.LBB56_60:
	ds_load_b32 v118, v1
.LBB56_61:
	s_and_saveexec_b32 s18, s0
	s_cbranch_execz .LBB56_65
; %bb.62:
	v_subrev_nc_u32_e32 v119, 50, v0
	s_movk_i32 s0, 0xc8
	s_movk_i32 s20, 0x1b8
	s_mov_b32 s19, 0
.LBB56_63:                              ; =>This Inner Loop Header: Depth=1
	scratch_load_b32 v120, off, s0
	v_dual_mov_b32 v121, s20 :: v_dual_add_nc_u32 v119, -1, v119
	s_add_co_i32 s20, s20, 4
	s_wait_xcnt 0x0
	s_add_co_i32 s0, s0, 4
	ds_load_b32 v121, v121
	v_cmp_eq_u32_e32 vcc_lo, 0, v119
	s_or_b32 s19, vcc_lo, s19
	s_wait_loadcnt_dscnt 0x0
	v_fmac_f32_e32 v118, v120, v121
	s_and_not1_b32 exec_lo, exec_lo, s19
	s_cbranch_execnz .LBB56_63
; %bb.64:
	s_or_b32 exec_lo, exec_lo, s19
.LBB56_65:
	s_delay_alu instid0(SALU_CYCLE_1)
	s_or_b32 exec_lo, exec_lo, s18
	v_mov_b32_e32 v119, 0
	ds_load_b32 v119, v119 offset:196
	s_wait_dscnt 0x0
	v_mul_f32_e32 v118, v118, v119
	scratch_store_b32 off, v118, off offset:196
.LBB56_66:
	;; [unrolled: 58-line block ×3, first 2 shown]
	s_wait_xcnt 0x0
	s_or_b32 exec_lo, exec_lo, s2
	scratch_load_b32 v118, off, off offset:188
	v_cmp_lt_u32_e64 s1, 47, v0
	s_wait_loadcnt 0x0
	ds_store_b32 v1, v118
	s_wait_storecnt_dscnt 0x0
	s_barrier_signal -1
	s_barrier_wait -1
	s_wait_xcnt 0x0
	s_and_saveexec_b32 s2, s1
	s_cbranch_execz .LBB56_86
; %bb.77:
	s_and_not1_b32 vcc_lo, exec_lo, s3
	s_cbranch_vccnz .LBB56_79
; %bb.78:
	scratch_load_b32 v118, v7, off
	ds_load_b32 v119, v1
	s_wait_loadcnt_dscnt 0x0
	v_mul_f32_e32 v118, v118, v119
	s_cbranch_execz .LBB56_80
	s_branch .LBB56_81
.LBB56_79:
                                        ; implicit-def: $vgpr118
.LBB56_80:
	ds_load_b32 v118, v1
.LBB56_81:
	s_and_saveexec_b32 s18, s0
	s_cbranch_execz .LBB56_85
; %bb.82:
	v_subrev_nc_u32_e32 v119, 48, v0
	s_movk_i32 s19, 0x1b0
	s_mov_b32 s0, 0
.LBB56_83:                              ; =>This Inner Loop Header: Depth=1
	scratch_load_b32 v120, off, s17
	v_dual_mov_b32 v121, s19 :: v_dual_add_nc_u32 v119, -1, v119
	s_add_co_i32 s19, s19, 4
	s_wait_xcnt 0x0
	s_add_co_i32 s17, s17, 4
	ds_load_b32 v121, v121
	v_cmp_eq_u32_e32 vcc_lo, 0, v119
	s_or_b32 s0, vcc_lo, s0
	s_wait_loadcnt_dscnt 0x0
	v_fmac_f32_e32 v118, v120, v121
	s_and_not1_b32 exec_lo, exec_lo, s0
	s_cbranch_execnz .LBB56_83
; %bb.84:
	s_or_b32 exec_lo, exec_lo, s0
.LBB56_85:
	s_delay_alu instid0(SALU_CYCLE_1)
	s_or_b32 exec_lo, exec_lo, s18
	v_mov_b32_e32 v119, 0
	ds_load_b32 v119, v119 offset:188
	s_wait_dscnt 0x0
	v_mul_f32_e32 v118, v118, v119
	scratch_store_b32 off, v118, off offset:188
.LBB56_86:
	s_wait_xcnt 0x0
	s_or_b32 exec_lo, exec_lo, s2
	scratch_load_b32 v118, off, off offset:184
	v_cmp_lt_u32_e64 s0, 46, v0
	s_wait_loadcnt 0x0
	ds_store_b32 v1, v118
	s_wait_storecnt_dscnt 0x0
	s_barrier_signal -1
	s_barrier_wait -1
	s_wait_xcnt 0x0
	s_and_saveexec_b32 s2, s0
	s_cbranch_execz .LBB56_96
; %bb.87:
	s_and_not1_b32 vcc_lo, exec_lo, s3
	s_cbranch_vccnz .LBB56_89
; %bb.88:
	scratch_load_b32 v118, v7, off
	ds_load_b32 v119, v1
	s_wait_loadcnt_dscnt 0x0
	v_mul_f32_e32 v118, v118, v119
	s_cbranch_execz .LBB56_90
	s_branch .LBB56_91
.LBB56_89:
                                        ; implicit-def: $vgpr118
.LBB56_90:
	ds_load_b32 v118, v1
.LBB56_91:
	s_and_saveexec_b32 s17, s1
	s_cbranch_execz .LBB56_95
; %bb.92:
	v_subrev_nc_u32_e32 v119, 47, v0
	s_movk_i32 s1, 0xbc
	s_movk_i32 s19, 0x1ac
	s_mov_b32 s18, 0
.LBB56_93:                              ; =>This Inner Loop Header: Depth=1
	scratch_load_b32 v120, off, s1
	v_dual_mov_b32 v121, s19 :: v_dual_add_nc_u32 v119, -1, v119
	s_add_co_i32 s19, s19, 4
	s_wait_xcnt 0x0
	s_add_co_i32 s1, s1, 4
	ds_load_b32 v121, v121
	v_cmp_eq_u32_e32 vcc_lo, 0, v119
	s_or_b32 s18, vcc_lo, s18
	s_wait_loadcnt_dscnt 0x0
	v_fmac_f32_e32 v118, v120, v121
	s_and_not1_b32 exec_lo, exec_lo, s18
	s_cbranch_execnz .LBB56_93
; %bb.94:
	s_or_b32 exec_lo, exec_lo, s18
.LBB56_95:
	s_delay_alu instid0(SALU_CYCLE_1)
	s_or_b32 exec_lo, exec_lo, s17
	v_mov_b32_e32 v119, 0
	ds_load_b32 v119, v119 offset:184
	s_wait_dscnt 0x0
	v_mul_f32_e32 v118, v118, v119
	scratch_store_b32 off, v118, off offset:184
.LBB56_96:
	s_wait_xcnt 0x0
	s_or_b32 exec_lo, exec_lo, s2
	scratch_load_b32 v118, off, off offset:180
	v_cmp_lt_u32_e64 s1, 45, v0
	s_wait_loadcnt 0x0
	ds_store_b32 v1, v118
	s_wait_storecnt_dscnt 0x0
	s_barrier_signal -1
	s_barrier_wait -1
	s_wait_xcnt 0x0
	s_and_saveexec_b32 s2, s1
	s_cbranch_execz .LBB56_106
; %bb.97:
	s_and_not1_b32 vcc_lo, exec_lo, s3
	s_cbranch_vccnz .LBB56_99
; %bb.98:
	scratch_load_b32 v118, v7, off
	ds_load_b32 v119, v1
	s_wait_loadcnt_dscnt 0x0
	v_mul_f32_e32 v118, v118, v119
	s_cbranch_execz .LBB56_100
	s_branch .LBB56_101
.LBB56_99:
                                        ; implicit-def: $vgpr118
.LBB56_100:
	ds_load_b32 v118, v1
.LBB56_101:
	s_and_saveexec_b32 s17, s0
	s_cbranch_execz .LBB56_105
; %bb.102:
	v_subrev_nc_u32_e32 v119, 46, v0
	s_movk_i32 s0, 0xb8
	s_movk_i32 s19, 0x1a8
	s_mov_b32 s18, 0
.LBB56_103:                             ; =>This Inner Loop Header: Depth=1
	scratch_load_b32 v120, off, s0
	v_dual_mov_b32 v121, s19 :: v_dual_add_nc_u32 v119, -1, v119
	s_add_co_i32 s19, s19, 4
	s_wait_xcnt 0x0
	s_add_co_i32 s0, s0, 4
	ds_load_b32 v121, v121
	v_cmp_eq_u32_e32 vcc_lo, 0, v119
	s_or_b32 s18, vcc_lo, s18
	s_wait_loadcnt_dscnt 0x0
	v_fmac_f32_e32 v118, v120, v121
	s_and_not1_b32 exec_lo, exec_lo, s18
	s_cbranch_execnz .LBB56_103
; %bb.104:
	s_or_b32 exec_lo, exec_lo, s18
.LBB56_105:
	s_delay_alu instid0(SALU_CYCLE_1)
	s_or_b32 exec_lo, exec_lo, s17
	v_mov_b32_e32 v119, 0
	ds_load_b32 v119, v119 offset:180
	s_wait_dscnt 0x0
	v_mul_f32_e32 v118, v118, v119
	scratch_store_b32 off, v118, off offset:180
.LBB56_106:
	s_wait_xcnt 0x0
	s_or_b32 exec_lo, exec_lo, s2
	scratch_load_b32 v118, off, off offset:176
	v_cmp_lt_u32_e64 s0, 44, v0
	s_wait_loadcnt 0x0
	ds_store_b32 v1, v118
	s_wait_storecnt_dscnt 0x0
	s_barrier_signal -1
	s_barrier_wait -1
	s_wait_xcnt 0x0
	s_and_saveexec_b32 s2, s0
	s_cbranch_execz .LBB56_116
; %bb.107:
	s_and_not1_b32 vcc_lo, exec_lo, s3
	s_cbranch_vccnz .LBB56_109
; %bb.108:
	scratch_load_b32 v118, v7, off
	ds_load_b32 v119, v1
	s_wait_loadcnt_dscnt 0x0
	v_mul_f32_e32 v118, v118, v119
	s_cbranch_execz .LBB56_110
	s_branch .LBB56_111
.LBB56_109:
                                        ; implicit-def: $vgpr118
.LBB56_110:
	ds_load_b32 v118, v1
.LBB56_111:
	s_and_saveexec_b32 s17, s1
	s_cbranch_execz .LBB56_115
; %bb.112:
	v_subrev_nc_u32_e32 v119, 45, v0
	s_movk_i32 s1, 0xb4
	s_movk_i32 s19, 0x1a4
	s_mov_b32 s18, 0
.LBB56_113:                             ; =>This Inner Loop Header: Depth=1
	scratch_load_b32 v120, off, s1
	v_dual_mov_b32 v121, s19 :: v_dual_add_nc_u32 v119, -1, v119
	s_add_co_i32 s19, s19, 4
	s_wait_xcnt 0x0
	s_add_co_i32 s1, s1, 4
	ds_load_b32 v121, v121
	v_cmp_eq_u32_e32 vcc_lo, 0, v119
	s_or_b32 s18, vcc_lo, s18
	s_wait_loadcnt_dscnt 0x0
	v_fmac_f32_e32 v118, v120, v121
	s_and_not1_b32 exec_lo, exec_lo, s18
	s_cbranch_execnz .LBB56_113
; %bb.114:
	s_or_b32 exec_lo, exec_lo, s18
.LBB56_115:
	s_delay_alu instid0(SALU_CYCLE_1)
	s_or_b32 exec_lo, exec_lo, s17
	v_mov_b32_e32 v119, 0
	ds_load_b32 v119, v119 offset:176
	s_wait_dscnt 0x0
	v_mul_f32_e32 v118, v118, v119
	scratch_store_b32 off, v118, off offset:176
.LBB56_116:
	s_wait_xcnt 0x0
	s_or_b32 exec_lo, exec_lo, s2
	scratch_load_b32 v118, off, off offset:172
	v_cmp_lt_u32_e64 s1, 43, v0
	s_wait_loadcnt 0x0
	ds_store_b32 v1, v118
	s_wait_storecnt_dscnt 0x0
	s_barrier_signal -1
	s_barrier_wait -1
	s_wait_xcnt 0x0
	s_and_saveexec_b32 s2, s1
	s_cbranch_execz .LBB56_126
; %bb.117:
	s_and_not1_b32 vcc_lo, exec_lo, s3
	s_cbranch_vccnz .LBB56_119
; %bb.118:
	scratch_load_b32 v118, v7, off
	ds_load_b32 v119, v1
	s_wait_loadcnt_dscnt 0x0
	v_mul_f32_e32 v118, v118, v119
	s_cbranch_execz .LBB56_120
	s_branch .LBB56_121
.LBB56_119:
                                        ; implicit-def: $vgpr118
.LBB56_120:
	ds_load_b32 v118, v1
.LBB56_121:
	s_and_saveexec_b32 s17, s0
	s_cbranch_execz .LBB56_125
; %bb.122:
	v_subrev_nc_u32_e32 v119, 44, v0
	s_movk_i32 s18, 0x1a0
	s_mov_b32 s0, 0
.LBB56_123:                             ; =>This Inner Loop Header: Depth=1
	scratch_load_b32 v120, off, s16
	v_dual_mov_b32 v121, s18 :: v_dual_add_nc_u32 v119, -1, v119
	s_add_co_i32 s18, s18, 4
	s_wait_xcnt 0x0
	s_add_co_i32 s16, s16, 4
	ds_load_b32 v121, v121
	v_cmp_eq_u32_e32 vcc_lo, 0, v119
	s_or_b32 s0, vcc_lo, s0
	s_wait_loadcnt_dscnt 0x0
	v_fmac_f32_e32 v118, v120, v121
	s_and_not1_b32 exec_lo, exec_lo, s0
	s_cbranch_execnz .LBB56_123
; %bb.124:
	s_or_b32 exec_lo, exec_lo, s0
.LBB56_125:
	s_delay_alu instid0(SALU_CYCLE_1)
	s_or_b32 exec_lo, exec_lo, s17
	v_mov_b32_e32 v119, 0
	ds_load_b32 v119, v119 offset:172
	s_wait_dscnt 0x0
	v_mul_f32_e32 v118, v118, v119
	scratch_store_b32 off, v118, off offset:172
.LBB56_126:
	s_wait_xcnt 0x0
	s_or_b32 exec_lo, exec_lo, s2
	scratch_load_b32 v118, off, off offset:168
	v_cmp_lt_u32_e64 s0, 42, v0
	s_wait_loadcnt 0x0
	ds_store_b32 v1, v118
	s_wait_storecnt_dscnt 0x0
	s_barrier_signal -1
	s_barrier_wait -1
	s_wait_xcnt 0x0
	s_and_saveexec_b32 s2, s0
	s_cbranch_execz .LBB56_136
; %bb.127:
	s_and_not1_b32 vcc_lo, exec_lo, s3
	s_cbranch_vccnz .LBB56_129
; %bb.128:
	scratch_load_b32 v118, v7, off
	ds_load_b32 v119, v1
	s_wait_loadcnt_dscnt 0x0
	v_mul_f32_e32 v118, v118, v119
	s_cbranch_execz .LBB56_130
	s_branch .LBB56_131
.LBB56_129:
                                        ; implicit-def: $vgpr118
.LBB56_130:
	ds_load_b32 v118, v1
.LBB56_131:
	s_and_saveexec_b32 s16, s1
	s_cbranch_execz .LBB56_135
; %bb.132:
	v_subrev_nc_u32_e32 v119, 43, v0
	s_movk_i32 s1, 0xac
	s_movk_i32 s18, 0x19c
	s_mov_b32 s17, 0
.LBB56_133:                             ; =>This Inner Loop Header: Depth=1
	scratch_load_b32 v120, off, s1
	v_dual_mov_b32 v121, s18 :: v_dual_add_nc_u32 v119, -1, v119
	s_add_co_i32 s18, s18, 4
	s_wait_xcnt 0x0
	s_add_co_i32 s1, s1, 4
	ds_load_b32 v121, v121
	v_cmp_eq_u32_e32 vcc_lo, 0, v119
	s_or_b32 s17, vcc_lo, s17
	s_wait_loadcnt_dscnt 0x0
	v_fmac_f32_e32 v118, v120, v121
	s_and_not1_b32 exec_lo, exec_lo, s17
	s_cbranch_execnz .LBB56_133
; %bb.134:
	s_or_b32 exec_lo, exec_lo, s17
.LBB56_135:
	s_delay_alu instid0(SALU_CYCLE_1)
	s_or_b32 exec_lo, exec_lo, s16
	v_mov_b32_e32 v119, 0
	ds_load_b32 v119, v119 offset:168
	s_wait_dscnt 0x0
	v_mul_f32_e32 v118, v118, v119
	scratch_store_b32 off, v118, off offset:168
.LBB56_136:
	s_wait_xcnt 0x0
	s_or_b32 exec_lo, exec_lo, s2
	scratch_load_b32 v118, off, off offset:164
	v_cmp_lt_u32_e64 s1, 41, v0
	s_wait_loadcnt 0x0
	ds_store_b32 v1, v118
	s_wait_storecnt_dscnt 0x0
	s_barrier_signal -1
	s_barrier_wait -1
	s_wait_xcnt 0x0
	s_and_saveexec_b32 s2, s1
	s_cbranch_execz .LBB56_146
; %bb.137:
	s_and_not1_b32 vcc_lo, exec_lo, s3
	s_cbranch_vccnz .LBB56_139
; %bb.138:
	scratch_load_b32 v118, v7, off
	ds_load_b32 v119, v1
	s_wait_loadcnt_dscnt 0x0
	v_mul_f32_e32 v118, v118, v119
	s_cbranch_execz .LBB56_140
	s_branch .LBB56_141
.LBB56_139:
                                        ; implicit-def: $vgpr118
.LBB56_140:
	ds_load_b32 v118, v1
.LBB56_141:
	s_and_saveexec_b32 s16, s0
	s_cbranch_execz .LBB56_145
; %bb.142:
	v_subrev_nc_u32_e32 v119, 42, v0
	s_movk_i32 s0, 0xa8
	s_movk_i32 s18, 0x198
	s_mov_b32 s17, 0
.LBB56_143:                             ; =>This Inner Loop Header: Depth=1
	scratch_load_b32 v120, off, s0
	v_dual_mov_b32 v121, s18 :: v_dual_add_nc_u32 v119, -1, v119
	s_add_co_i32 s18, s18, 4
	s_wait_xcnt 0x0
	s_add_co_i32 s0, s0, 4
	ds_load_b32 v121, v121
	v_cmp_eq_u32_e32 vcc_lo, 0, v119
	s_or_b32 s17, vcc_lo, s17
	s_wait_loadcnt_dscnt 0x0
	v_fmac_f32_e32 v118, v120, v121
	s_and_not1_b32 exec_lo, exec_lo, s17
	s_cbranch_execnz .LBB56_143
; %bb.144:
	s_or_b32 exec_lo, exec_lo, s17
.LBB56_145:
	s_delay_alu instid0(SALU_CYCLE_1)
	s_or_b32 exec_lo, exec_lo, s16
	v_mov_b32_e32 v119, 0
	ds_load_b32 v119, v119 offset:164
	s_wait_dscnt 0x0
	v_mul_f32_e32 v118, v118, v119
	scratch_store_b32 off, v118, off offset:164
.LBB56_146:
	;; [unrolled: 58-line block ×3, first 2 shown]
	s_wait_xcnt 0x0
	s_or_b32 exec_lo, exec_lo, s2
	scratch_load_b32 v118, off, off offset:156
	v_cmp_lt_u32_e64 s1, 39, v0
	s_wait_loadcnt 0x0
	ds_store_b32 v1, v118
	s_wait_storecnt_dscnt 0x0
	s_barrier_signal -1
	s_barrier_wait -1
	s_wait_xcnt 0x0
	s_and_saveexec_b32 s2, s1
	s_cbranch_execz .LBB56_166
; %bb.157:
	s_and_not1_b32 vcc_lo, exec_lo, s3
	s_cbranch_vccnz .LBB56_159
; %bb.158:
	scratch_load_b32 v118, v7, off
	ds_load_b32 v119, v1
	s_wait_loadcnt_dscnt 0x0
	v_mul_f32_e32 v118, v118, v119
	s_cbranch_execz .LBB56_160
	s_branch .LBB56_161
.LBB56_159:
                                        ; implicit-def: $vgpr118
.LBB56_160:
	ds_load_b32 v118, v1
.LBB56_161:
	s_and_saveexec_b32 s16, s0
	s_cbranch_execz .LBB56_165
; %bb.162:
	v_subrev_nc_u32_e32 v119, 40, v0
	s_movk_i32 s17, 0x190
	s_mov_b32 s0, 0
.LBB56_163:                             ; =>This Inner Loop Header: Depth=1
	scratch_load_b32 v120, off, s15
	v_dual_mov_b32 v121, s17 :: v_dual_add_nc_u32 v119, -1, v119
	s_add_co_i32 s17, s17, 4
	s_wait_xcnt 0x0
	s_add_co_i32 s15, s15, 4
	ds_load_b32 v121, v121
	v_cmp_eq_u32_e32 vcc_lo, 0, v119
	s_or_b32 s0, vcc_lo, s0
	s_wait_loadcnt_dscnt 0x0
	v_fmac_f32_e32 v118, v120, v121
	s_and_not1_b32 exec_lo, exec_lo, s0
	s_cbranch_execnz .LBB56_163
; %bb.164:
	s_or_b32 exec_lo, exec_lo, s0
.LBB56_165:
	s_delay_alu instid0(SALU_CYCLE_1)
	s_or_b32 exec_lo, exec_lo, s16
	v_mov_b32_e32 v119, 0
	ds_load_b32 v119, v119 offset:156
	s_wait_dscnt 0x0
	v_mul_f32_e32 v118, v118, v119
	scratch_store_b32 off, v118, off offset:156
.LBB56_166:
	s_wait_xcnt 0x0
	s_or_b32 exec_lo, exec_lo, s2
	scratch_load_b32 v118, off, off offset:152
	v_cmp_lt_u32_e64 s0, 38, v0
	s_wait_loadcnt 0x0
	ds_store_b32 v1, v118
	s_wait_storecnt_dscnt 0x0
	s_barrier_signal -1
	s_barrier_wait -1
	s_wait_xcnt 0x0
	s_and_saveexec_b32 s2, s0
	s_cbranch_execz .LBB56_176
; %bb.167:
	s_and_not1_b32 vcc_lo, exec_lo, s3
	s_cbranch_vccnz .LBB56_169
; %bb.168:
	scratch_load_b32 v118, v7, off
	ds_load_b32 v119, v1
	s_wait_loadcnt_dscnt 0x0
	v_mul_f32_e32 v118, v118, v119
	s_cbranch_execz .LBB56_170
	s_branch .LBB56_171
.LBB56_169:
                                        ; implicit-def: $vgpr118
.LBB56_170:
	ds_load_b32 v118, v1
.LBB56_171:
	s_and_saveexec_b32 s15, s1
	s_cbranch_execz .LBB56_175
; %bb.172:
	v_subrev_nc_u32_e32 v119, 39, v0
	s_movk_i32 s1, 0x9c
	s_movk_i32 s17, 0x18c
	s_mov_b32 s16, 0
.LBB56_173:                             ; =>This Inner Loop Header: Depth=1
	scratch_load_b32 v120, off, s1
	v_dual_mov_b32 v121, s17 :: v_dual_add_nc_u32 v119, -1, v119
	s_add_co_i32 s17, s17, 4
	s_wait_xcnt 0x0
	s_add_co_i32 s1, s1, 4
	ds_load_b32 v121, v121
	v_cmp_eq_u32_e32 vcc_lo, 0, v119
	s_or_b32 s16, vcc_lo, s16
	s_wait_loadcnt_dscnt 0x0
	v_fmac_f32_e32 v118, v120, v121
	s_and_not1_b32 exec_lo, exec_lo, s16
	s_cbranch_execnz .LBB56_173
; %bb.174:
	s_or_b32 exec_lo, exec_lo, s16
.LBB56_175:
	s_delay_alu instid0(SALU_CYCLE_1)
	s_or_b32 exec_lo, exec_lo, s15
	v_mov_b32_e32 v119, 0
	ds_load_b32 v119, v119 offset:152
	s_wait_dscnt 0x0
	v_mul_f32_e32 v118, v118, v119
	scratch_store_b32 off, v118, off offset:152
.LBB56_176:
	s_wait_xcnt 0x0
	s_or_b32 exec_lo, exec_lo, s2
	scratch_load_b32 v118, off, off offset:148
	v_cmp_lt_u32_e64 s1, 37, v0
	s_wait_loadcnt 0x0
	ds_store_b32 v1, v118
	s_wait_storecnt_dscnt 0x0
	s_barrier_signal -1
	s_barrier_wait -1
	s_wait_xcnt 0x0
	s_and_saveexec_b32 s2, s1
	s_cbranch_execz .LBB56_186
; %bb.177:
	s_and_not1_b32 vcc_lo, exec_lo, s3
	s_cbranch_vccnz .LBB56_179
; %bb.178:
	scratch_load_b32 v118, v7, off
	ds_load_b32 v119, v1
	s_wait_loadcnt_dscnt 0x0
	v_mul_f32_e32 v118, v118, v119
	s_cbranch_execz .LBB56_180
	s_branch .LBB56_181
.LBB56_179:
                                        ; implicit-def: $vgpr118
.LBB56_180:
	ds_load_b32 v118, v1
.LBB56_181:
	s_and_saveexec_b32 s15, s0
	s_cbranch_execz .LBB56_185
; %bb.182:
	v_subrev_nc_u32_e32 v119, 38, v0
	s_movk_i32 s0, 0x98
	s_movk_i32 s17, 0x188
	s_mov_b32 s16, 0
.LBB56_183:                             ; =>This Inner Loop Header: Depth=1
	scratch_load_b32 v120, off, s0
	v_dual_mov_b32 v121, s17 :: v_dual_add_nc_u32 v119, -1, v119
	s_add_co_i32 s17, s17, 4
	s_wait_xcnt 0x0
	s_add_co_i32 s0, s0, 4
	ds_load_b32 v121, v121
	v_cmp_eq_u32_e32 vcc_lo, 0, v119
	s_or_b32 s16, vcc_lo, s16
	s_wait_loadcnt_dscnt 0x0
	v_fmac_f32_e32 v118, v120, v121
	s_and_not1_b32 exec_lo, exec_lo, s16
	s_cbranch_execnz .LBB56_183
; %bb.184:
	s_or_b32 exec_lo, exec_lo, s16
.LBB56_185:
	s_delay_alu instid0(SALU_CYCLE_1)
	s_or_b32 exec_lo, exec_lo, s15
	v_mov_b32_e32 v119, 0
	ds_load_b32 v119, v119 offset:148
	s_wait_dscnt 0x0
	v_mul_f32_e32 v118, v118, v119
	scratch_store_b32 off, v118, off offset:148
.LBB56_186:
	;; [unrolled: 58-line block ×3, first 2 shown]
	s_wait_xcnt 0x0
	s_or_b32 exec_lo, exec_lo, s2
	scratch_load_b32 v118, off, off offset:140
	v_cmp_lt_u32_e64 s1, 35, v0
	s_wait_loadcnt 0x0
	ds_store_b32 v1, v118
	s_wait_storecnt_dscnt 0x0
	s_barrier_signal -1
	s_barrier_wait -1
	s_wait_xcnt 0x0
	s_and_saveexec_b32 s2, s1
	s_cbranch_execz .LBB56_206
; %bb.197:
	s_and_not1_b32 vcc_lo, exec_lo, s3
	s_cbranch_vccnz .LBB56_199
; %bb.198:
	scratch_load_b32 v118, v7, off
	ds_load_b32 v119, v1
	s_wait_loadcnt_dscnt 0x0
	v_mul_f32_e32 v118, v118, v119
	s_cbranch_execz .LBB56_200
	s_branch .LBB56_201
.LBB56_199:
                                        ; implicit-def: $vgpr118
.LBB56_200:
	ds_load_b32 v118, v1
.LBB56_201:
	s_and_saveexec_b32 s15, s0
	s_cbranch_execz .LBB56_205
; %bb.202:
	v_subrev_nc_u32_e32 v119, 36, v0
	s_movk_i32 s16, 0x180
	s_mov_b32 s0, 0
.LBB56_203:                             ; =>This Inner Loop Header: Depth=1
	scratch_load_b32 v120, off, s14
	v_dual_mov_b32 v121, s16 :: v_dual_add_nc_u32 v119, -1, v119
	s_add_co_i32 s16, s16, 4
	s_wait_xcnt 0x0
	s_add_co_i32 s14, s14, 4
	ds_load_b32 v121, v121
	v_cmp_eq_u32_e32 vcc_lo, 0, v119
	s_or_b32 s0, vcc_lo, s0
	s_wait_loadcnt_dscnt 0x0
	v_fmac_f32_e32 v118, v120, v121
	s_and_not1_b32 exec_lo, exec_lo, s0
	s_cbranch_execnz .LBB56_203
; %bb.204:
	s_or_b32 exec_lo, exec_lo, s0
.LBB56_205:
	s_delay_alu instid0(SALU_CYCLE_1)
	s_or_b32 exec_lo, exec_lo, s15
	v_mov_b32_e32 v119, 0
	ds_load_b32 v119, v119 offset:140
	s_wait_dscnt 0x0
	v_mul_f32_e32 v118, v118, v119
	scratch_store_b32 off, v118, off offset:140
.LBB56_206:
	s_wait_xcnt 0x0
	s_or_b32 exec_lo, exec_lo, s2
	scratch_load_b32 v118, off, off offset:136
	v_cmp_lt_u32_e64 s0, 34, v0
	s_wait_loadcnt 0x0
	ds_store_b32 v1, v118
	s_wait_storecnt_dscnt 0x0
	s_barrier_signal -1
	s_barrier_wait -1
	s_wait_xcnt 0x0
	s_and_saveexec_b32 s2, s0
	s_cbranch_execz .LBB56_216
; %bb.207:
	s_and_not1_b32 vcc_lo, exec_lo, s3
	s_cbranch_vccnz .LBB56_209
; %bb.208:
	scratch_load_b32 v118, v7, off
	ds_load_b32 v119, v1
	s_wait_loadcnt_dscnt 0x0
	v_mul_f32_e32 v118, v118, v119
	s_cbranch_execz .LBB56_210
	s_branch .LBB56_211
.LBB56_209:
                                        ; implicit-def: $vgpr118
.LBB56_210:
	ds_load_b32 v118, v1
.LBB56_211:
	s_and_saveexec_b32 s14, s1
	s_cbranch_execz .LBB56_215
; %bb.212:
	v_subrev_nc_u32_e32 v119, 35, v0
	s_movk_i32 s1, 0x8c
	s_movk_i32 s16, 0x17c
	s_mov_b32 s15, 0
.LBB56_213:                             ; =>This Inner Loop Header: Depth=1
	scratch_load_b32 v120, off, s1
	v_dual_mov_b32 v121, s16 :: v_dual_add_nc_u32 v119, -1, v119
	s_add_co_i32 s16, s16, 4
	s_wait_xcnt 0x0
	s_add_co_i32 s1, s1, 4
	ds_load_b32 v121, v121
	v_cmp_eq_u32_e32 vcc_lo, 0, v119
	s_or_b32 s15, vcc_lo, s15
	s_wait_loadcnt_dscnt 0x0
	v_fmac_f32_e32 v118, v120, v121
	s_and_not1_b32 exec_lo, exec_lo, s15
	s_cbranch_execnz .LBB56_213
; %bb.214:
	s_or_b32 exec_lo, exec_lo, s15
.LBB56_215:
	s_delay_alu instid0(SALU_CYCLE_1)
	s_or_b32 exec_lo, exec_lo, s14
	v_mov_b32_e32 v119, 0
	ds_load_b32 v119, v119 offset:136
	s_wait_dscnt 0x0
	v_mul_f32_e32 v118, v118, v119
	scratch_store_b32 off, v118, off offset:136
.LBB56_216:
	s_wait_xcnt 0x0
	s_or_b32 exec_lo, exec_lo, s2
	scratch_load_b32 v118, off, off offset:132
	v_cmp_lt_u32_e64 s1, 33, v0
	s_wait_loadcnt 0x0
	ds_store_b32 v1, v118
	s_wait_storecnt_dscnt 0x0
	s_barrier_signal -1
	s_barrier_wait -1
	s_wait_xcnt 0x0
	s_and_saveexec_b32 s2, s1
	s_cbranch_execz .LBB56_226
; %bb.217:
	s_and_not1_b32 vcc_lo, exec_lo, s3
	s_cbranch_vccnz .LBB56_219
; %bb.218:
	scratch_load_b32 v118, v7, off
	ds_load_b32 v119, v1
	s_wait_loadcnt_dscnt 0x0
	v_mul_f32_e32 v118, v118, v119
	s_cbranch_execz .LBB56_220
	s_branch .LBB56_221
.LBB56_219:
                                        ; implicit-def: $vgpr118
.LBB56_220:
	ds_load_b32 v118, v1
.LBB56_221:
	s_and_saveexec_b32 s14, s0
	s_cbranch_execz .LBB56_225
; %bb.222:
	v_subrev_nc_u32_e32 v119, 34, v0
	s_movk_i32 s0, 0x88
	s_movk_i32 s16, 0x178
	s_mov_b32 s15, 0
.LBB56_223:                             ; =>This Inner Loop Header: Depth=1
	scratch_load_b32 v120, off, s0
	v_dual_mov_b32 v121, s16 :: v_dual_add_nc_u32 v119, -1, v119
	s_add_co_i32 s16, s16, 4
	s_wait_xcnt 0x0
	s_add_co_i32 s0, s0, 4
	ds_load_b32 v121, v121
	v_cmp_eq_u32_e32 vcc_lo, 0, v119
	s_or_b32 s15, vcc_lo, s15
	s_wait_loadcnt_dscnt 0x0
	v_fmac_f32_e32 v118, v120, v121
	s_and_not1_b32 exec_lo, exec_lo, s15
	s_cbranch_execnz .LBB56_223
; %bb.224:
	s_or_b32 exec_lo, exec_lo, s15
.LBB56_225:
	s_delay_alu instid0(SALU_CYCLE_1)
	s_or_b32 exec_lo, exec_lo, s14
	v_mov_b32_e32 v119, 0
	ds_load_b32 v119, v119 offset:132
	s_wait_dscnt 0x0
	v_mul_f32_e32 v118, v118, v119
	scratch_store_b32 off, v118, off offset:132
.LBB56_226:
	;; [unrolled: 58-line block ×3, first 2 shown]
	s_wait_xcnt 0x0
	s_or_b32 exec_lo, exec_lo, s2
	scratch_load_b32 v118, off, off offset:124
	v_cmp_lt_u32_e64 s1, 31, v0
	s_wait_loadcnt 0x0
	ds_store_b32 v1, v118
	s_wait_storecnt_dscnt 0x0
	s_barrier_signal -1
	s_barrier_wait -1
	s_wait_xcnt 0x0
	s_and_saveexec_b32 s2, s1
	s_cbranch_execz .LBB56_246
; %bb.237:
	s_and_not1_b32 vcc_lo, exec_lo, s3
	s_cbranch_vccnz .LBB56_239
; %bb.238:
	scratch_load_b32 v118, v7, off
	ds_load_b32 v119, v1
	s_wait_loadcnt_dscnt 0x0
	v_mul_f32_e32 v118, v118, v119
	s_cbranch_execz .LBB56_240
	s_branch .LBB56_241
.LBB56_239:
                                        ; implicit-def: $vgpr118
.LBB56_240:
	ds_load_b32 v118, v1
.LBB56_241:
	s_and_saveexec_b32 s14, s0
	s_cbranch_execz .LBB56_245
; %bb.242:
	v_subrev_nc_u32_e32 v119, 32, v0
	s_movk_i32 s15, 0x170
	s_mov_b32 s0, 0
.LBB56_243:                             ; =>This Inner Loop Header: Depth=1
	scratch_load_b32 v120, off, s13
	v_dual_mov_b32 v121, s15 :: v_dual_add_nc_u32 v119, -1, v119
	s_add_co_i32 s15, s15, 4
	s_wait_xcnt 0x0
	s_add_co_i32 s13, s13, 4
	ds_load_b32 v121, v121
	v_cmp_eq_u32_e32 vcc_lo, 0, v119
	s_or_b32 s0, vcc_lo, s0
	s_wait_loadcnt_dscnt 0x0
	v_fmac_f32_e32 v118, v120, v121
	s_and_not1_b32 exec_lo, exec_lo, s0
	s_cbranch_execnz .LBB56_243
; %bb.244:
	s_or_b32 exec_lo, exec_lo, s0
.LBB56_245:
	s_delay_alu instid0(SALU_CYCLE_1)
	s_or_b32 exec_lo, exec_lo, s14
	v_mov_b32_e32 v119, 0
	ds_load_b32 v119, v119 offset:124
	s_wait_dscnt 0x0
	v_mul_f32_e32 v118, v118, v119
	scratch_store_b32 off, v118, off offset:124
.LBB56_246:
	s_wait_xcnt 0x0
	s_or_b32 exec_lo, exec_lo, s2
	scratch_load_b32 v118, off, off offset:120
	v_cmp_lt_u32_e64 s0, 30, v0
	s_wait_loadcnt 0x0
	ds_store_b32 v1, v118
	s_wait_storecnt_dscnt 0x0
	s_barrier_signal -1
	s_barrier_wait -1
	s_wait_xcnt 0x0
	s_and_saveexec_b32 s2, s0
	s_cbranch_execz .LBB56_256
; %bb.247:
	s_and_not1_b32 vcc_lo, exec_lo, s3
	s_cbranch_vccnz .LBB56_249
; %bb.248:
	scratch_load_b32 v118, v7, off
	ds_load_b32 v119, v1
	s_wait_loadcnt_dscnt 0x0
	v_mul_f32_e32 v118, v118, v119
	s_cbranch_execz .LBB56_250
	s_branch .LBB56_251
.LBB56_249:
                                        ; implicit-def: $vgpr118
.LBB56_250:
	ds_load_b32 v118, v1
.LBB56_251:
	s_and_saveexec_b32 s13, s1
	s_cbranch_execz .LBB56_255
; %bb.252:
	v_subrev_nc_u32_e32 v119, 31, v0
	s_movk_i32 s1, 0x7c
	s_movk_i32 s15, 0x16c
	s_mov_b32 s14, 0
.LBB56_253:                             ; =>This Inner Loop Header: Depth=1
	scratch_load_b32 v120, off, s1
	v_dual_mov_b32 v121, s15 :: v_dual_add_nc_u32 v119, -1, v119
	s_add_co_i32 s15, s15, 4
	s_wait_xcnt 0x0
	s_add_co_i32 s1, s1, 4
	ds_load_b32 v121, v121
	v_cmp_eq_u32_e32 vcc_lo, 0, v119
	s_or_b32 s14, vcc_lo, s14
	s_wait_loadcnt_dscnt 0x0
	v_fmac_f32_e32 v118, v120, v121
	s_and_not1_b32 exec_lo, exec_lo, s14
	s_cbranch_execnz .LBB56_253
; %bb.254:
	s_or_b32 exec_lo, exec_lo, s14
.LBB56_255:
	s_delay_alu instid0(SALU_CYCLE_1)
	s_or_b32 exec_lo, exec_lo, s13
	v_mov_b32_e32 v119, 0
	ds_load_b32 v119, v119 offset:120
	s_wait_dscnt 0x0
	v_mul_f32_e32 v118, v118, v119
	scratch_store_b32 off, v118, off offset:120
.LBB56_256:
	s_wait_xcnt 0x0
	s_or_b32 exec_lo, exec_lo, s2
	scratch_load_b32 v118, off, off offset:116
	v_cmp_lt_u32_e64 s1, 29, v0
	s_wait_loadcnt 0x0
	ds_store_b32 v1, v118
	s_wait_storecnt_dscnt 0x0
	s_barrier_signal -1
	s_barrier_wait -1
	s_wait_xcnt 0x0
	s_and_saveexec_b32 s2, s1
	s_cbranch_execz .LBB56_266
; %bb.257:
	s_and_not1_b32 vcc_lo, exec_lo, s3
	s_cbranch_vccnz .LBB56_259
; %bb.258:
	scratch_load_b32 v118, v7, off
	ds_load_b32 v119, v1
	s_wait_loadcnt_dscnt 0x0
	v_mul_f32_e32 v118, v118, v119
	s_cbranch_execz .LBB56_260
	s_branch .LBB56_261
.LBB56_259:
                                        ; implicit-def: $vgpr118
.LBB56_260:
	ds_load_b32 v118, v1
.LBB56_261:
	s_and_saveexec_b32 s13, s0
	s_cbranch_execz .LBB56_265
; %bb.262:
	v_subrev_nc_u32_e32 v119, 30, v0
	s_movk_i32 s0, 0x78
	s_movk_i32 s15, 0x168
	s_mov_b32 s14, 0
.LBB56_263:                             ; =>This Inner Loop Header: Depth=1
	scratch_load_b32 v120, off, s0
	v_dual_mov_b32 v121, s15 :: v_dual_add_nc_u32 v119, -1, v119
	s_add_co_i32 s15, s15, 4
	s_wait_xcnt 0x0
	s_add_co_i32 s0, s0, 4
	ds_load_b32 v121, v121
	v_cmp_eq_u32_e32 vcc_lo, 0, v119
	s_or_b32 s14, vcc_lo, s14
	s_wait_loadcnt_dscnt 0x0
	v_fmac_f32_e32 v118, v120, v121
	s_and_not1_b32 exec_lo, exec_lo, s14
	s_cbranch_execnz .LBB56_263
; %bb.264:
	s_or_b32 exec_lo, exec_lo, s14
.LBB56_265:
	s_delay_alu instid0(SALU_CYCLE_1)
	s_or_b32 exec_lo, exec_lo, s13
	v_mov_b32_e32 v119, 0
	ds_load_b32 v119, v119 offset:116
	s_wait_dscnt 0x0
	v_mul_f32_e32 v118, v118, v119
	scratch_store_b32 off, v118, off offset:116
.LBB56_266:
	;; [unrolled: 58-line block ×3, first 2 shown]
	s_wait_xcnt 0x0
	s_or_b32 exec_lo, exec_lo, s2
	scratch_load_b32 v118, off, off offset:108
	v_cmp_lt_u32_e64 s1, 27, v0
	s_wait_loadcnt 0x0
	ds_store_b32 v1, v118
	s_wait_storecnt_dscnt 0x0
	s_barrier_signal -1
	s_barrier_wait -1
	s_wait_xcnt 0x0
	s_and_saveexec_b32 s2, s1
	s_cbranch_execz .LBB56_286
; %bb.277:
	s_and_not1_b32 vcc_lo, exec_lo, s3
	s_cbranch_vccnz .LBB56_279
; %bb.278:
	scratch_load_b32 v118, v7, off
	ds_load_b32 v119, v1
	s_wait_loadcnt_dscnt 0x0
	v_mul_f32_e32 v118, v118, v119
	s_cbranch_execz .LBB56_280
	s_branch .LBB56_281
.LBB56_279:
                                        ; implicit-def: $vgpr118
.LBB56_280:
	ds_load_b32 v118, v1
.LBB56_281:
	s_and_saveexec_b32 s13, s0
	s_cbranch_execz .LBB56_285
; %bb.282:
	v_subrev_nc_u32_e32 v119, 28, v0
	s_movk_i32 s14, 0x160
	s_mov_b32 s0, 0
.LBB56_283:                             ; =>This Inner Loop Header: Depth=1
	scratch_load_b32 v120, off, s12
	v_dual_mov_b32 v121, s14 :: v_dual_add_nc_u32 v119, -1, v119
	s_add_co_i32 s14, s14, 4
	s_wait_xcnt 0x0
	s_add_co_i32 s12, s12, 4
	ds_load_b32 v121, v121
	v_cmp_eq_u32_e32 vcc_lo, 0, v119
	s_or_b32 s0, vcc_lo, s0
	s_wait_loadcnt_dscnt 0x0
	v_fmac_f32_e32 v118, v120, v121
	s_and_not1_b32 exec_lo, exec_lo, s0
	s_cbranch_execnz .LBB56_283
; %bb.284:
	s_or_b32 exec_lo, exec_lo, s0
.LBB56_285:
	s_delay_alu instid0(SALU_CYCLE_1)
	s_or_b32 exec_lo, exec_lo, s13
	v_mov_b32_e32 v119, 0
	ds_load_b32 v119, v119 offset:108
	s_wait_dscnt 0x0
	v_mul_f32_e32 v118, v118, v119
	scratch_store_b32 off, v118, off offset:108
.LBB56_286:
	s_wait_xcnt 0x0
	s_or_b32 exec_lo, exec_lo, s2
	scratch_load_b32 v118, off, off offset:104
	v_cmp_lt_u32_e64 s0, 26, v0
	s_wait_loadcnt 0x0
	ds_store_b32 v1, v118
	s_wait_storecnt_dscnt 0x0
	s_barrier_signal -1
	s_barrier_wait -1
	s_wait_xcnt 0x0
	s_and_saveexec_b32 s2, s0
	s_cbranch_execz .LBB56_296
; %bb.287:
	s_and_not1_b32 vcc_lo, exec_lo, s3
	s_cbranch_vccnz .LBB56_289
; %bb.288:
	scratch_load_b32 v118, v7, off
	ds_load_b32 v119, v1
	s_wait_loadcnt_dscnt 0x0
	v_mul_f32_e32 v118, v118, v119
	s_cbranch_execz .LBB56_290
	s_branch .LBB56_291
.LBB56_289:
                                        ; implicit-def: $vgpr118
.LBB56_290:
	ds_load_b32 v118, v1
.LBB56_291:
	s_and_saveexec_b32 s12, s1
	s_cbranch_execz .LBB56_295
; %bb.292:
	v_subrev_nc_u32_e32 v119, 27, v0
	s_movk_i32 s1, 0x6c
	s_movk_i32 s14, 0x15c
	s_mov_b32 s13, 0
.LBB56_293:                             ; =>This Inner Loop Header: Depth=1
	scratch_load_b32 v120, off, s1
	v_dual_mov_b32 v121, s14 :: v_dual_add_nc_u32 v119, -1, v119
	s_add_co_i32 s14, s14, 4
	s_wait_xcnt 0x0
	s_add_co_i32 s1, s1, 4
	ds_load_b32 v121, v121
	v_cmp_eq_u32_e32 vcc_lo, 0, v119
	s_or_b32 s13, vcc_lo, s13
	s_wait_loadcnt_dscnt 0x0
	v_fmac_f32_e32 v118, v120, v121
	s_and_not1_b32 exec_lo, exec_lo, s13
	s_cbranch_execnz .LBB56_293
; %bb.294:
	s_or_b32 exec_lo, exec_lo, s13
.LBB56_295:
	s_delay_alu instid0(SALU_CYCLE_1)
	s_or_b32 exec_lo, exec_lo, s12
	v_mov_b32_e32 v119, 0
	ds_load_b32 v119, v119 offset:104
	s_wait_dscnt 0x0
	v_mul_f32_e32 v118, v118, v119
	scratch_store_b32 off, v118, off offset:104
.LBB56_296:
	s_wait_xcnt 0x0
	s_or_b32 exec_lo, exec_lo, s2
	scratch_load_b32 v118, off, off offset:100
	v_cmp_lt_u32_e64 s1, 25, v0
	s_wait_loadcnt 0x0
	ds_store_b32 v1, v118
	s_wait_storecnt_dscnt 0x0
	s_barrier_signal -1
	s_barrier_wait -1
	s_wait_xcnt 0x0
	s_and_saveexec_b32 s2, s1
	s_cbranch_execz .LBB56_306
; %bb.297:
	s_and_not1_b32 vcc_lo, exec_lo, s3
	s_cbranch_vccnz .LBB56_299
; %bb.298:
	scratch_load_b32 v118, v7, off
	ds_load_b32 v119, v1
	s_wait_loadcnt_dscnt 0x0
	v_mul_f32_e32 v118, v118, v119
	s_cbranch_execz .LBB56_300
	s_branch .LBB56_301
.LBB56_299:
                                        ; implicit-def: $vgpr118
.LBB56_300:
	ds_load_b32 v118, v1
.LBB56_301:
	s_and_saveexec_b32 s12, s0
	s_cbranch_execz .LBB56_305
; %bb.302:
	v_subrev_nc_u32_e32 v119, 26, v0
	s_movk_i32 s0, 0x68
	s_movk_i32 s14, 0x158
	s_mov_b32 s13, 0
.LBB56_303:                             ; =>This Inner Loop Header: Depth=1
	scratch_load_b32 v120, off, s0
	v_dual_mov_b32 v121, s14 :: v_dual_add_nc_u32 v119, -1, v119
	s_add_co_i32 s14, s14, 4
	s_wait_xcnt 0x0
	s_add_co_i32 s0, s0, 4
	ds_load_b32 v121, v121
	v_cmp_eq_u32_e32 vcc_lo, 0, v119
	s_or_b32 s13, vcc_lo, s13
	s_wait_loadcnt_dscnt 0x0
	v_fmac_f32_e32 v118, v120, v121
	s_and_not1_b32 exec_lo, exec_lo, s13
	s_cbranch_execnz .LBB56_303
; %bb.304:
	s_or_b32 exec_lo, exec_lo, s13
.LBB56_305:
	s_delay_alu instid0(SALU_CYCLE_1)
	s_or_b32 exec_lo, exec_lo, s12
	v_mov_b32_e32 v119, 0
	ds_load_b32 v119, v119 offset:100
	s_wait_dscnt 0x0
	v_mul_f32_e32 v118, v118, v119
	scratch_store_b32 off, v118, off offset:100
.LBB56_306:
	;; [unrolled: 58-line block ×3, first 2 shown]
	s_wait_xcnt 0x0
	s_or_b32 exec_lo, exec_lo, s2
	scratch_load_b32 v118, off, off offset:92
	v_cmp_lt_u32_e64 s1, 23, v0
	s_wait_loadcnt 0x0
	ds_store_b32 v1, v118
	s_wait_storecnt_dscnt 0x0
	s_barrier_signal -1
	s_barrier_wait -1
	s_wait_xcnt 0x0
	s_and_saveexec_b32 s2, s1
	s_cbranch_execz .LBB56_326
; %bb.317:
	s_and_not1_b32 vcc_lo, exec_lo, s3
	s_cbranch_vccnz .LBB56_319
; %bb.318:
	scratch_load_b32 v118, v7, off
	ds_load_b32 v119, v1
	s_wait_loadcnt_dscnt 0x0
	v_mul_f32_e32 v118, v118, v119
	s_cbranch_execz .LBB56_320
	s_branch .LBB56_321
.LBB56_319:
                                        ; implicit-def: $vgpr118
.LBB56_320:
	ds_load_b32 v118, v1
.LBB56_321:
	s_and_saveexec_b32 s12, s0
	s_cbranch_execz .LBB56_325
; %bb.322:
	v_subrev_nc_u32_e32 v119, 24, v0
	s_movk_i32 s13, 0x150
	s_mov_b32 s0, 0
.LBB56_323:                             ; =>This Inner Loop Header: Depth=1
	scratch_load_b32 v120, off, s11
	v_dual_mov_b32 v121, s13 :: v_dual_add_nc_u32 v119, -1, v119
	s_add_co_i32 s13, s13, 4
	s_wait_xcnt 0x0
	s_add_co_i32 s11, s11, 4
	ds_load_b32 v121, v121
	v_cmp_eq_u32_e32 vcc_lo, 0, v119
	s_or_b32 s0, vcc_lo, s0
	s_wait_loadcnt_dscnt 0x0
	v_fmac_f32_e32 v118, v120, v121
	s_and_not1_b32 exec_lo, exec_lo, s0
	s_cbranch_execnz .LBB56_323
; %bb.324:
	s_or_b32 exec_lo, exec_lo, s0
.LBB56_325:
	s_delay_alu instid0(SALU_CYCLE_1)
	s_or_b32 exec_lo, exec_lo, s12
	v_mov_b32_e32 v119, 0
	ds_load_b32 v119, v119 offset:92
	s_wait_dscnt 0x0
	v_mul_f32_e32 v118, v118, v119
	scratch_store_b32 off, v118, off offset:92
.LBB56_326:
	s_wait_xcnt 0x0
	s_or_b32 exec_lo, exec_lo, s2
	scratch_load_b32 v118, off, off offset:88
	v_cmp_lt_u32_e64 s0, 22, v0
	s_wait_loadcnt 0x0
	ds_store_b32 v1, v118
	s_wait_storecnt_dscnt 0x0
	s_barrier_signal -1
	s_barrier_wait -1
	s_wait_xcnt 0x0
	s_and_saveexec_b32 s2, s0
	s_cbranch_execz .LBB56_336
; %bb.327:
	s_and_not1_b32 vcc_lo, exec_lo, s3
	s_cbranch_vccnz .LBB56_329
; %bb.328:
	scratch_load_b32 v118, v7, off
	ds_load_b32 v119, v1
	s_wait_loadcnt_dscnt 0x0
	v_mul_f32_e32 v118, v118, v119
	s_cbranch_execz .LBB56_330
	s_branch .LBB56_331
.LBB56_329:
                                        ; implicit-def: $vgpr118
.LBB56_330:
	ds_load_b32 v118, v1
.LBB56_331:
	s_and_saveexec_b32 s11, s1
	s_cbranch_execz .LBB56_335
; %bb.332:
	v_subrev_nc_u32_e32 v119, 23, v0
	s_movk_i32 s1, 0x5c
	s_movk_i32 s13, 0x14c
	s_mov_b32 s12, 0
.LBB56_333:                             ; =>This Inner Loop Header: Depth=1
	scratch_load_b32 v120, off, s1
	v_dual_mov_b32 v121, s13 :: v_dual_add_nc_u32 v119, -1, v119
	s_add_co_i32 s13, s13, 4
	s_wait_xcnt 0x0
	s_add_co_i32 s1, s1, 4
	ds_load_b32 v121, v121
	v_cmp_eq_u32_e32 vcc_lo, 0, v119
	s_or_b32 s12, vcc_lo, s12
	s_wait_loadcnt_dscnt 0x0
	v_fmac_f32_e32 v118, v120, v121
	s_and_not1_b32 exec_lo, exec_lo, s12
	s_cbranch_execnz .LBB56_333
; %bb.334:
	s_or_b32 exec_lo, exec_lo, s12
.LBB56_335:
	s_delay_alu instid0(SALU_CYCLE_1)
	s_or_b32 exec_lo, exec_lo, s11
	v_mov_b32_e32 v119, 0
	ds_load_b32 v119, v119 offset:88
	s_wait_dscnt 0x0
	v_mul_f32_e32 v118, v118, v119
	scratch_store_b32 off, v118, off offset:88
.LBB56_336:
	s_wait_xcnt 0x0
	s_or_b32 exec_lo, exec_lo, s2
	scratch_load_b32 v118, off, off offset:84
	v_cmp_lt_u32_e64 s1, 21, v0
	s_wait_loadcnt 0x0
	ds_store_b32 v1, v118
	s_wait_storecnt_dscnt 0x0
	s_barrier_signal -1
	s_barrier_wait -1
	s_wait_xcnt 0x0
	s_and_saveexec_b32 s2, s1
	s_cbranch_execz .LBB56_346
; %bb.337:
	s_and_not1_b32 vcc_lo, exec_lo, s3
	s_cbranch_vccnz .LBB56_339
; %bb.338:
	scratch_load_b32 v118, v7, off
	ds_load_b32 v119, v1
	s_wait_loadcnt_dscnt 0x0
	v_mul_f32_e32 v118, v118, v119
	s_cbranch_execz .LBB56_340
	s_branch .LBB56_341
.LBB56_339:
                                        ; implicit-def: $vgpr118
.LBB56_340:
	ds_load_b32 v118, v1
.LBB56_341:
	s_and_saveexec_b32 s11, s0
	s_cbranch_execz .LBB56_345
; %bb.342:
	v_subrev_nc_u32_e32 v119, 22, v0
	s_movk_i32 s0, 0x58
	s_movk_i32 s13, 0x148
	s_mov_b32 s12, 0
.LBB56_343:                             ; =>This Inner Loop Header: Depth=1
	scratch_load_b32 v120, off, s0
	v_dual_mov_b32 v121, s13 :: v_dual_add_nc_u32 v119, -1, v119
	s_add_co_i32 s13, s13, 4
	s_wait_xcnt 0x0
	s_add_co_i32 s0, s0, 4
	ds_load_b32 v121, v121
	v_cmp_eq_u32_e32 vcc_lo, 0, v119
	s_or_b32 s12, vcc_lo, s12
	s_wait_loadcnt_dscnt 0x0
	v_fmac_f32_e32 v118, v120, v121
	s_and_not1_b32 exec_lo, exec_lo, s12
	s_cbranch_execnz .LBB56_343
; %bb.344:
	s_or_b32 exec_lo, exec_lo, s12
.LBB56_345:
	s_delay_alu instid0(SALU_CYCLE_1)
	s_or_b32 exec_lo, exec_lo, s11
	v_mov_b32_e32 v119, 0
	ds_load_b32 v119, v119 offset:84
	s_wait_dscnt 0x0
	v_mul_f32_e32 v118, v118, v119
	scratch_store_b32 off, v118, off offset:84
.LBB56_346:
	;; [unrolled: 58-line block ×3, first 2 shown]
	s_wait_xcnt 0x0
	s_or_b32 exec_lo, exec_lo, s2
	scratch_load_b32 v118, off, off offset:76
	v_cmp_lt_u32_e64 s1, 19, v0
	s_wait_loadcnt 0x0
	ds_store_b32 v1, v118
	s_wait_storecnt_dscnt 0x0
	s_barrier_signal -1
	s_barrier_wait -1
	s_wait_xcnt 0x0
	s_and_saveexec_b32 s2, s1
	s_cbranch_execz .LBB56_366
; %bb.357:
	s_and_not1_b32 vcc_lo, exec_lo, s3
	s_cbranch_vccnz .LBB56_359
; %bb.358:
	scratch_load_b32 v118, v7, off
	ds_load_b32 v119, v1
	s_wait_loadcnt_dscnt 0x0
	v_mul_f32_e32 v118, v118, v119
	s_cbranch_execz .LBB56_360
	s_branch .LBB56_361
.LBB56_359:
                                        ; implicit-def: $vgpr118
.LBB56_360:
	ds_load_b32 v118, v1
.LBB56_361:
	s_and_saveexec_b32 s11, s0
	s_cbranch_execz .LBB56_365
; %bb.362:
	v_subrev_nc_u32_e32 v119, 20, v0
	s_movk_i32 s12, 0x140
	s_mov_b32 s0, 0
.LBB56_363:                             ; =>This Inner Loop Header: Depth=1
	scratch_load_b32 v120, off, s10
	v_dual_mov_b32 v121, s12 :: v_dual_add_nc_u32 v119, -1, v119
	s_add_co_i32 s12, s12, 4
	s_wait_xcnt 0x0
	s_add_co_i32 s10, s10, 4
	ds_load_b32 v121, v121
	v_cmp_eq_u32_e32 vcc_lo, 0, v119
	s_or_b32 s0, vcc_lo, s0
	s_wait_loadcnt_dscnt 0x0
	v_fmac_f32_e32 v118, v120, v121
	s_and_not1_b32 exec_lo, exec_lo, s0
	s_cbranch_execnz .LBB56_363
; %bb.364:
	s_or_b32 exec_lo, exec_lo, s0
.LBB56_365:
	s_delay_alu instid0(SALU_CYCLE_1)
	s_or_b32 exec_lo, exec_lo, s11
	v_mov_b32_e32 v119, 0
	ds_load_b32 v119, v119 offset:76
	s_wait_dscnt 0x0
	v_mul_f32_e32 v118, v118, v119
	scratch_store_b32 off, v118, off offset:76
.LBB56_366:
	s_wait_xcnt 0x0
	s_or_b32 exec_lo, exec_lo, s2
	scratch_load_b32 v118, off, off offset:72
	v_cmp_lt_u32_e64 s0, 18, v0
	s_wait_loadcnt 0x0
	ds_store_b32 v1, v118
	s_wait_storecnt_dscnt 0x0
	s_barrier_signal -1
	s_barrier_wait -1
	s_wait_xcnt 0x0
	s_and_saveexec_b32 s2, s0
	s_cbranch_execz .LBB56_376
; %bb.367:
	s_and_not1_b32 vcc_lo, exec_lo, s3
	s_cbranch_vccnz .LBB56_369
; %bb.368:
	scratch_load_b32 v118, v7, off
	ds_load_b32 v119, v1
	s_wait_loadcnt_dscnt 0x0
	v_mul_f32_e32 v118, v118, v119
	s_cbranch_execz .LBB56_370
	s_branch .LBB56_371
.LBB56_369:
                                        ; implicit-def: $vgpr118
.LBB56_370:
	ds_load_b32 v118, v1
.LBB56_371:
	s_and_saveexec_b32 s10, s1
	s_cbranch_execz .LBB56_375
; %bb.372:
	v_subrev_nc_u32_e32 v119, 19, v0
	s_movk_i32 s1, 0x4c
	s_movk_i32 s12, 0x13c
	s_mov_b32 s11, 0
.LBB56_373:                             ; =>This Inner Loop Header: Depth=1
	scratch_load_b32 v120, off, s1
	v_dual_mov_b32 v121, s12 :: v_dual_add_nc_u32 v119, -1, v119
	s_add_co_i32 s12, s12, 4
	s_wait_xcnt 0x0
	s_add_co_i32 s1, s1, 4
	ds_load_b32 v121, v121
	v_cmp_eq_u32_e32 vcc_lo, 0, v119
	s_or_b32 s11, vcc_lo, s11
	s_wait_loadcnt_dscnt 0x0
	v_fmac_f32_e32 v118, v120, v121
	s_and_not1_b32 exec_lo, exec_lo, s11
	s_cbranch_execnz .LBB56_373
; %bb.374:
	s_or_b32 exec_lo, exec_lo, s11
.LBB56_375:
	s_delay_alu instid0(SALU_CYCLE_1)
	s_or_b32 exec_lo, exec_lo, s10
	v_mov_b32_e32 v119, 0
	ds_load_b32 v119, v119 offset:72
	s_wait_dscnt 0x0
	v_mul_f32_e32 v118, v118, v119
	scratch_store_b32 off, v118, off offset:72
.LBB56_376:
	s_wait_xcnt 0x0
	s_or_b32 exec_lo, exec_lo, s2
	scratch_load_b32 v118, off, off offset:68
	v_cmp_lt_u32_e64 s1, 17, v0
	s_wait_loadcnt 0x0
	ds_store_b32 v1, v118
	s_wait_storecnt_dscnt 0x0
	s_barrier_signal -1
	s_barrier_wait -1
	s_wait_xcnt 0x0
	s_and_saveexec_b32 s2, s1
	s_cbranch_execz .LBB56_386
; %bb.377:
	s_and_not1_b32 vcc_lo, exec_lo, s3
	s_cbranch_vccnz .LBB56_379
; %bb.378:
	scratch_load_b32 v118, v7, off
	ds_load_b32 v119, v1
	s_wait_loadcnt_dscnt 0x0
	v_mul_f32_e32 v118, v118, v119
	s_cbranch_execz .LBB56_380
	s_branch .LBB56_381
.LBB56_379:
                                        ; implicit-def: $vgpr118
.LBB56_380:
	ds_load_b32 v118, v1
.LBB56_381:
	s_and_saveexec_b32 s10, s0
	s_cbranch_execz .LBB56_385
; %bb.382:
	v_subrev_nc_u32_e32 v119, 18, v0
	s_movk_i32 s0, 0x48
	s_movk_i32 s12, 0x138
	s_mov_b32 s11, 0
.LBB56_383:                             ; =>This Inner Loop Header: Depth=1
	scratch_load_b32 v120, off, s0
	v_dual_mov_b32 v121, s12 :: v_dual_add_nc_u32 v119, -1, v119
	s_add_co_i32 s12, s12, 4
	s_wait_xcnt 0x0
	s_add_co_i32 s0, s0, 4
	ds_load_b32 v121, v121
	v_cmp_eq_u32_e32 vcc_lo, 0, v119
	s_or_b32 s11, vcc_lo, s11
	s_wait_loadcnt_dscnt 0x0
	v_fmac_f32_e32 v118, v120, v121
	s_and_not1_b32 exec_lo, exec_lo, s11
	s_cbranch_execnz .LBB56_383
; %bb.384:
	s_or_b32 exec_lo, exec_lo, s11
.LBB56_385:
	s_delay_alu instid0(SALU_CYCLE_1)
	s_or_b32 exec_lo, exec_lo, s10
	v_mov_b32_e32 v119, 0
	ds_load_b32 v119, v119 offset:68
	s_wait_dscnt 0x0
	v_mul_f32_e32 v118, v118, v119
	scratch_store_b32 off, v118, off offset:68
.LBB56_386:
	;; [unrolled: 58-line block ×3, first 2 shown]
	s_wait_xcnt 0x0
	s_or_b32 exec_lo, exec_lo, s2
	scratch_load_b32 v118, off, off offset:60
	v_cmp_lt_u32_e64 s1, 15, v0
	s_wait_loadcnt 0x0
	ds_store_b32 v1, v118
	s_wait_storecnt_dscnt 0x0
	s_barrier_signal -1
	s_barrier_wait -1
	s_wait_xcnt 0x0
	s_and_saveexec_b32 s2, s1
	s_cbranch_execz .LBB56_406
; %bb.397:
	s_and_not1_b32 vcc_lo, exec_lo, s3
	s_cbranch_vccnz .LBB56_399
; %bb.398:
	scratch_load_b32 v118, v7, off
	ds_load_b32 v119, v1
	s_wait_loadcnt_dscnt 0x0
	v_mul_f32_e32 v118, v118, v119
	s_cbranch_execz .LBB56_400
	s_branch .LBB56_401
.LBB56_399:
                                        ; implicit-def: $vgpr118
.LBB56_400:
	ds_load_b32 v118, v1
.LBB56_401:
	s_and_saveexec_b32 s10, s0
	s_cbranch_execz .LBB56_405
; %bb.402:
	v_add_nc_u32_e32 v119, -16, v0
	s_movk_i32 s11, 0x130
	s_mov_b32 s0, 0
.LBB56_403:                             ; =>This Inner Loop Header: Depth=1
	scratch_load_b32 v120, off, s9
	v_dual_mov_b32 v121, s11 :: v_dual_add_nc_u32 v119, -1, v119
	s_add_co_i32 s11, s11, 4
	s_wait_xcnt 0x0
	s_add_co_i32 s9, s9, 4
	ds_load_b32 v121, v121
	v_cmp_eq_u32_e32 vcc_lo, 0, v119
	s_or_b32 s0, vcc_lo, s0
	s_wait_loadcnt_dscnt 0x0
	v_fmac_f32_e32 v118, v120, v121
	s_and_not1_b32 exec_lo, exec_lo, s0
	s_cbranch_execnz .LBB56_403
; %bb.404:
	s_or_b32 exec_lo, exec_lo, s0
.LBB56_405:
	s_delay_alu instid0(SALU_CYCLE_1)
	s_or_b32 exec_lo, exec_lo, s10
	v_mov_b32_e32 v119, 0
	ds_load_b32 v119, v119 offset:60
	s_wait_dscnt 0x0
	v_mul_f32_e32 v118, v118, v119
	scratch_store_b32 off, v118, off offset:60
.LBB56_406:
	s_wait_xcnt 0x0
	s_or_b32 exec_lo, exec_lo, s2
	scratch_load_b32 v118, off, off offset:56
	v_cmp_lt_u32_e64 s0, 14, v0
	s_wait_loadcnt 0x0
	ds_store_b32 v1, v118
	s_wait_storecnt_dscnt 0x0
	s_barrier_signal -1
	s_barrier_wait -1
	s_wait_xcnt 0x0
	s_and_saveexec_b32 s2, s0
	s_cbranch_execz .LBB56_416
; %bb.407:
	s_and_not1_b32 vcc_lo, exec_lo, s3
	s_cbranch_vccnz .LBB56_409
; %bb.408:
	scratch_load_b32 v118, v7, off
	ds_load_b32 v119, v1
	s_wait_loadcnt_dscnt 0x0
	v_mul_f32_e32 v118, v118, v119
	s_cbranch_execz .LBB56_410
	s_branch .LBB56_411
.LBB56_409:
                                        ; implicit-def: $vgpr118
.LBB56_410:
	ds_load_b32 v118, v1
.LBB56_411:
	s_and_saveexec_b32 s9, s1
	s_cbranch_execz .LBB56_415
; %bb.412:
	v_add_nc_u32_e32 v119, -15, v0
	s_mov_b32 s1, 60
	s_movk_i32 s11, 0x12c
	s_mov_b32 s10, 0
.LBB56_413:                             ; =>This Inner Loop Header: Depth=1
	scratch_load_b32 v120, off, s1
	v_dual_mov_b32 v121, s11 :: v_dual_add_nc_u32 v119, -1, v119
	s_add_co_i32 s11, s11, 4
	s_wait_xcnt 0x0
	s_add_co_i32 s1, s1, 4
	ds_load_b32 v121, v121
	v_cmp_eq_u32_e32 vcc_lo, 0, v119
	s_or_b32 s10, vcc_lo, s10
	s_wait_loadcnt_dscnt 0x0
	v_fmac_f32_e32 v118, v120, v121
	s_and_not1_b32 exec_lo, exec_lo, s10
	s_cbranch_execnz .LBB56_413
; %bb.414:
	s_or_b32 exec_lo, exec_lo, s10
.LBB56_415:
	s_delay_alu instid0(SALU_CYCLE_1)
	s_or_b32 exec_lo, exec_lo, s9
	v_mov_b32_e32 v119, 0
	ds_load_b32 v119, v119 offset:56
	s_wait_dscnt 0x0
	v_mul_f32_e32 v118, v118, v119
	scratch_store_b32 off, v118, off offset:56
.LBB56_416:
	s_wait_xcnt 0x0
	s_or_b32 exec_lo, exec_lo, s2
	scratch_load_b32 v118, off, off offset:52
	v_cmp_lt_u32_e64 s1, 13, v0
	s_wait_loadcnt 0x0
	ds_store_b32 v1, v118
	s_wait_storecnt_dscnt 0x0
	s_barrier_signal -1
	s_barrier_wait -1
	s_wait_xcnt 0x0
	s_and_saveexec_b32 s2, s1
	s_cbranch_execz .LBB56_426
; %bb.417:
	s_and_not1_b32 vcc_lo, exec_lo, s3
	s_cbranch_vccnz .LBB56_419
; %bb.418:
	scratch_load_b32 v118, v7, off
	ds_load_b32 v119, v1
	s_wait_loadcnt_dscnt 0x0
	v_mul_f32_e32 v118, v118, v119
	s_cbranch_execz .LBB56_420
	s_branch .LBB56_421
.LBB56_419:
                                        ; implicit-def: $vgpr118
.LBB56_420:
	ds_load_b32 v118, v1
.LBB56_421:
	s_and_saveexec_b32 s9, s0
	s_cbranch_execz .LBB56_425
; %bb.422:
	v_add_nc_u32_e32 v119, -14, v0
	s_mov_b32 s0, 56
	s_movk_i32 s11, 0x128
	s_mov_b32 s10, 0
.LBB56_423:                             ; =>This Inner Loop Header: Depth=1
	scratch_load_b32 v120, off, s0
	v_dual_mov_b32 v121, s11 :: v_dual_add_nc_u32 v119, -1, v119
	s_add_co_i32 s11, s11, 4
	s_wait_xcnt 0x0
	s_add_co_i32 s0, s0, 4
	ds_load_b32 v121, v121
	v_cmp_eq_u32_e32 vcc_lo, 0, v119
	s_or_b32 s10, vcc_lo, s10
	s_wait_loadcnt_dscnt 0x0
	v_fmac_f32_e32 v118, v120, v121
	s_and_not1_b32 exec_lo, exec_lo, s10
	s_cbranch_execnz .LBB56_423
; %bb.424:
	s_or_b32 exec_lo, exec_lo, s10
.LBB56_425:
	s_delay_alu instid0(SALU_CYCLE_1)
	s_or_b32 exec_lo, exec_lo, s9
	v_mov_b32_e32 v119, 0
	ds_load_b32 v119, v119 offset:52
	s_wait_dscnt 0x0
	v_mul_f32_e32 v118, v118, v119
	scratch_store_b32 off, v118, off offset:52
.LBB56_426:
	;; [unrolled: 58-line block ×3, first 2 shown]
	s_wait_xcnt 0x0
	s_or_b32 exec_lo, exec_lo, s2
	scratch_load_b32 v118, off, off offset:44
	v_cmp_lt_u32_e64 s1, 11, v0
	s_wait_loadcnt 0x0
	ds_store_b32 v1, v118
	s_wait_storecnt_dscnt 0x0
	s_barrier_signal -1
	s_barrier_wait -1
	s_wait_xcnt 0x0
	s_and_saveexec_b32 s2, s1
	s_cbranch_execz .LBB56_446
; %bb.437:
	s_and_not1_b32 vcc_lo, exec_lo, s3
	s_cbranch_vccnz .LBB56_439
; %bb.438:
	scratch_load_b32 v118, v7, off
	ds_load_b32 v119, v1
	s_wait_loadcnt_dscnt 0x0
	v_mul_f32_e32 v118, v118, v119
	s_cbranch_execz .LBB56_440
	s_branch .LBB56_441
.LBB56_439:
                                        ; implicit-def: $vgpr118
.LBB56_440:
	ds_load_b32 v118, v1
.LBB56_441:
	s_and_saveexec_b32 s9, s0
	s_cbranch_execz .LBB56_445
; %bb.442:
	v_add_nc_u32_e32 v119, -12, v0
	s_movk_i32 s10, 0x120
	s_mov_b32 s0, 0
.LBB56_443:                             ; =>This Inner Loop Header: Depth=1
	scratch_load_b32 v120, off, s8
	v_dual_mov_b32 v121, s10 :: v_dual_add_nc_u32 v119, -1, v119
	s_add_co_i32 s10, s10, 4
	s_wait_xcnt 0x0
	s_add_co_i32 s8, s8, 4
	ds_load_b32 v121, v121
	v_cmp_eq_u32_e32 vcc_lo, 0, v119
	s_or_b32 s0, vcc_lo, s0
	s_wait_loadcnt_dscnt 0x0
	v_fmac_f32_e32 v118, v120, v121
	s_and_not1_b32 exec_lo, exec_lo, s0
	s_cbranch_execnz .LBB56_443
; %bb.444:
	s_or_b32 exec_lo, exec_lo, s0
.LBB56_445:
	s_delay_alu instid0(SALU_CYCLE_1)
	s_or_b32 exec_lo, exec_lo, s9
	v_mov_b32_e32 v119, 0
	ds_load_b32 v119, v119 offset:44
	s_wait_dscnt 0x0
	v_mul_f32_e32 v118, v118, v119
	scratch_store_b32 off, v118, off offset:44
.LBB56_446:
	s_wait_xcnt 0x0
	s_or_b32 exec_lo, exec_lo, s2
	scratch_load_b32 v118, off, off offset:40
	v_cmp_lt_u32_e64 s0, 10, v0
	s_wait_loadcnt 0x0
	ds_store_b32 v1, v118
	s_wait_storecnt_dscnt 0x0
	s_barrier_signal -1
	s_barrier_wait -1
	s_wait_xcnt 0x0
	s_and_saveexec_b32 s2, s0
	s_cbranch_execz .LBB56_456
; %bb.447:
	s_and_not1_b32 vcc_lo, exec_lo, s3
	s_cbranch_vccnz .LBB56_449
; %bb.448:
	scratch_load_b32 v118, v7, off
	ds_load_b32 v119, v1
	s_wait_loadcnt_dscnt 0x0
	v_mul_f32_e32 v118, v118, v119
	s_cbranch_execz .LBB56_450
	s_branch .LBB56_451
.LBB56_449:
                                        ; implicit-def: $vgpr118
.LBB56_450:
	ds_load_b32 v118, v1
.LBB56_451:
	s_and_saveexec_b32 s8, s1
	s_cbranch_execz .LBB56_455
; %bb.452:
	v_add_nc_u32_e32 v119, -11, v0
	s_mov_b32 s1, 44
	s_movk_i32 s10, 0x11c
	s_mov_b32 s9, 0
.LBB56_453:                             ; =>This Inner Loop Header: Depth=1
	scratch_load_b32 v120, off, s1
	v_dual_mov_b32 v121, s10 :: v_dual_add_nc_u32 v119, -1, v119
	s_add_co_i32 s10, s10, 4
	s_wait_xcnt 0x0
	s_add_co_i32 s1, s1, 4
	ds_load_b32 v121, v121
	v_cmp_eq_u32_e32 vcc_lo, 0, v119
	s_or_b32 s9, vcc_lo, s9
	s_wait_loadcnt_dscnt 0x0
	v_fmac_f32_e32 v118, v120, v121
	s_and_not1_b32 exec_lo, exec_lo, s9
	s_cbranch_execnz .LBB56_453
; %bb.454:
	s_or_b32 exec_lo, exec_lo, s9
.LBB56_455:
	s_delay_alu instid0(SALU_CYCLE_1)
	s_or_b32 exec_lo, exec_lo, s8
	v_mov_b32_e32 v119, 0
	ds_load_b32 v119, v119 offset:40
	s_wait_dscnt 0x0
	v_mul_f32_e32 v118, v118, v119
	scratch_store_b32 off, v118, off offset:40
.LBB56_456:
	s_wait_xcnt 0x0
	s_or_b32 exec_lo, exec_lo, s2
	scratch_load_b32 v118, off, off offset:36
	v_cmp_lt_u32_e64 s1, 9, v0
	s_wait_loadcnt 0x0
	ds_store_b32 v1, v118
	s_wait_storecnt_dscnt 0x0
	s_barrier_signal -1
	s_barrier_wait -1
	s_wait_xcnt 0x0
	s_and_saveexec_b32 s2, s1
	s_cbranch_execz .LBB56_466
; %bb.457:
	s_and_not1_b32 vcc_lo, exec_lo, s3
	s_cbranch_vccnz .LBB56_459
; %bb.458:
	scratch_load_b32 v118, v7, off
	ds_load_b32 v119, v1
	s_wait_loadcnt_dscnt 0x0
	v_mul_f32_e32 v118, v118, v119
	s_cbranch_execz .LBB56_460
	s_branch .LBB56_461
.LBB56_459:
                                        ; implicit-def: $vgpr118
.LBB56_460:
	ds_load_b32 v118, v1
.LBB56_461:
	s_and_saveexec_b32 s8, s0
	s_cbranch_execz .LBB56_465
; %bb.462:
	v_add_nc_u32_e32 v119, -10, v0
	s_mov_b32 s0, 40
	s_movk_i32 s10, 0x118
	s_mov_b32 s9, 0
.LBB56_463:                             ; =>This Inner Loop Header: Depth=1
	scratch_load_b32 v120, off, s0
	v_dual_mov_b32 v121, s10 :: v_dual_add_nc_u32 v119, -1, v119
	s_add_co_i32 s10, s10, 4
	s_wait_xcnt 0x0
	s_add_co_i32 s0, s0, 4
	ds_load_b32 v121, v121
	v_cmp_eq_u32_e32 vcc_lo, 0, v119
	s_or_b32 s9, vcc_lo, s9
	s_wait_loadcnt_dscnt 0x0
	v_fmac_f32_e32 v118, v120, v121
	s_and_not1_b32 exec_lo, exec_lo, s9
	s_cbranch_execnz .LBB56_463
; %bb.464:
	s_or_b32 exec_lo, exec_lo, s9
.LBB56_465:
	s_delay_alu instid0(SALU_CYCLE_1)
	s_or_b32 exec_lo, exec_lo, s8
	v_mov_b32_e32 v119, 0
	ds_load_b32 v119, v119 offset:36
	s_wait_dscnt 0x0
	v_mul_f32_e32 v118, v118, v119
	scratch_store_b32 off, v118, off offset:36
.LBB56_466:
	;; [unrolled: 58-line block ×3, first 2 shown]
	s_wait_xcnt 0x0
	s_or_b32 exec_lo, exec_lo, s2
	scratch_load_b32 v118, off, off offset:28
	v_cmp_lt_u32_e64 s1, 7, v0
	s_wait_loadcnt 0x0
	ds_store_b32 v1, v118
	s_wait_storecnt_dscnt 0x0
	s_barrier_signal -1
	s_barrier_wait -1
	s_wait_xcnt 0x0
	s_and_saveexec_b32 s2, s1
	s_cbranch_execz .LBB56_486
; %bb.477:
	s_and_not1_b32 vcc_lo, exec_lo, s3
	s_cbranch_vccnz .LBB56_479
; %bb.478:
	scratch_load_b32 v118, v7, off
	ds_load_b32 v119, v1
	s_wait_loadcnt_dscnt 0x0
	v_mul_f32_e32 v118, v118, v119
	s_cbranch_execz .LBB56_480
	s_branch .LBB56_481
.LBB56_479:
                                        ; implicit-def: $vgpr118
.LBB56_480:
	ds_load_b32 v118, v1
.LBB56_481:
	s_and_saveexec_b32 s8, s0
	s_cbranch_execz .LBB56_485
; %bb.482:
	v_add_nc_u32_e32 v119, -8, v0
	s_movk_i32 s9, 0x110
	s_mov_b32 s0, 0
.LBB56_483:                             ; =>This Inner Loop Header: Depth=1
	scratch_load_b32 v120, off, s5
	v_dual_mov_b32 v121, s9 :: v_dual_add_nc_u32 v119, -1, v119
	s_add_co_i32 s9, s9, 4
	s_wait_xcnt 0x0
	s_add_co_i32 s5, s5, 4
	ds_load_b32 v121, v121
	v_cmp_eq_u32_e32 vcc_lo, 0, v119
	s_or_b32 s0, vcc_lo, s0
	s_wait_loadcnt_dscnt 0x0
	v_fmac_f32_e32 v118, v120, v121
	s_and_not1_b32 exec_lo, exec_lo, s0
	s_cbranch_execnz .LBB56_483
; %bb.484:
	s_or_b32 exec_lo, exec_lo, s0
.LBB56_485:
	s_delay_alu instid0(SALU_CYCLE_1)
	s_or_b32 exec_lo, exec_lo, s8
	v_mov_b32_e32 v119, 0
	ds_load_b32 v119, v119 offset:28
	s_wait_dscnt 0x0
	v_mul_f32_e32 v118, v118, v119
	scratch_store_b32 off, v118, off offset:28
.LBB56_486:
	s_wait_xcnt 0x0
	s_or_b32 exec_lo, exec_lo, s2
	scratch_load_b32 v118, off, off offset:24
	v_cmp_lt_u32_e64 s0, 6, v0
	s_wait_loadcnt 0x0
	ds_store_b32 v1, v118
	s_wait_storecnt_dscnt 0x0
	s_barrier_signal -1
	s_barrier_wait -1
	s_wait_xcnt 0x0
	s_and_saveexec_b32 s2, s0
	s_cbranch_execz .LBB56_496
; %bb.487:
	s_and_not1_b32 vcc_lo, exec_lo, s3
	s_cbranch_vccnz .LBB56_489
; %bb.488:
	scratch_load_b32 v118, v7, off
	ds_load_b32 v119, v1
	s_wait_loadcnt_dscnt 0x0
	v_mul_f32_e32 v118, v118, v119
	s_cbranch_execz .LBB56_490
	s_branch .LBB56_491
.LBB56_489:
                                        ; implicit-def: $vgpr118
.LBB56_490:
	ds_load_b32 v118, v1
.LBB56_491:
	s_and_saveexec_b32 s5, s1
	s_cbranch_execz .LBB56_495
; %bb.492:
	v_add_nc_u32_e32 v119, -7, v0
	s_mov_b32 s1, 28
	s_movk_i32 s9, 0x10c
	s_mov_b32 s8, 0
.LBB56_493:                             ; =>This Inner Loop Header: Depth=1
	scratch_load_b32 v120, off, s1
	v_dual_mov_b32 v121, s9 :: v_dual_add_nc_u32 v119, -1, v119
	s_add_co_i32 s9, s9, 4
	s_wait_xcnt 0x0
	s_add_co_i32 s1, s1, 4
	ds_load_b32 v121, v121
	v_cmp_eq_u32_e32 vcc_lo, 0, v119
	s_or_b32 s8, vcc_lo, s8
	s_wait_loadcnt_dscnt 0x0
	v_fmac_f32_e32 v118, v120, v121
	s_and_not1_b32 exec_lo, exec_lo, s8
	s_cbranch_execnz .LBB56_493
; %bb.494:
	s_or_b32 exec_lo, exec_lo, s8
.LBB56_495:
	s_delay_alu instid0(SALU_CYCLE_1)
	s_or_b32 exec_lo, exec_lo, s5
	v_mov_b32_e32 v119, 0
	ds_load_b32 v119, v119 offset:24
	s_wait_dscnt 0x0
	v_mul_f32_e32 v118, v118, v119
	scratch_store_b32 off, v118, off offset:24
.LBB56_496:
	s_wait_xcnt 0x0
	s_or_b32 exec_lo, exec_lo, s2
	scratch_load_b32 v118, off, off offset:20
	v_cmp_lt_u32_e64 s1, 5, v0
	s_wait_loadcnt 0x0
	ds_store_b32 v1, v118
	s_wait_storecnt_dscnt 0x0
	s_barrier_signal -1
	s_barrier_wait -1
	s_wait_xcnt 0x0
	s_and_saveexec_b32 s2, s1
	s_cbranch_execz .LBB56_506
; %bb.497:
	s_and_not1_b32 vcc_lo, exec_lo, s3
	s_cbranch_vccnz .LBB56_499
; %bb.498:
	scratch_load_b32 v118, v7, off
	ds_load_b32 v119, v1
	s_wait_loadcnt_dscnt 0x0
	v_mul_f32_e32 v118, v118, v119
	s_cbranch_execz .LBB56_500
	s_branch .LBB56_501
.LBB56_499:
                                        ; implicit-def: $vgpr118
.LBB56_500:
	ds_load_b32 v118, v1
.LBB56_501:
	s_and_saveexec_b32 s5, s0
	s_cbranch_execz .LBB56_505
; %bb.502:
	v_add_nc_u32_e32 v119, -6, v0
	s_mov_b32 s0, 24
	s_movk_i32 s9, 0x108
	s_mov_b32 s8, 0
.LBB56_503:                             ; =>This Inner Loop Header: Depth=1
	scratch_load_b32 v120, off, s0
	v_dual_mov_b32 v121, s9 :: v_dual_add_nc_u32 v119, -1, v119
	s_add_co_i32 s9, s9, 4
	s_wait_xcnt 0x0
	s_add_co_i32 s0, s0, 4
	ds_load_b32 v121, v121
	v_cmp_eq_u32_e32 vcc_lo, 0, v119
	s_or_b32 s8, vcc_lo, s8
	s_wait_loadcnt_dscnt 0x0
	v_fmac_f32_e32 v118, v120, v121
	s_and_not1_b32 exec_lo, exec_lo, s8
	s_cbranch_execnz .LBB56_503
; %bb.504:
	s_or_b32 exec_lo, exec_lo, s8
.LBB56_505:
	s_delay_alu instid0(SALU_CYCLE_1)
	s_or_b32 exec_lo, exec_lo, s5
	v_mov_b32_e32 v119, 0
	ds_load_b32 v119, v119 offset:20
	s_wait_dscnt 0x0
	v_mul_f32_e32 v118, v118, v119
	scratch_store_b32 off, v118, off offset:20
.LBB56_506:
	;; [unrolled: 58-line block ×3, first 2 shown]
	s_wait_xcnt 0x0
	s_or_b32 exec_lo, exec_lo, s2
	scratch_load_b32 v118, off, off offset:12
	v_cmp_lt_u32_e64 s2, 3, v0
	s_wait_loadcnt 0x0
	ds_store_b32 v1, v118
	s_wait_storecnt_dscnt 0x0
	s_barrier_signal -1
	s_barrier_wait -1
	s_wait_xcnt 0x0
	s_and_saveexec_b32 s1, s2
	s_cbranch_execz .LBB56_526
; %bb.517:
	s_and_not1_b32 vcc_lo, exec_lo, s3
	s_cbranch_vccnz .LBB56_519
; %bb.518:
	scratch_load_b32 v118, v7, off
	ds_load_b32 v119, v1
	s_wait_loadcnt_dscnt 0x0
	v_mul_f32_e32 v118, v118, v119
	s_cbranch_execz .LBB56_520
	s_branch .LBB56_521
.LBB56_519:
                                        ; implicit-def: $vgpr118
.LBB56_520:
	ds_load_b32 v118, v1
.LBB56_521:
	s_and_saveexec_b32 s5, s0
	s_cbranch_execz .LBB56_525
; %bb.522:
	v_add_nc_u32_e32 v119, -4, v0
	s_movk_i32 s8, 0x100
	s_mov_b32 s0, 0
.LBB56_523:                             ; =>This Inner Loop Header: Depth=1
	scratch_load_b32 v120, off, s4
	v_dual_mov_b32 v121, s8 :: v_dual_add_nc_u32 v119, -1, v119
	s_add_co_i32 s8, s8, 4
	s_wait_xcnt 0x0
	s_add_co_i32 s4, s4, 4
	ds_load_b32 v121, v121
	v_cmp_eq_u32_e32 vcc_lo, 0, v119
	s_or_b32 s0, vcc_lo, s0
	s_wait_loadcnt_dscnt 0x0
	v_fmac_f32_e32 v118, v120, v121
	s_and_not1_b32 exec_lo, exec_lo, s0
	s_cbranch_execnz .LBB56_523
; %bb.524:
	s_or_b32 exec_lo, exec_lo, s0
.LBB56_525:
	s_delay_alu instid0(SALU_CYCLE_1)
	s_or_b32 exec_lo, exec_lo, s5
	v_mov_b32_e32 v119, 0
	ds_load_b32 v119, v119 offset:12
	s_wait_dscnt 0x0
	v_mul_f32_e32 v118, v118, v119
	scratch_store_b32 off, v118, off offset:12
.LBB56_526:
	s_wait_xcnt 0x0
	s_or_b32 exec_lo, exec_lo, s1
	scratch_load_b32 v118, off, off offset:8
	v_cmp_lt_u32_e64 s1, 2, v0
	s_wait_loadcnt 0x0
	ds_store_b32 v1, v118
	s_wait_storecnt_dscnt 0x0
	s_barrier_signal -1
	s_barrier_wait -1
	s_wait_xcnt 0x0
	s_and_saveexec_b32 s0, s1
	s_cbranch_execz .LBB56_536
; %bb.527:
	s_and_not1_b32 vcc_lo, exec_lo, s3
	s_cbranch_vccnz .LBB56_529
; %bb.528:
	scratch_load_b32 v118, v7, off
	ds_load_b32 v119, v1
	s_wait_loadcnt_dscnt 0x0
	v_mul_f32_e32 v118, v118, v119
	s_cbranch_execz .LBB56_530
	s_branch .LBB56_531
.LBB56_529:
                                        ; implicit-def: $vgpr118
.LBB56_530:
	ds_load_b32 v118, v1
.LBB56_531:
	s_and_saveexec_b32 s4, s2
	s_cbranch_execz .LBB56_535
; %bb.532:
	v_add_nc_u32_e32 v119, -3, v0
	s_or_b32 s2, 0, 12
	s_movk_i32 s8, 0xfc
	s_mov_b32 s5, 0
.LBB56_533:                             ; =>This Inner Loop Header: Depth=1
	scratch_load_b32 v120, off, s2
	v_dual_mov_b32 v121, s8 :: v_dual_add_nc_u32 v119, -1, v119
	s_add_co_i32 s8, s8, 4
	s_wait_xcnt 0x0
	s_add_co_i32 s2, s2, 4
	ds_load_b32 v121, v121
	v_cmp_eq_u32_e32 vcc_lo, 0, v119
	s_or_b32 s5, vcc_lo, s5
	s_wait_loadcnt_dscnt 0x0
	v_fmac_f32_e32 v118, v120, v121
	s_and_not1_b32 exec_lo, exec_lo, s5
	s_cbranch_execnz .LBB56_533
; %bb.534:
	s_or_b32 exec_lo, exec_lo, s5
.LBB56_535:
	s_delay_alu instid0(SALU_CYCLE_1)
	s_or_b32 exec_lo, exec_lo, s4
	v_mov_b32_e32 v119, 0
	ds_load_b32 v119, v119 offset:8
	s_wait_dscnt 0x0
	v_mul_f32_e32 v118, v118, v119
	scratch_store_b32 off, v118, off offset:8
.LBB56_536:
	s_wait_xcnt 0x0
	s_or_b32 exec_lo, exec_lo, s0
	scratch_load_b32 v118, off, off offset:4
	v_cmp_lt_u32_e64 s0, 1, v0
	s_wait_loadcnt 0x0
	ds_store_b32 v1, v118
	s_wait_storecnt_dscnt 0x0
	s_barrier_signal -1
	s_barrier_wait -1
	s_wait_xcnt 0x0
	s_and_saveexec_b32 s2, s0
	s_cbranch_execz .LBB56_546
; %bb.537:
	s_and_not1_b32 vcc_lo, exec_lo, s3
	s_cbranch_vccnz .LBB56_539
; %bb.538:
	scratch_load_b32 v118, v7, off
	ds_load_b32 v119, v1
	s_wait_loadcnt_dscnt 0x0
	v_mul_f32_e32 v118, v118, v119
	s_cbranch_execz .LBB56_540
	s_branch .LBB56_541
.LBB56_539:
                                        ; implicit-def: $vgpr118
.LBB56_540:
	ds_load_b32 v118, v1
.LBB56_541:
	s_and_saveexec_b32 s4, s1
	s_cbranch_execz .LBB56_545
; %bb.542:
	v_add_nc_u32_e32 v119, -2, v0
	s_or_b32 s1, 0, 8
	s_movk_i32 s8, 0xf8
	s_mov_b32 s5, 0
.LBB56_543:                             ; =>This Inner Loop Header: Depth=1
	scratch_load_b32 v120, off, s1
	v_dual_mov_b32 v121, s8 :: v_dual_add_nc_u32 v119, -1, v119
	s_add_co_i32 s8, s8, 4
	s_wait_xcnt 0x0
	s_add_co_i32 s1, s1, 4
	ds_load_b32 v121, v121
	v_cmp_eq_u32_e32 vcc_lo, 0, v119
	s_or_b32 s5, vcc_lo, s5
	s_wait_loadcnt_dscnt 0x0
	v_fmac_f32_e32 v118, v120, v121
	s_and_not1_b32 exec_lo, exec_lo, s5
	s_cbranch_execnz .LBB56_543
; %bb.544:
	s_or_b32 exec_lo, exec_lo, s5
.LBB56_545:
	s_delay_alu instid0(SALU_CYCLE_1)
	s_or_b32 exec_lo, exec_lo, s4
	v_mov_b32_e32 v119, 0
	ds_load_b32 v119, v119 offset:4
	s_wait_dscnt 0x0
	v_mul_f32_e32 v118, v118, v119
	scratch_store_b32 off, v118, off offset:4
.LBB56_546:
	s_wait_xcnt 0x0
	s_or_b32 exec_lo, exec_lo, s2
	scratch_load_b32 v118, off, off
	s_mov_b32 s1, 0
	s_mov_b32 s2, exec_lo
	s_wait_loadcnt 0x0
	ds_store_b32 v1, v118
	s_wait_storecnt_dscnt 0x0
	s_barrier_signal -1
	s_barrier_wait -1
	s_wait_xcnt 0x0
	v_cmpx_ne_u32_e32 0, v0
	s_cbranch_execz .LBB56_556
; %bb.547:
	s_and_not1_b32 vcc_lo, exec_lo, s3
	s_cbranch_vccnz .LBB56_549
; %bb.548:
	scratch_load_b32 v118, v7, off
	ds_load_b32 v119, v1
	s_wait_loadcnt_dscnt 0x0
	v_mul_f32_e32 v118, v118, v119
	s_cbranch_execz .LBB56_550
	s_branch .LBB56_551
.LBB56_549:
                                        ; implicit-def: $vgpr118
.LBB56_550:
	ds_load_b32 v118, v1
.LBB56_551:
	s_and_saveexec_b32 s4, s0
	s_cbranch_execz .LBB56_555
; %bb.552:
	v_add_nc_u32_e32 v119, -1, v0
	s_or_b32 s0, 0, 4
	s_movk_i32 s8, 0xf4
	s_mov_b32 s5, 0
.LBB56_553:                             ; =>This Inner Loop Header: Depth=1
	scratch_load_b32 v120, off, s0
	v_dual_mov_b32 v121, s8 :: v_dual_add_nc_u32 v119, -1, v119
	s_add_co_i32 s8, s8, 4
	s_wait_xcnt 0x0
	s_add_co_i32 s0, s0, 4
	ds_load_b32 v121, v121
	v_cmp_eq_u32_e32 vcc_lo, 0, v119
	s_or_b32 s5, vcc_lo, s5
	s_wait_loadcnt_dscnt 0x0
	v_fmac_f32_e32 v118, v120, v121
	s_and_not1_b32 exec_lo, exec_lo, s5
	s_cbranch_execnz .LBB56_553
; %bb.554:
	s_or_b32 exec_lo, exec_lo, s5
.LBB56_555:
	s_delay_alu instid0(SALU_CYCLE_1)
	s_or_b32 exec_lo, exec_lo, s4
	v_mov_b32_e32 v119, 0
	ds_load_b32 v119, v119
	s_wait_dscnt 0x0
	v_mul_f32_e32 v118, v118, v119
	scratch_store_b32 off, v118, off
.LBB56_556:
	s_wait_xcnt 0x0
	s_or_b32 exec_lo, exec_lo, s2
.LBB56_557:
	v_lshl_add_u64 v[144:145], v[8:9], 2, s[6:7]
	v_lshl_add_u64 v[142:143], v[10:11], 2, s[6:7]
	;; [unrolled: 1-line block ×55, first 2 shown]
	s_and_b32 vcc_lo, exec_lo, s1
	s_cbranch_vccz .LBB56_1109
; %bb.558:
	scratch_load_b32 v90, off, off offset:4
	v_cmp_eq_u32_e64 s0, 0, v0
	s_wait_loadcnt 0x0
	ds_store_b32 v1, v90
	s_wait_storecnt_dscnt 0x0
	s_barrier_signal -1
	s_barrier_wait -1
	s_wait_xcnt 0x0
	s_and_saveexec_b32 s1, s0
	s_cbranch_execz .LBB56_564
; %bb.559:
	s_and_b32 vcc_lo, exec_lo, s3
	s_cbranch_vccz .LBB56_561
; %bb.560:
	scratch_load_b32 v90, v7, off
	ds_load_b32 v91, v1
	s_wait_loadcnt_dscnt 0x0
	v_mul_f32_e32 v90, v90, v91
	s_cbranch_execz .LBB56_562
	s_branch .LBB56_563
.LBB56_561:
                                        ; implicit-def: $vgpr90
.LBB56_562:
	ds_load_b32 v90, v1
.LBB56_563:
	v_mov_b32_e32 v91, 0
	ds_load_b32 v91, v91 offset:4
	s_wait_dscnt 0x0
	v_mul_f32_e32 v90, v90, v91
	scratch_store_b32 off, v90, off offset:4
.LBB56_564:
	s_wait_xcnt 0x0
	s_or_b32 exec_lo, exec_lo, s1
	scratch_load_b32 v91, off, off offset:8
	v_cndmask_b32_e64 v90, 0, 1, s3
	s_mov_b32 s1, exec_lo
	s_wait_loadcnt 0x0
	ds_store_b32 v1, v91
	s_wait_storecnt_dscnt 0x0
	s_barrier_signal -1
	s_barrier_wait -1
	s_wait_xcnt 0x0
	v_cmpx_gt_u32_e32 2, v0
	s_cbranch_execz .LBB56_570
; %bb.565:
	s_and_not1_b32 vcc_lo, exec_lo, s3
	s_cbranch_vccnz .LBB56_567
; %bb.566:
	scratch_load_b32 v91, v7, off
	ds_load_b32 v92, v1
	s_wait_loadcnt_dscnt 0x0
	v_mul_f32_e32 v91, v91, v92
	s_cbranch_execz .LBB56_568
	s_branch .LBB56_569
.LBB56_567:
                                        ; implicit-def: $vgpr91
.LBB56_568:
	ds_load_b32 v91, v1
.LBB56_569:
	scratch_load_b32 v94, off, off offset:4
	v_mov_b32_e32 v92, 0
	ds_load_2addr_b32 v[92:93], v92 offset0:2 offset1:61
	s_wait_loadcnt_dscnt 0x0
	v_fma_f32 v93, v94, v93, v91
	s_delay_alu instid0(VALU_DEP_1) | instskip(NEXT) | instid1(VALU_DEP_1)
	v_cndmask_b32_e64 v91, v91, v93, s0
	v_mul_f32_e32 v91, v91, v92
	scratch_store_b32 off, v91, off offset:8
.LBB56_570:
	s_wait_xcnt 0x0
	s_or_b32 exec_lo, exec_lo, s1
	scratch_load_b32 v91, off, off offset:12
	s_mov_b32 s1, exec_lo
	s_wait_loadcnt 0x0
	ds_store_b32 v1, v91
	s_wait_storecnt_dscnt 0x0
	s_barrier_signal -1
	s_barrier_wait -1
	s_wait_xcnt 0x0
	v_cmpx_gt_u32_e32 3, v0
	s_cbranch_execz .LBB56_578
; %bb.571:
	v_cmp_ne_u32_e32 vcc_lo, 1, v90
	s_cbranch_vccnz .LBB56_573
; %bb.572:
	scratch_load_b32 v91, v7, off
	ds_load_b32 v92, v1
	s_wait_loadcnt_dscnt 0x0
	v_mul_f32_e32 v91, v91, v92
	s_cbranch_execz .LBB56_574
	s_branch .LBB56_575
.LBB56_573:
                                        ; implicit-def: $vgpr91
.LBB56_574:
	ds_load_b32 v91, v1
.LBB56_575:
	s_mov_b32 s2, exec_lo
	v_cmpx_ne_u32_e32 2, v0
	s_cbranch_execz .LBB56_577
; %bb.576:
	scratch_load_b32 v92, v7, off offset:4
	scratch_load_b32 v93, off, off offset:8
	ds_load_b32 v94, v1 offset:4
	v_mov_b32_e32 v95, 0
	ds_load_b32 v95, v95 offset:248
	s_wait_loadcnt_dscnt 0x101
	v_fmac_f32_e32 v91, v92, v94
	s_wait_loadcnt_dscnt 0x0
	s_delay_alu instid0(VALU_DEP_1) | instskip(NEXT) | instid1(VALU_DEP_1)
	v_fma_f32 v92, v93, v95, v91
	v_cndmask_b32_e64 v91, v91, v92, s0
.LBB56_577:
	s_or_b32 exec_lo, exec_lo, s2
	v_mov_b32_e32 v92, 0
	ds_load_b32 v92, v92 offset:12
	s_wait_dscnt 0x0
	v_mul_f32_e32 v91, v91, v92
	scratch_store_b32 off, v91, off offset:12
.LBB56_578:
	s_wait_xcnt 0x0
	s_or_b32 exec_lo, exec_lo, s1
	scratch_load_b32 v91, off, off offset:16
	s_mov_b32 s0, exec_lo
	s_wait_loadcnt 0x0
	ds_store_b32 v1, v91
	s_wait_storecnt_dscnt 0x0
	s_barrier_signal -1
	s_barrier_wait -1
	s_wait_xcnt 0x0
	v_cmpx_gt_u32_e32 4, v0
	s_cbranch_execz .LBB56_588
; %bb.579:
	v_cmp_ne_u32_e32 vcc_lo, 1, v90
	s_cbranch_vccnz .LBB56_581
; %bb.580:
	scratch_load_b32 v91, v7, off
	ds_load_b32 v92, v1
	s_wait_loadcnt_dscnt 0x0
	v_mul_f32_e32 v91, v91, v92
	s_cbranch_execz .LBB56_582
	s_branch .LBB56_583
.LBB56_581:
                                        ; implicit-def: $vgpr91
.LBB56_582:
	ds_load_b32 v91, v1
.LBB56_583:
	s_mov_b32 s1, exec_lo
	v_cmpx_ne_u32_e32 3, v0
	s_cbranch_execz .LBB56_587
; %bb.584:
	v_add_nc_u32_e32 v92, 0xf4, v6
	v_add3_u32 v93, 0, v6, 4
	v_mov_b32_e32 v94, v0
	s_mov_b32 s2, 0
.LBB56_585:                             ; =>This Inner Loop Header: Depth=1
	scratch_load_b32 v95, v93, off
	ds_load_b32 v96, v92
	v_dual_add_nc_u32 v94, 1, v94 :: v_dual_add_nc_u32 v92, 4, v92
	s_wait_xcnt 0x0
	v_add_nc_u32_e32 v93, 4, v93
	s_delay_alu instid0(VALU_DEP_2)
	v_cmp_lt_u32_e32 vcc_lo, 2, v94
	s_or_b32 s2, vcc_lo, s2
	s_wait_loadcnt_dscnt 0x0
	v_fmac_f32_e32 v91, v95, v96
	s_and_not1_b32 exec_lo, exec_lo, s2
	s_cbranch_execnz .LBB56_585
; %bb.586:
	s_or_b32 exec_lo, exec_lo, s2
.LBB56_587:
	s_delay_alu instid0(SALU_CYCLE_1)
	s_or_b32 exec_lo, exec_lo, s1
	v_mov_b32_e32 v92, 0
	ds_load_b32 v92, v92 offset:16
	s_wait_dscnt 0x0
	v_mul_f32_e32 v91, v91, v92
	scratch_store_b32 off, v91, off offset:16
.LBB56_588:
	s_wait_xcnt 0x0
	s_or_b32 exec_lo, exec_lo, s0
	scratch_load_b32 v91, off, off offset:20
	s_mov_b32 s0, exec_lo
	s_wait_loadcnt 0x0
	ds_store_b32 v1, v91
	s_wait_storecnt_dscnt 0x0
	s_barrier_signal -1
	s_barrier_wait -1
	s_wait_xcnt 0x0
	v_cmpx_gt_u32_e32 5, v0
	s_cbranch_execz .LBB56_598
; %bb.589:
	v_cmp_ne_u32_e32 vcc_lo, 1, v90
	s_cbranch_vccnz .LBB56_591
; %bb.590:
	scratch_load_b32 v91, v7, off
	ds_load_b32 v92, v1
	s_wait_loadcnt_dscnt 0x0
	v_mul_f32_e32 v91, v91, v92
	s_cbranch_execz .LBB56_592
	s_branch .LBB56_593
.LBB56_591:
                                        ; implicit-def: $vgpr91
.LBB56_592:
	ds_load_b32 v91, v1
.LBB56_593:
	s_mov_b32 s1, exec_lo
	v_cmpx_ne_u32_e32 4, v0
	s_cbranch_execz .LBB56_597
; %bb.594:
	v_add_nc_u32_e32 v92, 0xf4, v6
	v_add3_u32 v93, 0, v6, 4
	v_mov_b32_e32 v94, v0
	s_mov_b32 s2, 0
.LBB56_595:                             ; =>This Inner Loop Header: Depth=1
	scratch_load_b32 v95, v93, off
	ds_load_b32 v96, v92
	v_dual_add_nc_u32 v94, 1, v94 :: v_dual_add_nc_u32 v92, 4, v92
	s_wait_xcnt 0x0
	v_add_nc_u32_e32 v93, 4, v93
	s_delay_alu instid0(VALU_DEP_2)
	v_cmp_lt_u32_e32 vcc_lo, 3, v94
	s_or_b32 s2, vcc_lo, s2
	s_wait_loadcnt_dscnt 0x0
	v_fmac_f32_e32 v91, v95, v96
	s_and_not1_b32 exec_lo, exec_lo, s2
	s_cbranch_execnz .LBB56_595
; %bb.596:
	s_or_b32 exec_lo, exec_lo, s2
.LBB56_597:
	s_delay_alu instid0(SALU_CYCLE_1)
	s_or_b32 exec_lo, exec_lo, s1
	v_mov_b32_e32 v92, 0
	ds_load_b32 v92, v92 offset:20
	s_wait_dscnt 0x0
	v_mul_f32_e32 v91, v91, v92
	scratch_store_b32 off, v91, off offset:20
.LBB56_598:
	;; [unrolled: 59-line block ×42, first 2 shown]
	s_wait_xcnt 0x0
	s_or_b32 exec_lo, exec_lo, s0
	scratch_load_b32 v91, off, off offset:184
	s_mov_b32 s0, exec_lo
	s_wait_loadcnt 0x0
	ds_store_b32 v1, v91
	s_wait_storecnt_dscnt 0x0
	s_barrier_signal -1
	s_barrier_wait -1
	s_wait_xcnt 0x0
	v_cmpx_gt_u32_e32 46, v0
	s_cbranch_execz .LBB56_1008
; %bb.999:
	v_cmp_ne_u32_e32 vcc_lo, 1, v90
	s_cbranch_vccnz .LBB56_1001
; %bb.1000:
	scratch_load_b32 v91, v7, off
	ds_load_b32 v92, v1
	s_wait_loadcnt_dscnt 0x0
	v_mul_f32_e32 v91, v91, v92
	s_cbranch_execz .LBB56_1002
	s_branch .LBB56_1003
.LBB56_1001:
                                        ; implicit-def: $vgpr91
.LBB56_1002:
	ds_load_b32 v91, v1
.LBB56_1003:
	s_mov_b32 s1, exec_lo
	v_cmpx_ne_u32_e32 45, v0
	s_cbranch_execz .LBB56_1007
; %bb.1004:
	v_add_nc_u32_e32 v92, 0xf4, v6
	v_add3_u32 v93, 0, v6, 4
	v_mov_b32_e32 v94, v0
	s_mov_b32 s2, 0
.LBB56_1005:                            ; =>This Inner Loop Header: Depth=1
	scratch_load_b32 v95, v93, off
	ds_load_b32 v96, v92
	v_dual_add_nc_u32 v94, 1, v94 :: v_dual_add_nc_u32 v92, 4, v92
	s_wait_xcnt 0x0
	v_add_nc_u32_e32 v93, 4, v93
	s_delay_alu instid0(VALU_DEP_2)
	v_cmp_lt_u32_e32 vcc_lo, 44, v94
	s_or_b32 s2, vcc_lo, s2
	s_wait_loadcnt_dscnt 0x0
	v_fmac_f32_e32 v91, v95, v96
	s_and_not1_b32 exec_lo, exec_lo, s2
	s_cbranch_execnz .LBB56_1005
; %bb.1006:
	s_or_b32 exec_lo, exec_lo, s2
.LBB56_1007:
	s_delay_alu instid0(SALU_CYCLE_1)
	s_or_b32 exec_lo, exec_lo, s1
	v_mov_b32_e32 v92, 0
	ds_load_b32 v92, v92 offset:184
	s_wait_dscnt 0x0
	v_mul_f32_e32 v91, v91, v92
	scratch_store_b32 off, v91, off offset:184
.LBB56_1008:
	s_wait_xcnt 0x0
	s_or_b32 exec_lo, exec_lo, s0
	scratch_load_b32 v91, off, off offset:188
	s_mov_b32 s0, exec_lo
	s_wait_loadcnt 0x0
	ds_store_b32 v1, v91
	s_wait_storecnt_dscnt 0x0
	s_barrier_signal -1
	s_barrier_wait -1
	s_wait_xcnt 0x0
	v_cmpx_gt_u32_e32 47, v0
	s_cbranch_execz .LBB56_1018
; %bb.1009:
	v_cmp_ne_u32_e32 vcc_lo, 1, v90
	s_cbranch_vccnz .LBB56_1011
; %bb.1010:
	scratch_load_b32 v91, v7, off
	ds_load_b32 v92, v1
	s_wait_loadcnt_dscnt 0x0
	v_mul_f32_e32 v91, v91, v92
	s_cbranch_execz .LBB56_1012
	s_branch .LBB56_1013
.LBB56_1011:
                                        ; implicit-def: $vgpr91
.LBB56_1012:
	ds_load_b32 v91, v1
.LBB56_1013:
	s_mov_b32 s1, exec_lo
	v_cmpx_ne_u32_e32 46, v0
	s_cbranch_execz .LBB56_1017
; %bb.1014:
	v_add_nc_u32_e32 v92, 0xf4, v6
	v_add3_u32 v93, 0, v6, 4
	v_mov_b32_e32 v94, v0
	s_mov_b32 s2, 0
.LBB56_1015:                            ; =>This Inner Loop Header: Depth=1
	scratch_load_b32 v95, v93, off
	ds_load_b32 v96, v92
	v_dual_add_nc_u32 v94, 1, v94 :: v_dual_add_nc_u32 v92, 4, v92
	s_wait_xcnt 0x0
	v_add_nc_u32_e32 v93, 4, v93
	s_delay_alu instid0(VALU_DEP_2)
	v_cmp_lt_u32_e32 vcc_lo, 45, v94
	s_or_b32 s2, vcc_lo, s2
	s_wait_loadcnt_dscnt 0x0
	v_fmac_f32_e32 v91, v95, v96
	s_and_not1_b32 exec_lo, exec_lo, s2
	s_cbranch_execnz .LBB56_1015
; %bb.1016:
	s_or_b32 exec_lo, exec_lo, s2
.LBB56_1017:
	s_delay_alu instid0(SALU_CYCLE_1)
	s_or_b32 exec_lo, exec_lo, s1
	v_mov_b32_e32 v92, 0
	ds_load_b32 v92, v92 offset:188
	s_wait_dscnt 0x0
	v_mul_f32_e32 v91, v91, v92
	scratch_store_b32 off, v91, off offset:188
.LBB56_1018:
	s_wait_xcnt 0x0
	s_or_b32 exec_lo, exec_lo, s0
	scratch_load_b32 v91, off, off offset:192
	s_mov_b32 s0, exec_lo
	s_wait_loadcnt 0x0
	ds_store_b32 v1, v91
	s_wait_storecnt_dscnt 0x0
	s_barrier_signal -1
	s_barrier_wait -1
	s_wait_xcnt 0x0
	v_cmpx_gt_u32_e32 48, v0
	s_cbranch_execz .LBB56_1028
; %bb.1019:
	v_cmp_ne_u32_e32 vcc_lo, 1, v90
	s_cbranch_vccnz .LBB56_1021
; %bb.1020:
	scratch_load_b32 v91, v7, off
	ds_load_b32 v92, v1
	s_wait_loadcnt_dscnt 0x0
	v_mul_f32_e32 v91, v91, v92
	s_cbranch_execz .LBB56_1022
	s_branch .LBB56_1023
.LBB56_1021:
                                        ; implicit-def: $vgpr91
.LBB56_1022:
	ds_load_b32 v91, v1
.LBB56_1023:
	s_mov_b32 s1, exec_lo
	v_cmpx_ne_u32_e32 47, v0
	s_cbranch_execz .LBB56_1027
; %bb.1024:
	v_add_nc_u32_e32 v92, 0xf4, v6
	v_add3_u32 v93, 0, v6, 4
	v_mov_b32_e32 v94, v0
	s_mov_b32 s2, 0
.LBB56_1025:                            ; =>This Inner Loop Header: Depth=1
	scratch_load_b32 v95, v93, off
	ds_load_b32 v96, v92
	v_dual_add_nc_u32 v94, 1, v94 :: v_dual_add_nc_u32 v92, 4, v92
	s_wait_xcnt 0x0
	v_add_nc_u32_e32 v93, 4, v93
	s_delay_alu instid0(VALU_DEP_2)
	v_cmp_lt_u32_e32 vcc_lo, 46, v94
	s_or_b32 s2, vcc_lo, s2
	s_wait_loadcnt_dscnt 0x0
	v_fmac_f32_e32 v91, v95, v96
	s_and_not1_b32 exec_lo, exec_lo, s2
	s_cbranch_execnz .LBB56_1025
; %bb.1026:
	s_or_b32 exec_lo, exec_lo, s2
.LBB56_1027:
	s_delay_alu instid0(SALU_CYCLE_1)
	s_or_b32 exec_lo, exec_lo, s1
	v_mov_b32_e32 v92, 0
	ds_load_b32 v92, v92 offset:192
	s_wait_dscnt 0x0
	v_mul_f32_e32 v91, v91, v92
	scratch_store_b32 off, v91, off offset:192
.LBB56_1028:
	s_wait_xcnt 0x0
	s_or_b32 exec_lo, exec_lo, s0
	scratch_load_b32 v91, off, off offset:196
	s_mov_b32 s0, exec_lo
	s_wait_loadcnt 0x0
	ds_store_b32 v1, v91
	s_wait_storecnt_dscnt 0x0
	s_barrier_signal -1
	s_barrier_wait -1
	s_wait_xcnt 0x0
	v_cmpx_gt_u32_e32 49, v0
	s_cbranch_execz .LBB56_1038
; %bb.1029:
	v_cmp_ne_u32_e32 vcc_lo, 1, v90
	s_cbranch_vccnz .LBB56_1031
; %bb.1030:
	scratch_load_b32 v91, v7, off
	ds_load_b32 v92, v1
	s_wait_loadcnt_dscnt 0x0
	v_mul_f32_e32 v91, v91, v92
	s_cbranch_execz .LBB56_1032
	s_branch .LBB56_1033
.LBB56_1031:
                                        ; implicit-def: $vgpr91
.LBB56_1032:
	ds_load_b32 v91, v1
.LBB56_1033:
	s_mov_b32 s1, exec_lo
	v_cmpx_ne_u32_e32 48, v0
	s_cbranch_execz .LBB56_1037
; %bb.1034:
	v_add_nc_u32_e32 v92, 0xf4, v6
	v_add3_u32 v93, 0, v6, 4
	v_mov_b32_e32 v94, v0
	s_mov_b32 s2, 0
.LBB56_1035:                            ; =>This Inner Loop Header: Depth=1
	scratch_load_b32 v95, v93, off
	ds_load_b32 v96, v92
	v_dual_add_nc_u32 v94, 1, v94 :: v_dual_add_nc_u32 v92, 4, v92
	s_wait_xcnt 0x0
	v_add_nc_u32_e32 v93, 4, v93
	s_delay_alu instid0(VALU_DEP_2)
	v_cmp_lt_u32_e32 vcc_lo, 47, v94
	s_or_b32 s2, vcc_lo, s2
	s_wait_loadcnt_dscnt 0x0
	v_fmac_f32_e32 v91, v95, v96
	s_and_not1_b32 exec_lo, exec_lo, s2
	s_cbranch_execnz .LBB56_1035
; %bb.1036:
	s_or_b32 exec_lo, exec_lo, s2
.LBB56_1037:
	s_delay_alu instid0(SALU_CYCLE_1)
	s_or_b32 exec_lo, exec_lo, s1
	v_mov_b32_e32 v92, 0
	ds_load_b32 v92, v92 offset:196
	s_wait_dscnt 0x0
	v_mul_f32_e32 v91, v91, v92
	scratch_store_b32 off, v91, off offset:196
.LBB56_1038:
	s_wait_xcnt 0x0
	s_or_b32 exec_lo, exec_lo, s0
	scratch_load_b32 v91, off, off offset:200
	s_mov_b32 s0, exec_lo
	s_wait_loadcnt 0x0
	ds_store_b32 v1, v91
	s_wait_storecnt_dscnt 0x0
	s_barrier_signal -1
	s_barrier_wait -1
	s_wait_xcnt 0x0
	v_cmpx_gt_u32_e32 50, v0
	s_cbranch_execz .LBB56_1048
; %bb.1039:
	v_cmp_ne_u32_e32 vcc_lo, 1, v90
	s_cbranch_vccnz .LBB56_1041
; %bb.1040:
	scratch_load_b32 v91, v7, off
	ds_load_b32 v92, v1
	s_wait_loadcnt_dscnt 0x0
	v_mul_f32_e32 v91, v91, v92
	s_cbranch_execz .LBB56_1042
	s_branch .LBB56_1043
.LBB56_1041:
                                        ; implicit-def: $vgpr91
.LBB56_1042:
	ds_load_b32 v91, v1
.LBB56_1043:
	s_mov_b32 s1, exec_lo
	v_cmpx_ne_u32_e32 49, v0
	s_cbranch_execz .LBB56_1047
; %bb.1044:
	v_add_nc_u32_e32 v92, 0xf4, v6
	v_add3_u32 v93, 0, v6, 4
	v_mov_b32_e32 v94, v0
	s_mov_b32 s2, 0
.LBB56_1045:                            ; =>This Inner Loop Header: Depth=1
	scratch_load_b32 v95, v93, off
	ds_load_b32 v96, v92
	v_dual_add_nc_u32 v94, 1, v94 :: v_dual_add_nc_u32 v92, 4, v92
	s_wait_xcnt 0x0
	v_add_nc_u32_e32 v93, 4, v93
	s_delay_alu instid0(VALU_DEP_2)
	v_cmp_lt_u32_e32 vcc_lo, 48, v94
	s_or_b32 s2, vcc_lo, s2
	s_wait_loadcnt_dscnt 0x0
	v_fmac_f32_e32 v91, v95, v96
	s_and_not1_b32 exec_lo, exec_lo, s2
	s_cbranch_execnz .LBB56_1045
; %bb.1046:
	s_or_b32 exec_lo, exec_lo, s2
.LBB56_1047:
	s_delay_alu instid0(SALU_CYCLE_1)
	s_or_b32 exec_lo, exec_lo, s1
	v_mov_b32_e32 v92, 0
	ds_load_b32 v92, v92 offset:200
	s_wait_dscnt 0x0
	v_mul_f32_e32 v91, v91, v92
	scratch_store_b32 off, v91, off offset:200
.LBB56_1048:
	s_wait_xcnt 0x0
	s_or_b32 exec_lo, exec_lo, s0
	scratch_load_b32 v91, off, off offset:204
	s_mov_b32 s0, exec_lo
	s_wait_loadcnt 0x0
	ds_store_b32 v1, v91
	s_wait_storecnt_dscnt 0x0
	s_barrier_signal -1
	s_barrier_wait -1
	s_wait_xcnt 0x0
	v_cmpx_gt_u32_e32 51, v0
	s_cbranch_execz .LBB56_1058
; %bb.1049:
	v_cmp_ne_u32_e32 vcc_lo, 1, v90
	s_cbranch_vccnz .LBB56_1051
; %bb.1050:
	scratch_load_b32 v91, v7, off
	ds_load_b32 v92, v1
	s_wait_loadcnt_dscnt 0x0
	v_mul_f32_e32 v91, v91, v92
	s_cbranch_execz .LBB56_1052
	s_branch .LBB56_1053
.LBB56_1051:
                                        ; implicit-def: $vgpr91
.LBB56_1052:
	ds_load_b32 v91, v1
.LBB56_1053:
	s_mov_b32 s1, exec_lo
	v_cmpx_ne_u32_e32 50, v0
	s_cbranch_execz .LBB56_1057
; %bb.1054:
	v_add_nc_u32_e32 v92, 0xf4, v6
	v_add3_u32 v93, 0, v6, 4
	v_mov_b32_e32 v94, v0
	s_mov_b32 s2, 0
.LBB56_1055:                            ; =>This Inner Loop Header: Depth=1
	scratch_load_b32 v95, v93, off
	ds_load_b32 v96, v92
	v_dual_add_nc_u32 v94, 1, v94 :: v_dual_add_nc_u32 v92, 4, v92
	s_wait_xcnt 0x0
	v_add_nc_u32_e32 v93, 4, v93
	s_delay_alu instid0(VALU_DEP_2)
	v_cmp_lt_u32_e32 vcc_lo, 49, v94
	s_or_b32 s2, vcc_lo, s2
	s_wait_loadcnt_dscnt 0x0
	v_fmac_f32_e32 v91, v95, v96
	s_and_not1_b32 exec_lo, exec_lo, s2
	s_cbranch_execnz .LBB56_1055
; %bb.1056:
	s_or_b32 exec_lo, exec_lo, s2
.LBB56_1057:
	s_delay_alu instid0(SALU_CYCLE_1)
	s_or_b32 exec_lo, exec_lo, s1
	v_mov_b32_e32 v92, 0
	ds_load_b32 v92, v92 offset:204
	s_wait_dscnt 0x0
	v_mul_f32_e32 v91, v91, v92
	scratch_store_b32 off, v91, off offset:204
.LBB56_1058:
	s_wait_xcnt 0x0
	s_or_b32 exec_lo, exec_lo, s0
	scratch_load_b32 v91, off, off offset:208
	s_mov_b32 s0, exec_lo
	s_wait_loadcnt 0x0
	ds_store_b32 v1, v91
	s_wait_storecnt_dscnt 0x0
	s_barrier_signal -1
	s_barrier_wait -1
	s_wait_xcnt 0x0
	v_cmpx_gt_u32_e32 52, v0
	s_cbranch_execz .LBB56_1068
; %bb.1059:
	v_cmp_ne_u32_e32 vcc_lo, 1, v90
	s_cbranch_vccnz .LBB56_1061
; %bb.1060:
	scratch_load_b32 v91, v7, off
	ds_load_b32 v92, v1
	s_wait_loadcnt_dscnt 0x0
	v_mul_f32_e32 v91, v91, v92
	s_cbranch_execz .LBB56_1062
	s_branch .LBB56_1063
.LBB56_1061:
                                        ; implicit-def: $vgpr91
.LBB56_1062:
	ds_load_b32 v91, v1
.LBB56_1063:
	s_mov_b32 s1, exec_lo
	v_cmpx_ne_u32_e32 51, v0
	s_cbranch_execz .LBB56_1067
; %bb.1064:
	v_add_nc_u32_e32 v92, 0xf4, v6
	v_add3_u32 v93, 0, v6, 4
	v_mov_b32_e32 v94, v0
	s_mov_b32 s2, 0
.LBB56_1065:                            ; =>This Inner Loop Header: Depth=1
	scratch_load_b32 v95, v93, off
	ds_load_b32 v96, v92
	v_dual_add_nc_u32 v94, 1, v94 :: v_dual_add_nc_u32 v92, 4, v92
	s_wait_xcnt 0x0
	v_add_nc_u32_e32 v93, 4, v93
	s_delay_alu instid0(VALU_DEP_2)
	v_cmp_lt_u32_e32 vcc_lo, 50, v94
	s_or_b32 s2, vcc_lo, s2
	s_wait_loadcnt_dscnt 0x0
	v_fmac_f32_e32 v91, v95, v96
	s_and_not1_b32 exec_lo, exec_lo, s2
	s_cbranch_execnz .LBB56_1065
; %bb.1066:
	s_or_b32 exec_lo, exec_lo, s2
.LBB56_1067:
	s_delay_alu instid0(SALU_CYCLE_1)
	s_or_b32 exec_lo, exec_lo, s1
	v_mov_b32_e32 v92, 0
	ds_load_b32 v92, v92 offset:208
	s_wait_dscnt 0x0
	v_mul_f32_e32 v91, v91, v92
	scratch_store_b32 off, v91, off offset:208
.LBB56_1068:
	s_wait_xcnt 0x0
	s_or_b32 exec_lo, exec_lo, s0
	scratch_load_b32 v91, off, off offset:212
	s_mov_b32 s0, exec_lo
	s_wait_loadcnt 0x0
	ds_store_b32 v1, v91
	s_wait_storecnt_dscnt 0x0
	s_barrier_signal -1
	s_barrier_wait -1
	s_wait_xcnt 0x0
	v_cmpx_gt_u32_e32 53, v0
	s_cbranch_execz .LBB56_1078
; %bb.1069:
	v_cmp_ne_u32_e32 vcc_lo, 1, v90
	s_cbranch_vccnz .LBB56_1071
; %bb.1070:
	scratch_load_b32 v91, v7, off
	ds_load_b32 v92, v1
	s_wait_loadcnt_dscnt 0x0
	v_mul_f32_e32 v91, v91, v92
	s_cbranch_execz .LBB56_1072
	s_branch .LBB56_1073
.LBB56_1071:
                                        ; implicit-def: $vgpr91
.LBB56_1072:
	ds_load_b32 v91, v1
.LBB56_1073:
	s_mov_b32 s1, exec_lo
	v_cmpx_ne_u32_e32 52, v0
	s_cbranch_execz .LBB56_1077
; %bb.1074:
	v_add_nc_u32_e32 v92, 0xf4, v6
	v_add3_u32 v93, 0, v6, 4
	v_mov_b32_e32 v94, v0
	s_mov_b32 s2, 0
.LBB56_1075:                            ; =>This Inner Loop Header: Depth=1
	scratch_load_b32 v95, v93, off
	ds_load_b32 v96, v92
	v_dual_add_nc_u32 v94, 1, v94 :: v_dual_add_nc_u32 v92, 4, v92
	s_wait_xcnt 0x0
	v_add_nc_u32_e32 v93, 4, v93
	s_delay_alu instid0(VALU_DEP_2)
	v_cmp_lt_u32_e32 vcc_lo, 51, v94
	s_or_b32 s2, vcc_lo, s2
	s_wait_loadcnt_dscnt 0x0
	v_fmac_f32_e32 v91, v95, v96
	s_and_not1_b32 exec_lo, exec_lo, s2
	s_cbranch_execnz .LBB56_1075
; %bb.1076:
	s_or_b32 exec_lo, exec_lo, s2
.LBB56_1077:
	s_delay_alu instid0(SALU_CYCLE_1)
	s_or_b32 exec_lo, exec_lo, s1
	v_mov_b32_e32 v92, 0
	ds_load_b32 v92, v92 offset:212
	s_wait_dscnt 0x0
	v_mul_f32_e32 v91, v91, v92
	scratch_store_b32 off, v91, off offset:212
.LBB56_1078:
	s_wait_xcnt 0x0
	s_or_b32 exec_lo, exec_lo, s0
	scratch_load_b32 v91, off, off offset:216
	s_mov_b32 s0, exec_lo
	s_wait_loadcnt 0x0
	ds_store_b32 v1, v91
	s_wait_storecnt_dscnt 0x0
	s_barrier_signal -1
	s_barrier_wait -1
	s_wait_xcnt 0x0
	v_cmpx_gt_u32_e32 54, v0
	s_cbranch_execz .LBB56_1088
; %bb.1079:
	v_cmp_ne_u32_e32 vcc_lo, 1, v90
	s_cbranch_vccnz .LBB56_1081
; %bb.1080:
	scratch_load_b32 v91, v7, off
	ds_load_b32 v92, v1
	s_wait_loadcnt_dscnt 0x0
	v_mul_f32_e32 v91, v91, v92
	s_cbranch_execz .LBB56_1082
	s_branch .LBB56_1083
.LBB56_1081:
                                        ; implicit-def: $vgpr91
.LBB56_1082:
	ds_load_b32 v91, v1
.LBB56_1083:
	s_mov_b32 s1, exec_lo
	v_cmpx_ne_u32_e32 53, v0
	s_cbranch_execz .LBB56_1087
; %bb.1084:
	v_add_nc_u32_e32 v92, 0xf4, v6
	v_add3_u32 v93, 0, v6, 4
	v_mov_b32_e32 v94, v0
	s_mov_b32 s2, 0
.LBB56_1085:                            ; =>This Inner Loop Header: Depth=1
	scratch_load_b32 v95, v93, off
	ds_load_b32 v96, v92
	v_dual_add_nc_u32 v94, 1, v94 :: v_dual_add_nc_u32 v92, 4, v92
	s_wait_xcnt 0x0
	v_add_nc_u32_e32 v93, 4, v93
	s_delay_alu instid0(VALU_DEP_2)
	v_cmp_lt_u32_e32 vcc_lo, 52, v94
	s_or_b32 s2, vcc_lo, s2
	s_wait_loadcnt_dscnt 0x0
	v_fmac_f32_e32 v91, v95, v96
	s_and_not1_b32 exec_lo, exec_lo, s2
	s_cbranch_execnz .LBB56_1085
; %bb.1086:
	s_or_b32 exec_lo, exec_lo, s2
.LBB56_1087:
	s_delay_alu instid0(SALU_CYCLE_1)
	s_or_b32 exec_lo, exec_lo, s1
	v_mov_b32_e32 v92, 0
	ds_load_b32 v92, v92 offset:216
	s_wait_dscnt 0x0
	v_mul_f32_e32 v91, v91, v92
	scratch_store_b32 off, v91, off offset:216
.LBB56_1088:
	s_wait_xcnt 0x0
	s_or_b32 exec_lo, exec_lo, s0
	scratch_load_b32 v91, off, off offset:220
	v_cmp_gt_u32_e64 s0, 55, v0
	s_wait_loadcnt 0x0
	ds_store_b32 v1, v91
	s_wait_storecnt_dscnt 0x0
	s_barrier_signal -1
	s_barrier_wait -1
	s_wait_xcnt 0x0
	s_and_saveexec_b32 s1, s0
	s_cbranch_execz .LBB56_1098
; %bb.1089:
	v_cmp_ne_u32_e32 vcc_lo, 1, v90
	s_cbranch_vccnz .LBB56_1091
; %bb.1090:
	scratch_load_b32 v91, v7, off
	ds_load_b32 v92, v1
	s_wait_loadcnt_dscnt 0x0
	v_mul_f32_e32 v91, v91, v92
	s_cbranch_execz .LBB56_1092
	s_branch .LBB56_1093
.LBB56_1091:
                                        ; implicit-def: $vgpr91
.LBB56_1092:
	ds_load_b32 v91, v1
.LBB56_1093:
	s_mov_b32 s2, exec_lo
	v_cmpx_ne_u32_e32 54, v0
	s_cbranch_execz .LBB56_1097
; %bb.1094:
	v_add_nc_u32_e32 v92, 0xf4, v6
	v_add3_u32 v93, 0, v6, 4
	v_mov_b32_e32 v94, v0
	s_mov_b32 s3, 0
.LBB56_1095:                            ; =>This Inner Loop Header: Depth=1
	scratch_load_b32 v95, v93, off
	ds_load_b32 v96, v92
	v_dual_add_nc_u32 v94, 1, v94 :: v_dual_add_nc_u32 v92, 4, v92
	s_wait_xcnt 0x0
	v_add_nc_u32_e32 v93, 4, v93
	s_delay_alu instid0(VALU_DEP_2)
	v_cmp_lt_u32_e32 vcc_lo, 53, v94
	s_or_b32 s3, vcc_lo, s3
	s_wait_loadcnt_dscnt 0x0
	v_fmac_f32_e32 v91, v95, v96
	s_and_not1_b32 exec_lo, exec_lo, s3
	s_cbranch_execnz .LBB56_1095
; %bb.1096:
	s_or_b32 exec_lo, exec_lo, s3
.LBB56_1097:
	s_delay_alu instid0(SALU_CYCLE_1)
	s_or_b32 exec_lo, exec_lo, s2
	v_mov_b32_e32 v92, 0
	ds_load_b32 v92, v92 offset:220
	s_wait_dscnt 0x0
	v_mul_f32_e32 v91, v91, v92
	scratch_store_b32 off, v91, off offset:220
.LBB56_1098:
	s_wait_xcnt 0x0
	s_or_b32 exec_lo, exec_lo, s1
	scratch_load_b32 v91, off, off offset:224
	s_mov_b32 s1, exec_lo
	s_wait_loadcnt 0x0
	ds_store_b32 v1, v91
	s_wait_storecnt_dscnt 0x0
	s_barrier_signal -1
	s_barrier_wait -1
	s_wait_xcnt 0x0
	v_cmpx_ne_u32_e32 56, v0
	s_cbranch_execz .LBB56_1108
; %bb.1099:
	v_cmp_ne_u32_e32 vcc_lo, 1, v90
	s_cbranch_vccnz .LBB56_1101
; %bb.1100:
	scratch_load_b32 v7, v7, off
	ds_load_b32 v90, v1
	s_wait_loadcnt_dscnt 0x0
	v_mul_f32_e32 v7, v7, v90
	s_cbranch_execz .LBB56_1102
	s_branch .LBB56_1103
.LBB56_1101:
                                        ; implicit-def: $vgpr7
.LBB56_1102:
	ds_load_b32 v7, v1
.LBB56_1103:
	s_and_saveexec_b32 s2, s0
	s_cbranch_execz .LBB56_1107
; %bb.1104:
	v_add_nc_u32_e32 v1, 0xf4, v6
	v_add3_u32 v6, 0, v6, 4
	s_mov_b32 s0, 0
.LBB56_1105:                            ; =>This Inner Loop Header: Depth=1
	scratch_load_b32 v90, v6, off
	ds_load_b32 v91, v1
	v_dual_add_nc_u32 v0, 1, v0 :: v_dual_add_nc_u32 v1, 4, v1
	s_wait_xcnt 0x0
	v_add_nc_u32_e32 v6, 4, v6
	s_delay_alu instid0(VALU_DEP_2)
	v_cmp_lt_u32_e32 vcc_lo, 54, v0
	s_or_b32 s0, vcc_lo, s0
	s_wait_loadcnt_dscnt 0x0
	v_fmac_f32_e32 v7, v90, v91
	s_and_not1_b32 exec_lo, exec_lo, s0
	s_cbranch_execnz .LBB56_1105
; %bb.1106:
	s_or_b32 exec_lo, exec_lo, s0
.LBB56_1107:
	s_delay_alu instid0(SALU_CYCLE_1)
	s_or_b32 exec_lo, exec_lo, s2
	v_mov_b32_e32 v0, 0
	ds_load_b32 v0, v0 offset:224
	s_wait_dscnt 0x0
	v_mul_f32_e32 v0, v7, v0
	scratch_store_b32 off, v0, off offset:224
.LBB56_1108:
	s_wait_xcnt 0x0
	s_or_b32 exec_lo, exec_lo, s1
.LBB56_1109:
	s_clause 0x1
	scratch_load_b128 v[90:93], off, off
	scratch_load_b128 v[94:97], off, off offset:16
	s_wait_loadcnt 0x1
	global_store_b32 v[2:3], v90, off
	scratch_load_b128 v[0:3], off, off offset:32
	s_clause 0x1
	global_store_b32 v[4:5], v91, off
	global_store_b32 v[144:145], v92, off
	scratch_load_b128 v[4:7], off, off offset:48
	global_store_b32 v[142:143], v93, off
	scratch_load_b128 v[90:93], off, off offset:64
	s_wait_loadcnt 0x3
	global_store_b32 v[140:141], v94, off
	scratch_load_b128 v[98:101], off, off offset:80
	s_clause 0x1
	global_store_b32 v[136:137], v95, off
	global_store_b32 v[138:139], v96, off
	scratch_load_b128 v[102:105], off, off offset:96
	global_store_b32 v[134:135], v97, off
	s_clause 0x1
	scratch_load_b128 v[94:97], off, off offset:112
	scratch_load_b128 v[106:109], off, off offset:128
	s_wait_loadcnt 0x6
	s_clause 0x2
	global_store_b32 v[132:133], v0, off
	global_store_b32 v[128:129], v1, off
	;; [unrolled: 1-line block ×3, first 2 shown]
	scratch_load_b128 v[110:113], off, off offset:144
	global_store_b32 v[126:127], v3, off
	scratch_load_b128 v[0:3], off, off offset:160
	s_wait_loadcnt 0x7
	global_store_b32 v[124:125], v4, off
	scratch_load_b128 v[114:117], off, off offset:176
	s_clause 0x2
	global_store_b32 v[120:121], v5, off
	global_store_b32 v[122:123], v6, off
	global_store_b32 v[118:119], v7, off
	s_clause 0x2
	scratch_load_b128 v[120:123], off, off offset:192
	scratch_load_b128 v[4:7], off, off offset:208
	scratch_load_b32 v118, off, off offset:224
	s_wait_loadcnt 0xa
	s_clause 0x3
	global_store_b32 v[8:9], v90, off
	global_store_b32 v[10:11], v91, off
	global_store_b32 v[12:13], v92, off
	global_store_b32 v[14:15], v93, off
	s_wait_loadcnt 0x9
	s_clause 0x3
	global_store_b32 v[16:17], v98, off
	global_store_b32 v[18:19], v99, off
	global_store_b32 v[20:21], v100, off
	global_store_b32 v[22:23], v101, off
	s_wait_loadcnt 0x8
	s_clause 0x3
	global_store_b32 v[24:25], v102, off
	global_store_b32 v[26:27], v103, off
	global_store_b32 v[28:29], v104, off
	global_store_b32 v[30:31], v105, off
	s_wait_loadcnt 0x7
	s_clause 0x3
	global_store_b32 v[32:33], v94, off
	global_store_b32 v[34:35], v95, off
	global_store_b32 v[36:37], v96, off
	global_store_b32 v[38:39], v97, off
	s_wait_loadcnt 0x6
	s_clause 0x3
	global_store_b32 v[40:41], v106, off
	global_store_b32 v[42:43], v107, off
	global_store_b32 v[44:45], v108, off
	global_store_b32 v[46:47], v109, off
	s_wait_loadcnt 0x5
	s_clause 0x3
	global_store_b32 v[48:49], v110, off
	global_store_b32 v[50:51], v111, off
	global_store_b32 v[52:53], v112, off
	global_store_b32 v[54:55], v113, off
	s_wait_loadcnt 0x4
	s_clause 0x3
	global_store_b32 v[56:57], v0, off
	global_store_b32 v[58:59], v1, off
	global_store_b32 v[60:61], v2, off
	global_store_b32 v[62:63], v3, off
	s_wait_loadcnt 0x3
	s_clause 0x3
	global_store_b32 v[64:65], v114, off
	global_store_b32 v[66:67], v115, off
	global_store_b32 v[68:69], v116, off
	global_store_b32 v[70:71], v117, off
	s_wait_loadcnt 0x2
	s_clause 0x3
	global_store_b32 v[72:73], v120, off
	global_store_b32 v[74:75], v121, off
	global_store_b32 v[76:77], v122, off
	global_store_b32 v[78:79], v123, off
	s_wait_loadcnt 0x1
	s_clause 0x3
	global_store_b32 v[80:81], v4, off
	global_store_b32 v[82:83], v5, off
	global_store_b32 v[84:85], v6, off
	global_store_b32 v[86:87], v7, off
	s_wait_loadcnt 0x0
	global_store_b32 v[88:89], v118, off
.LBB56_1110:
	s_sendmsg sendmsg(MSG_DEALLOC_VGPRS)
	s_endpgm
	.section	.rodata,"a",@progbits
	.p2align	6, 0x0
	.amdhsa_kernel _ZN9rocsolver6v33100L18trti2_kernel_smallILi57EfPfEEv13rocblas_fill_17rocblas_diagonal_T1_iil
		.amdhsa_group_segment_fixed_size 468
		.amdhsa_private_segment_fixed_size 240
		.amdhsa_kernarg_size 32
		.amdhsa_user_sgpr_count 2
		.amdhsa_user_sgpr_dispatch_ptr 0
		.amdhsa_user_sgpr_queue_ptr 0
		.amdhsa_user_sgpr_kernarg_segment_ptr 1
		.amdhsa_user_sgpr_dispatch_id 0
		.amdhsa_user_sgpr_kernarg_preload_length 0
		.amdhsa_user_sgpr_kernarg_preload_offset 0
		.amdhsa_user_sgpr_private_segment_size 0
		.amdhsa_wavefront_size32 1
		.amdhsa_uses_dynamic_stack 0
		.amdhsa_enable_private_segment 1
		.amdhsa_system_sgpr_workgroup_id_x 1
		.amdhsa_system_sgpr_workgroup_id_y 0
		.amdhsa_system_sgpr_workgroup_id_z 0
		.amdhsa_system_sgpr_workgroup_info 0
		.amdhsa_system_vgpr_workitem_id 0
		.amdhsa_next_free_vgpr 146
		.amdhsa_next_free_sgpr 22
		.amdhsa_named_barrier_count 0
		.amdhsa_reserve_vcc 1
		.amdhsa_float_round_mode_32 0
		.amdhsa_float_round_mode_16_64 0
		.amdhsa_float_denorm_mode_32 3
		.amdhsa_float_denorm_mode_16_64 3
		.amdhsa_fp16_overflow 0
		.amdhsa_memory_ordered 1
		.amdhsa_forward_progress 1
		.amdhsa_inst_pref_size 248
		.amdhsa_round_robin_scheduling 0
		.amdhsa_exception_fp_ieee_invalid_op 0
		.amdhsa_exception_fp_denorm_src 0
		.amdhsa_exception_fp_ieee_div_zero 0
		.amdhsa_exception_fp_ieee_overflow 0
		.amdhsa_exception_fp_ieee_underflow 0
		.amdhsa_exception_fp_ieee_inexact 0
		.amdhsa_exception_int_div_zero 0
	.end_amdhsa_kernel
	.section	.text._ZN9rocsolver6v33100L18trti2_kernel_smallILi57EfPfEEv13rocblas_fill_17rocblas_diagonal_T1_iil,"axG",@progbits,_ZN9rocsolver6v33100L18trti2_kernel_smallILi57EfPfEEv13rocblas_fill_17rocblas_diagonal_T1_iil,comdat
.Lfunc_end56:
	.size	_ZN9rocsolver6v33100L18trti2_kernel_smallILi57EfPfEEv13rocblas_fill_17rocblas_diagonal_T1_iil, .Lfunc_end56-_ZN9rocsolver6v33100L18trti2_kernel_smallILi57EfPfEEv13rocblas_fill_17rocblas_diagonal_T1_iil
                                        ; -- End function
	.set _ZN9rocsolver6v33100L18trti2_kernel_smallILi57EfPfEEv13rocblas_fill_17rocblas_diagonal_T1_iil.num_vgpr, 146
	.set _ZN9rocsolver6v33100L18trti2_kernel_smallILi57EfPfEEv13rocblas_fill_17rocblas_diagonal_T1_iil.num_agpr, 0
	.set _ZN9rocsolver6v33100L18trti2_kernel_smallILi57EfPfEEv13rocblas_fill_17rocblas_diagonal_T1_iil.numbered_sgpr, 22
	.set _ZN9rocsolver6v33100L18trti2_kernel_smallILi57EfPfEEv13rocblas_fill_17rocblas_diagonal_T1_iil.num_named_barrier, 0
	.set _ZN9rocsolver6v33100L18trti2_kernel_smallILi57EfPfEEv13rocblas_fill_17rocblas_diagonal_T1_iil.private_seg_size, 240
	.set _ZN9rocsolver6v33100L18trti2_kernel_smallILi57EfPfEEv13rocblas_fill_17rocblas_diagonal_T1_iil.uses_vcc, 1
	.set _ZN9rocsolver6v33100L18trti2_kernel_smallILi57EfPfEEv13rocblas_fill_17rocblas_diagonal_T1_iil.uses_flat_scratch, 1
	.set _ZN9rocsolver6v33100L18trti2_kernel_smallILi57EfPfEEv13rocblas_fill_17rocblas_diagonal_T1_iil.has_dyn_sized_stack, 0
	.set _ZN9rocsolver6v33100L18trti2_kernel_smallILi57EfPfEEv13rocblas_fill_17rocblas_diagonal_T1_iil.has_recursion, 0
	.set _ZN9rocsolver6v33100L18trti2_kernel_smallILi57EfPfEEv13rocblas_fill_17rocblas_diagonal_T1_iil.has_indirect_call, 0
	.section	.AMDGPU.csdata,"",@progbits
; Kernel info:
; codeLenInByte = 31744
; TotalNumSgprs: 24
; NumVgprs: 146
; ScratchSize: 240
; MemoryBound: 0
; FloatMode: 240
; IeeeMode: 1
; LDSByteSize: 468 bytes/workgroup (compile time only)
; SGPRBlocks: 0
; VGPRBlocks: 9
; NumSGPRsForWavesPerEU: 24
; NumVGPRsForWavesPerEU: 146
; NamedBarCnt: 0
; Occupancy: 6
; WaveLimiterHint : 0
; COMPUTE_PGM_RSRC2:SCRATCH_EN: 1
; COMPUTE_PGM_RSRC2:USER_SGPR: 2
; COMPUTE_PGM_RSRC2:TRAP_HANDLER: 0
; COMPUTE_PGM_RSRC2:TGID_X_EN: 1
; COMPUTE_PGM_RSRC2:TGID_Y_EN: 0
; COMPUTE_PGM_RSRC2:TGID_Z_EN: 0
; COMPUTE_PGM_RSRC2:TIDIG_COMP_CNT: 0
	.section	.text._ZN9rocsolver6v33100L18trti2_kernel_smallILi58EfPfEEv13rocblas_fill_17rocblas_diagonal_T1_iil,"axG",@progbits,_ZN9rocsolver6v33100L18trti2_kernel_smallILi58EfPfEEv13rocblas_fill_17rocblas_diagonal_T1_iil,comdat
	.globl	_ZN9rocsolver6v33100L18trti2_kernel_smallILi58EfPfEEv13rocblas_fill_17rocblas_diagonal_T1_iil ; -- Begin function _ZN9rocsolver6v33100L18trti2_kernel_smallILi58EfPfEEv13rocblas_fill_17rocblas_diagonal_T1_iil
	.p2align	8
	.type	_ZN9rocsolver6v33100L18trti2_kernel_smallILi58EfPfEEv13rocblas_fill_17rocblas_diagonal_T1_iil,@function
_ZN9rocsolver6v33100L18trti2_kernel_smallILi58EfPfEEv13rocblas_fill_17rocblas_diagonal_T1_iil: ; @_ZN9rocsolver6v33100L18trti2_kernel_smallILi58EfPfEEv13rocblas_fill_17rocblas_diagonal_T1_iil
; %bb.0:
	s_mov_b32 s2, exec_lo
	v_cmpx_gt_u32_e32 58, v0
	s_cbranch_execz .LBB57_1130
; %bb.1:
	s_load_b256 s[4:11], s[0:1], 0x0
	s_wait_xcnt 0x0
	s_bfe_u32 s0, ttmp6, 0x4000c
	s_and_b32 s1, ttmp6, 15
	s_add_co_i32 s0, s0, 1
	s_getreg_b32 s2, hwreg(HW_REG_IB_STS2, 6, 4)
	s_mul_i32 s0, ttmp9, s0
	v_mov_b32_e32 v7, 0
	s_add_co_i32 s0, s1, s0
	s_wait_kmcnt 0x0
	v_add3_u32 v8, s9, s9, v0
	s_ashr_i32 s1, s8, 31
	s_cmp_eq_u32 s2, 0
	s_cselect_b32 s2, ttmp9, s0
	s_delay_alu instid0(VALU_DEP_1)
	v_add_nc_u32_e32 v10, s9, v8
	s_ashr_i32 s3, s2, 31
	s_mov_b32 s0, s8
	s_mul_u64 s[2:3], s[10:11], s[2:3]
	s_lshl_b64 s[0:1], s[0:1], 2
	v_add_nc_u32_e32 v12, s9, v10
	s_lshl_b64 s[2:3], s[2:3], 2
	s_delay_alu instid0(SALU_CYCLE_1) | instskip(NEXT) | instid1(VALU_DEP_1)
	s_add_nc_u64 s[2:3], s[6:7], s[2:3]
	v_add_nc_u32_e32 v14, s9, v12
	s_add_nc_u64 s[6:7], s[2:3], s[0:1]
	s_mov_b32 s0, s9
	s_ashr_i32 s1, s9, 31
	s_cmp_lg_u32 s5, 0x84
	v_add_nc_u32_e32 v16, s9, v14
	s_cselect_b32 s3, -1, 0
	s_cmp_eq_u32 s5, 0x84
	s_delay_alu instid0(VALU_DEP_1) | instskip(NEXT) | instid1(VALU_DEP_1)
	v_dual_ashrrev_i32 v11, 31, v10 :: v_dual_add_nc_u32 v18, s9, v16
	v_dual_ashrrev_i32 v13, 31, v12 :: v_dual_ashrrev_i32 v19, 31, v18
	v_dual_add_nc_u32 v20, s9, v18 :: v_dual_ashrrev_i32 v9, 31, v8
	s_delay_alu instid0(VALU_DEP_1) | instskip(NEXT) | instid1(VALU_DEP_1)
	v_dual_ashrrev_i32 v15, 31, v14 :: v_dual_add_nc_u32 v22, s9, v20
	v_add_nc_u32_e32 v24, s9, v22
	s_delay_alu instid0(VALU_DEP_1) | instskip(NEXT) | instid1(VALU_DEP_1)
	v_add_nc_u32_e32 v26, s9, v24
	v_dual_add_nc_u32 v28, s9, v26 :: v_dual_ashrrev_i32 v17, 31, v16
	s_delay_alu instid0(VALU_DEP_1) | instskip(NEXT) | instid1(VALU_DEP_1)
	v_dual_ashrrev_i32 v23, 31, v22 :: v_dual_add_nc_u32 v30, s9, v28
	v_dual_ashrrev_i32 v25, 31, v24 :: v_dual_ashrrev_i32 v31, 31, v30
	v_dual_add_nc_u32 v32, s9, v30 :: v_dual_ashrrev_i32 v21, 31, v20
	s_delay_alu instid0(VALU_DEP_1) | instskip(SKIP_1) | instid1(VALU_DEP_2)
	v_dual_ashrrev_i32 v27, 31, v26 :: v_dual_add_nc_u32 v34, s9, v32
	v_lshlrev_b32_e32 v6, 2, v0
	v_dual_ashrrev_i32 v29, 31, v28 :: v_dual_ashrrev_i32 v35, 31, v34
	v_add_nc_u32_e32 v36, s9, v34
	s_delay_alu instid0(VALU_DEP_3) | instskip(NEXT) | instid1(VALU_DEP_2)
	v_add_nc_u64_e32 v[2:3], s[6:7], v[6:7]
	v_add_nc_u32_e32 v38, s9, v36
	s_delay_alu instid0(VALU_DEP_2)
	v_lshl_add_u64 v[4:5], s[0:1], 2, v[2:3]
	s_clause 0x7
	global_load_b32 v92, v0, s[6:7] scale_offset
	global_load_b32 v94, v8, s[6:7] scale_offset
	;; [unrolled: 1-line block ×7, first 2 shown]
	global_load_b32 v93, v[4:5], off
	v_add_nc_u32_e32 v40, s9, v38
	s_clause 0x7
	global_load_b32 v100, v20, s[6:7] scale_offset
	global_load_b32 v101, v22, s[6:7] scale_offset
	global_load_b32 v102, v24, s[6:7] scale_offset
	global_load_b32 v103, v26, s[6:7] scale_offset
	global_load_b32 v104, v28, s[6:7] scale_offset
	global_load_b32 v105, v30, s[6:7] scale_offset
	global_load_b32 v106, v32, s[6:7] scale_offset
	global_load_b32 v107, v34, s[6:7] scale_offset
	v_add_nc_u32_e32 v42, s9, v40
	s_delay_alu instid0(VALU_DEP_1) | instskip(NEXT) | instid1(VALU_DEP_1)
	v_dual_add_nc_u32 v44, s9, v42 :: v_dual_ashrrev_i32 v33, 31, v32
	v_dual_ashrrev_i32 v39, 31, v38 :: v_dual_add_nc_u32 v46, s9, v44
	s_delay_alu instid0(VALU_DEP_1)
	v_dual_ashrrev_i32 v41, 31, v40 :: v_dual_ashrrev_i32 v47, 31, v46
	v_add_nc_u32_e32 v48, s9, v46
	s_clause 0x3
	global_load_b32 v108, v36, s[6:7] scale_offset
	global_load_b32 v109, v38, s[6:7] scale_offset
	;; [unrolled: 1-line block ×4, first 2 shown]
	v_dual_ashrrev_i32 v37, 31, v36 :: v_dual_ashrrev_i32 v43, 31, v42
	v_add_nc_u32_e32 v50, s9, v48
	s_delay_alu instid0(VALU_DEP_1) | instskip(NEXT) | instid1(VALU_DEP_1)
	v_add_nc_u32_e32 v52, s9, v50
	v_add_nc_u32_e32 v54, s9, v52
	s_delay_alu instid0(VALU_DEP_1)
	v_add_nc_u32_e32 v56, s9, v54
	s_clause 0x3
	global_load_b32 v112, v44, s[6:7] scale_offset
	global_load_b32 v113, v46, s[6:7] scale_offset
	;; [unrolled: 1-line block ×4, first 2 shown]
	v_dual_ashrrev_i32 v45, 31, v44 :: v_dual_ashrrev_i32 v51, 31, v50
	v_add_nc_u32_e32 v58, s9, v56
	s_delay_alu instid0(VALU_DEP_1)
	v_dual_ashrrev_i32 v53, 31, v52 :: v_dual_ashrrev_i32 v59, 31, v58
	v_add_nc_u32_e32 v60, s9, v58
	s_clause 0x3
	global_load_b32 v116, v52, s[6:7] scale_offset
	global_load_b32 v117, v54, s[6:7] scale_offset
	;; [unrolled: 1-line block ×4, first 2 shown]
	v_dual_ashrrev_i32 v49, 31, v48 :: v_dual_ashrrev_i32 v55, 31, v54
	v_add_nc_u32_e32 v62, s9, v60
	s_delay_alu instid0(VALU_DEP_1) | instskip(NEXT) | instid1(VALU_DEP_1)
	v_add_nc_u32_e32 v64, s9, v62
	v_add_nc_u32_e32 v66, s9, v64
	s_delay_alu instid0(VALU_DEP_1) | instskip(NEXT) | instid1(VALU_DEP_1)
	v_dual_add_nc_u32 v68, s9, v66 :: v_dual_ashrrev_i32 v57, 31, v56
	v_dual_ashrrev_i32 v63, 31, v62 :: v_dual_add_nc_u32 v70, s9, v68
	s_delay_alu instid0(VALU_DEP_1)
	v_dual_ashrrev_i32 v65, 31, v64 :: v_dual_ashrrev_i32 v71, 31, v70
	v_add_nc_u32_e32 v72, s9, v70
	s_clause 0x3
	global_load_b32 v120, v60, s[6:7] scale_offset
	global_load_b32 v121, v62, s[6:7] scale_offset
	;; [unrolled: 1-line block ×4, first 2 shown]
	v_dual_ashrrev_i32 v61, 31, v60 :: v_dual_ashrrev_i32 v67, 31, v66
	v_add_nc_u32_e32 v74, s9, v72
	s_delay_alu instid0(VALU_DEP_1) | instskip(NEXT) | instid1(VALU_DEP_1)
	v_add_nc_u32_e32 v76, s9, v74
	v_add_nc_u32_e32 v78, s9, v76
	s_delay_alu instid0(VALU_DEP_1) | instskip(NEXT) | instid1(VALU_DEP_1)
	v_dual_add_nc_u32 v80, s9, v78 :: v_dual_ashrrev_i32 v69, 31, v68
	v_dual_ashrrev_i32 v75, 31, v74 :: v_dual_add_nc_u32 v82, s9, v80
	s_delay_alu instid0(VALU_DEP_1) | instskip(SKIP_1) | instid1(VALU_DEP_1)
	v_dual_ashrrev_i32 v77, 31, v76 :: v_dual_ashrrev_i32 v83, 31, v82
	v_dual_add_nc_u32 v84, s9, v82 :: v_dual_ashrrev_i32 v73, 31, v72
	v_dual_ashrrev_i32 v79, 31, v78 :: v_dual_add_nc_u32 v86, s9, v84
	s_delay_alu instid0(VALU_DEP_1) | instskip(NEXT) | instid1(VALU_DEP_1)
	v_add_nc_u32_e32 v88, s9, v86
	v_add_nc_u32_e32 v90, s9, v88
	s_wait_loadcnt 0x19
	scratch_store_b128 off, v[96:99], off offset:16
	s_wait_loadcnt 0x18
	scratch_store_b128 off, v[92:95], off
	s_wait_xcnt 0x0
	v_add_nc_u32_e32 v92, s9, v90
	s_clause 0x3
	global_load_b32 v124, v68, s[6:7] scale_offset
	global_load_b32 v125, v70, s[6:7] scale_offset
	;; [unrolled: 1-line block ×4, first 2 shown]
	s_wait_loadcnt 0x18
	scratch_store_b128 off, v[100:103], off offset:32
	s_clause 0x3
	global_load_b32 v128, v76, s[6:7] scale_offset
	global_load_b32 v129, v78, s[6:7] scale_offset
	global_load_b32 v130, v80, s[6:7] scale_offset
	global_load_b32 v131, v82, s[6:7] scale_offset
	s_wait_loadcnt 0x18
	scratch_store_b128 off, v[104:107], off offset:48
	v_add_nc_u32_e32 v94, s9, v92
	v_dual_ashrrev_i32 v81, 31, v80 :: v_dual_ashrrev_i32 v87, 31, v86
	s_delay_alu instid0(VALU_DEP_2) | instskip(SKIP_1) | instid1(VALU_DEP_1)
	v_dual_ashrrev_i32 v89, 31, v88 :: v_dual_ashrrev_i32 v95, 31, v94
	v_dual_add_nc_u32 v96, s9, v94 :: v_dual_ashrrev_i32 v85, 31, v84
	v_dual_ashrrev_i32 v91, 31, v90 :: v_dual_add_nc_u32 v98, s9, v96
	s_wait_xcnt 0x5
	s_delay_alu instid0(VALU_DEP_1)
	v_add_nc_u32_e32 v100, s9, v98
	s_wait_loadcnt 0x14
	scratch_store_b128 off, v[108:111], off offset:64
	s_clause 0x3
	global_load_b32 v132, v84, s[6:7] scale_offset
	global_load_b32 v133, v86, s[6:7] scale_offset
	;; [unrolled: 1-line block ×4, first 2 shown]
	v_add_nc_u32_e32 v102, s9, v100
	s_wait_xcnt 0x5
	s_delay_alu instid0(VALU_DEP_1) | instskip(NEXT) | instid1(VALU_DEP_1)
	v_dual_add_nc_u32 v104, s9, v102 :: v_dual_ashrrev_i32 v93, 31, v92
	v_dual_ashrrev_i32 v99, 31, v98 :: v_dual_add_nc_u32 v106, s9, v104
	s_delay_alu instid0(VALU_DEP_1)
	v_dual_ashrrev_i32 v101, 31, v100 :: v_dual_ashrrev_i32 v107, 31, v106
	s_wait_loadcnt 0x14
	scratch_store_b128 off, v[112:115], off offset:80
	s_clause 0x3
	global_load_b32 v136, v92, s[6:7] scale_offset
	global_load_b32 v137, v94, s[6:7] scale_offset
	;; [unrolled: 1-line block ×4, first 2 shown]
	s_wait_xcnt 0x9
	v_dual_add_nc_u32 v108, s9, v106 :: v_dual_ashrrev_i32 v97, 31, v96
	s_delay_alu instid0(VALU_DEP_1) | instskip(SKIP_4) | instid1(VALU_DEP_1)
	v_dual_ashrrev_i32 v103, 31, v102 :: v_dual_add_nc_u32 v110, s9, v108
	s_wait_loadcnt 0x14
	scratch_store_b128 off, v[116:119], off offset:96
	s_wait_xcnt 0x5
	v_add_nc_u32_e32 v112, s9, v110
	v_add_nc_u32_e32 v114, s9, v112
	s_delay_alu instid0(VALU_DEP_1)
	v_dual_ashrrev_i32 v109, 31, v108 :: v_dual_ashrrev_i32 v115, 31, v114
	s_wait_loadcnt 0x10
	scratch_store_b128 off, v[120:123], off offset:112
	s_wait_loadcnt 0xc
	scratch_store_b128 off, v[124:127], off offset:128
	;; [unrolled: 2-line block ×4, first 2 shown]
	s_clause 0x3
	global_load_b32 v116, v100, s[6:7] scale_offset
	global_load_b32 v117, v102, s[6:7] scale_offset
	;; [unrolled: 1-line block ×4, first 2 shown]
	s_wait_loadcnt 0x4
	scratch_store_b128 off, v[136:139], off offset:176
	s_clause 0x3
	global_load_b32 v120, v108, s[6:7] scale_offset
	global_load_b32 v121, v110, s[6:7] scale_offset
	;; [unrolled: 1-line block ×4, first 2 shown]
	s_wait_loadcnt 0x4
	scratch_store_b128 off, v[116:119], off offset:192
	s_wait_xcnt 0x0
	v_dual_add_nc_u32 v116, s9, v114 :: v_dual_ashrrev_i32 v105, 31, v104
	s_delay_alu instid0(VALU_DEP_1) | instskip(SKIP_1) | instid1(VALU_DEP_2)
	v_dual_ashrrev_i32 v111, 31, v110 :: v_dual_add_nc_u32 v118, s9, v116
	v_ashrrev_i32_e32 v113, 31, v112
	v_dual_ashrrev_i32 v117, 31, v116 :: v_dual_ashrrev_i32 v119, 31, v118
	s_wait_loadcnt 0x0
	scratch_store_b128 off, v[120:123], off offset:208
	s_clause 0x1
	global_load_b32 v122, v116, s[6:7] scale_offset
	global_load_b32 v123, v118, s[6:7] scale_offset
	v_mov_b32_e32 v120, -1.0
	s_wait_loadcnt 0x0
	scratch_store_b64 off, v[122:123], off offset:224
	s_cbranch_scc1 .LBB57_3
; %bb.2:
	scratch_load_b32 v1, v0, off scale_offset
	s_wait_loadcnt 0x0
	v_div_scale_f32 v7, null, v1, v1, 1.0
	s_delay_alu instid0(VALU_DEP_1) | instskip(SKIP_1) | instid1(TRANS32_DEP_1)
	v_rcp_f32_e32 v120, v7
	v_nop
	v_fma_f32 v121, -v7, v120, 1.0
	s_delay_alu instid0(VALU_DEP_1) | instskip(SKIP_2) | instid1(VALU_DEP_1)
	v_fmac_f32_e32 v120, v121, v120
	v_div_scale_f32 v121, vcc_lo, 1.0, v1, 1.0
	s_wait_xcnt 0x1
	v_mul_f32_e32 v122, v121, v120
	s_delay_alu instid0(VALU_DEP_1) | instskip(NEXT) | instid1(VALU_DEP_1)
	v_fma_f32 v123, -v7, v122, v121
	v_fmac_f32_e32 v122, v123, v120
	s_delay_alu instid0(VALU_DEP_1) | instskip(NEXT) | instid1(VALU_DEP_1)
	v_fma_f32 v7, -v7, v122, v121
	v_div_fmas_f32 v7, v7, v120, v122
	s_delay_alu instid0(VALU_DEP_1) | instskip(NEXT) | instid1(VALU_DEP_1)
	v_div_fixup_f32 v1, v7, v1, 1.0
	v_xor_b32_e32 v120, 0x80000000, v1
	scratch_store_b32 v0, v1, off scale_offset
.LBB57_3:
	s_wait_xcnt 0x0
	v_add_nc_u32_e32 v1, 0xf0, v6
	v_mov_b32_e32 v7, v6
	s_cmp_eq_u32 s4, 0x79
	s_mov_b32 s1, -1
	ds_store_b32 v6, v120
	s_cbranch_scc1 .LBB57_567
; %bb.4:
	scratch_load_b32 v120, off, off offset:224
	v_cmp_eq_u32_e64 s0, 57, v0
	s_movk_i32 s1, 0x50
	s_movk_i32 s10, 0x60
	;; [unrolled: 1-line block ×9, first 2 shown]
	s_wait_loadcnt 0x0
	ds_store_b32 v1, v120
	s_wait_storecnt_dscnt 0x0
	s_barrier_signal -1
	s_barrier_wait -1
	s_wait_xcnt 0x0
	s_and_saveexec_b32 s2, s0
	s_cbranch_execz .LBB57_10
; %bb.5:
	s_and_b32 vcc_lo, exec_lo, s3
	s_cbranch_vccz .LBB57_7
; %bb.6:
	scratch_load_b32 v120, v7, off
	ds_load_b32 v121, v1
	s_wait_loadcnt_dscnt 0x0
	v_mul_f32_e32 v120, v120, v121
	s_cbranch_execz .LBB57_8
	s_branch .LBB57_9
.LBB57_7:
                                        ; implicit-def: $vgpr120
.LBB57_8:
	ds_load_b32 v120, v1
.LBB57_9:
	v_mov_b32_e32 v121, 0
	ds_load_b32 v121, v121 offset:224
	s_wait_dscnt 0x0
	v_mul_f32_e32 v120, v120, v121
	scratch_store_b32 off, v120, off offset:224
.LBB57_10:
	s_wait_xcnt 0x0
	s_or_b32 exec_lo, exec_lo, s2
	scratch_load_b32 v120, off, off offset:220
	s_mov_b32 s9, s1
	v_cmp_lt_u32_e64 s1, 55, v0
	s_mov_b32 s4, 16
	s_mov_b32 s2, 32
	;; [unrolled: 1-line block ×4, first 2 shown]
	s_wait_loadcnt 0x0
	ds_store_b32 v1, v120
	s_wait_storecnt_dscnt 0x0
	s_barrier_signal -1
	s_barrier_wait -1
	s_wait_xcnt 0x0
	s_and_saveexec_b32 s18, s1
	s_cbranch_execz .LBB57_16
; %bb.11:
	s_and_not1_b32 vcc_lo, exec_lo, s3
	s_cbranch_vccnz .LBB57_13
; %bb.12:
	scratch_load_b32 v120, v7, off
	ds_load_b32 v121, v1
	s_wait_loadcnt_dscnt 0x0
	v_mul_f32_e32 v120, v120, v121
	s_cbranch_execz .LBB57_14
	s_branch .LBB57_15
.LBB57_13:
                                        ; implicit-def: $vgpr120
.LBB57_14:
	ds_load_b32 v120, v1
.LBB57_15:
	scratch_load_b32 v121, off, off offset:224
	v_mov_b32_e32 v122, 0
	ds_load_2addr_b32 v[122:123], v122 offset0:55 offset1:116
	s_wait_loadcnt_dscnt 0x0
	v_fma_f32 v121, v121, v123, v120
	s_delay_alu instid0(VALU_DEP_1) | instskip(NEXT) | instid1(VALU_DEP_1)
	v_cndmask_b32_e64 v120, v120, v121, s0
	v_mul_f32_e32 v120, v120, v122
	scratch_store_b32 off, v120, off offset:220
.LBB57_16:
	s_wait_xcnt 0x0
	s_or_b32 exec_lo, exec_lo, s18
	scratch_load_b32 v120, off, off offset:216
	v_cmp_lt_u32_e64 s0, 54, v0
	s_wait_loadcnt 0x0
	ds_store_b32 v1, v120
	s_wait_storecnt_dscnt 0x0
	s_barrier_signal -1
	s_barrier_wait -1
	s_wait_xcnt 0x0
	s_and_saveexec_b32 s18, s0
	s_cbranch_execz .LBB57_26
; %bb.17:
	s_and_not1_b32 vcc_lo, exec_lo, s3
	s_cbranch_vccnz .LBB57_19
; %bb.18:
	scratch_load_b32 v120, v7, off
	ds_load_b32 v121, v1
	s_wait_loadcnt_dscnt 0x0
	v_mul_f32_e32 v120, v120, v121
	s_cbranch_execz .LBB57_20
	s_branch .LBB57_21
.LBB57_19:
                                        ; implicit-def: $vgpr120
.LBB57_20:
	ds_load_b32 v120, v1
.LBB57_21:
	s_and_saveexec_b32 s19, s1
	s_cbranch_execz .LBB57_25
; %bb.22:
	v_subrev_nc_u32_e32 v121, 55, v0
	s_movk_i32 s1, 0xdc
	s_movk_i32 s21, 0x1cc
	s_mov_b32 s20, 0
.LBB57_23:                              ; =>This Inner Loop Header: Depth=1
	scratch_load_b32 v122, off, s1
	v_dual_mov_b32 v123, s21 :: v_dual_add_nc_u32 v121, -1, v121
	s_add_co_i32 s21, s21, 4
	s_wait_xcnt 0x0
	s_add_co_i32 s1, s1, 4
	ds_load_b32 v123, v123
	v_cmp_eq_u32_e32 vcc_lo, 0, v121
	s_or_b32 s20, vcc_lo, s20
	s_wait_loadcnt_dscnt 0x0
	v_fmac_f32_e32 v120, v122, v123
	s_and_not1_b32 exec_lo, exec_lo, s20
	s_cbranch_execnz .LBB57_23
; %bb.24:
	s_or_b32 exec_lo, exec_lo, s20
.LBB57_25:
	s_delay_alu instid0(SALU_CYCLE_1)
	s_or_b32 exec_lo, exec_lo, s19
	v_mov_b32_e32 v121, 0
	ds_load_b32 v121, v121 offset:216
	s_wait_dscnt 0x0
	v_mul_f32_e32 v120, v120, v121
	scratch_store_b32 off, v120, off offset:216
.LBB57_26:
	s_wait_xcnt 0x0
	s_or_b32 exec_lo, exec_lo, s18
	scratch_load_b32 v120, off, off offset:212
	v_cmp_lt_u32_e64 s1, 53, v0
	s_wait_loadcnt 0x0
	ds_store_b32 v1, v120
	s_wait_storecnt_dscnt 0x0
	s_barrier_signal -1
	s_barrier_wait -1
	s_wait_xcnt 0x0
	s_and_saveexec_b32 s18, s1
	s_cbranch_execz .LBB57_36
; %bb.27:
	s_and_not1_b32 vcc_lo, exec_lo, s3
	s_cbranch_vccnz .LBB57_29
; %bb.28:
	scratch_load_b32 v120, v7, off
	ds_load_b32 v121, v1
	s_wait_loadcnt_dscnt 0x0
	v_mul_f32_e32 v120, v120, v121
	s_cbranch_execz .LBB57_30
	s_branch .LBB57_31
.LBB57_29:
                                        ; implicit-def: $vgpr120
.LBB57_30:
	ds_load_b32 v120, v1
.LBB57_31:
	s_and_saveexec_b32 s19, s0
	s_cbranch_execz .LBB57_35
; %bb.32:
	v_subrev_nc_u32_e32 v121, 54, v0
	s_movk_i32 s0, 0xd8
	s_movk_i32 s21, 0x1c8
	s_mov_b32 s20, 0
.LBB57_33:                              ; =>This Inner Loop Header: Depth=1
	scratch_load_b32 v122, off, s0
	v_dual_mov_b32 v123, s21 :: v_dual_add_nc_u32 v121, -1, v121
	s_add_co_i32 s21, s21, 4
	s_wait_xcnt 0x0
	s_add_co_i32 s0, s0, 4
	ds_load_b32 v123, v123
	v_cmp_eq_u32_e32 vcc_lo, 0, v121
	s_or_b32 s20, vcc_lo, s20
	s_wait_loadcnt_dscnt 0x0
	v_fmac_f32_e32 v120, v122, v123
	s_and_not1_b32 exec_lo, exec_lo, s20
	s_cbranch_execnz .LBB57_33
; %bb.34:
	s_or_b32 exec_lo, exec_lo, s20
.LBB57_35:
	s_delay_alu instid0(SALU_CYCLE_1)
	s_or_b32 exec_lo, exec_lo, s19
	v_mov_b32_e32 v121, 0
	ds_load_b32 v121, v121 offset:212
	s_wait_dscnt 0x0
	v_mul_f32_e32 v120, v120, v121
	scratch_store_b32 off, v120, off offset:212
.LBB57_36:
	;; [unrolled: 58-line block ×3, first 2 shown]
	s_wait_xcnt 0x0
	s_or_b32 exec_lo, exec_lo, s18
	scratch_load_b32 v120, off, off offset:204
	v_cmp_lt_u32_e64 s1, 51, v0
	s_wait_loadcnt 0x0
	ds_store_b32 v1, v120
	s_wait_storecnt_dscnt 0x0
	s_barrier_signal -1
	s_barrier_wait -1
	s_wait_xcnt 0x0
	s_and_saveexec_b32 s18, s1
	s_cbranch_execz .LBB57_56
; %bb.47:
	s_and_not1_b32 vcc_lo, exec_lo, s3
	s_cbranch_vccnz .LBB57_49
; %bb.48:
	scratch_load_b32 v120, v7, off
	ds_load_b32 v121, v1
	s_wait_loadcnt_dscnt 0x0
	v_mul_f32_e32 v120, v120, v121
	s_cbranch_execz .LBB57_50
	s_branch .LBB57_51
.LBB57_49:
                                        ; implicit-def: $vgpr120
.LBB57_50:
	ds_load_b32 v120, v1
.LBB57_51:
	s_and_saveexec_b32 s19, s0
	s_cbranch_execz .LBB57_55
; %bb.52:
	v_subrev_nc_u32_e32 v121, 52, v0
	s_movk_i32 s20, 0x1c0
	s_mov_b32 s0, 0
.LBB57_53:                              ; =>This Inner Loop Header: Depth=1
	scratch_load_b32 v122, off, s17
	v_dual_mov_b32 v123, s20 :: v_dual_add_nc_u32 v121, -1, v121
	s_add_co_i32 s20, s20, 4
	s_wait_xcnt 0x0
	s_add_co_i32 s17, s17, 4
	ds_load_b32 v123, v123
	v_cmp_eq_u32_e32 vcc_lo, 0, v121
	s_or_b32 s0, vcc_lo, s0
	s_wait_loadcnt_dscnt 0x0
	v_fmac_f32_e32 v120, v122, v123
	s_and_not1_b32 exec_lo, exec_lo, s0
	s_cbranch_execnz .LBB57_53
; %bb.54:
	s_or_b32 exec_lo, exec_lo, s0
.LBB57_55:
	s_delay_alu instid0(SALU_CYCLE_1)
	s_or_b32 exec_lo, exec_lo, s19
	v_mov_b32_e32 v121, 0
	ds_load_b32 v121, v121 offset:204
	s_wait_dscnt 0x0
	v_mul_f32_e32 v120, v120, v121
	scratch_store_b32 off, v120, off offset:204
.LBB57_56:
	s_wait_xcnt 0x0
	s_or_b32 exec_lo, exec_lo, s18
	scratch_load_b32 v120, off, off offset:200
	v_cmp_lt_u32_e64 s0, 50, v0
	s_wait_loadcnt 0x0
	ds_store_b32 v1, v120
	s_wait_storecnt_dscnt 0x0
	s_barrier_signal -1
	s_barrier_wait -1
	s_wait_xcnt 0x0
	s_and_saveexec_b32 s17, s0
	s_cbranch_execz .LBB57_66
; %bb.57:
	s_and_not1_b32 vcc_lo, exec_lo, s3
	s_cbranch_vccnz .LBB57_59
; %bb.58:
	scratch_load_b32 v120, v7, off
	ds_load_b32 v121, v1
	s_wait_loadcnt_dscnt 0x0
	v_mul_f32_e32 v120, v120, v121
	s_cbranch_execz .LBB57_60
	s_branch .LBB57_61
.LBB57_59:
                                        ; implicit-def: $vgpr120
.LBB57_60:
	ds_load_b32 v120, v1
.LBB57_61:
	s_and_saveexec_b32 s18, s1
	s_cbranch_execz .LBB57_65
; %bb.62:
	v_subrev_nc_u32_e32 v121, 51, v0
	s_movk_i32 s1, 0xcc
	s_movk_i32 s20, 0x1bc
	s_mov_b32 s19, 0
.LBB57_63:                              ; =>This Inner Loop Header: Depth=1
	scratch_load_b32 v122, off, s1
	v_dual_mov_b32 v123, s20 :: v_dual_add_nc_u32 v121, -1, v121
	s_add_co_i32 s20, s20, 4
	s_wait_xcnt 0x0
	s_add_co_i32 s1, s1, 4
	ds_load_b32 v123, v123
	v_cmp_eq_u32_e32 vcc_lo, 0, v121
	s_or_b32 s19, vcc_lo, s19
	s_wait_loadcnt_dscnt 0x0
	v_fmac_f32_e32 v120, v122, v123
	s_and_not1_b32 exec_lo, exec_lo, s19
	s_cbranch_execnz .LBB57_63
; %bb.64:
	s_or_b32 exec_lo, exec_lo, s19
.LBB57_65:
	s_delay_alu instid0(SALU_CYCLE_1)
	s_or_b32 exec_lo, exec_lo, s18
	v_mov_b32_e32 v121, 0
	ds_load_b32 v121, v121 offset:200
	s_wait_dscnt 0x0
	v_mul_f32_e32 v120, v120, v121
	scratch_store_b32 off, v120, off offset:200
.LBB57_66:
	s_wait_xcnt 0x0
	s_or_b32 exec_lo, exec_lo, s17
	scratch_load_b32 v120, off, off offset:196
	v_cmp_lt_u32_e64 s1, 49, v0
	s_wait_loadcnt 0x0
	ds_store_b32 v1, v120
	s_wait_storecnt_dscnt 0x0
	s_barrier_signal -1
	s_barrier_wait -1
	s_wait_xcnt 0x0
	s_and_saveexec_b32 s17, s1
	s_cbranch_execz .LBB57_76
; %bb.67:
	s_and_not1_b32 vcc_lo, exec_lo, s3
	s_cbranch_vccnz .LBB57_69
; %bb.68:
	scratch_load_b32 v120, v7, off
	ds_load_b32 v121, v1
	s_wait_loadcnt_dscnt 0x0
	v_mul_f32_e32 v120, v120, v121
	s_cbranch_execz .LBB57_70
	s_branch .LBB57_71
.LBB57_69:
                                        ; implicit-def: $vgpr120
.LBB57_70:
	ds_load_b32 v120, v1
.LBB57_71:
	s_and_saveexec_b32 s18, s0
	s_cbranch_execz .LBB57_75
; %bb.72:
	v_subrev_nc_u32_e32 v121, 50, v0
	s_movk_i32 s0, 0xc8
	s_movk_i32 s20, 0x1b8
	s_mov_b32 s19, 0
.LBB57_73:                              ; =>This Inner Loop Header: Depth=1
	scratch_load_b32 v122, off, s0
	v_dual_mov_b32 v123, s20 :: v_dual_add_nc_u32 v121, -1, v121
	s_add_co_i32 s20, s20, 4
	s_wait_xcnt 0x0
	s_add_co_i32 s0, s0, 4
	ds_load_b32 v123, v123
	v_cmp_eq_u32_e32 vcc_lo, 0, v121
	s_or_b32 s19, vcc_lo, s19
	s_wait_loadcnt_dscnt 0x0
	v_fmac_f32_e32 v120, v122, v123
	s_and_not1_b32 exec_lo, exec_lo, s19
	s_cbranch_execnz .LBB57_73
; %bb.74:
	s_or_b32 exec_lo, exec_lo, s19
.LBB57_75:
	s_delay_alu instid0(SALU_CYCLE_1)
	s_or_b32 exec_lo, exec_lo, s18
	v_mov_b32_e32 v121, 0
	ds_load_b32 v121, v121 offset:196
	s_wait_dscnt 0x0
	v_mul_f32_e32 v120, v120, v121
	scratch_store_b32 off, v120, off offset:196
.LBB57_76:
	;; [unrolled: 58-line block ×3, first 2 shown]
	s_wait_xcnt 0x0
	s_or_b32 exec_lo, exec_lo, s17
	scratch_load_b32 v120, off, off offset:188
	v_cmp_lt_u32_e64 s1, 47, v0
	s_wait_loadcnt 0x0
	ds_store_b32 v1, v120
	s_wait_storecnt_dscnt 0x0
	s_barrier_signal -1
	s_barrier_wait -1
	s_wait_xcnt 0x0
	s_and_saveexec_b32 s17, s1
	s_cbranch_execz .LBB57_96
; %bb.87:
	s_and_not1_b32 vcc_lo, exec_lo, s3
	s_cbranch_vccnz .LBB57_89
; %bb.88:
	scratch_load_b32 v120, v7, off
	ds_load_b32 v121, v1
	s_wait_loadcnt_dscnt 0x0
	v_mul_f32_e32 v120, v120, v121
	s_cbranch_execz .LBB57_90
	s_branch .LBB57_91
.LBB57_89:
                                        ; implicit-def: $vgpr120
.LBB57_90:
	ds_load_b32 v120, v1
.LBB57_91:
	s_and_saveexec_b32 s18, s0
	s_cbranch_execz .LBB57_95
; %bb.92:
	v_subrev_nc_u32_e32 v121, 48, v0
	s_movk_i32 s19, 0x1b0
	s_mov_b32 s0, 0
.LBB57_93:                              ; =>This Inner Loop Header: Depth=1
	scratch_load_b32 v122, off, s16
	v_dual_mov_b32 v123, s19 :: v_dual_add_nc_u32 v121, -1, v121
	s_add_co_i32 s19, s19, 4
	s_wait_xcnt 0x0
	s_add_co_i32 s16, s16, 4
	ds_load_b32 v123, v123
	v_cmp_eq_u32_e32 vcc_lo, 0, v121
	s_or_b32 s0, vcc_lo, s0
	s_wait_loadcnt_dscnt 0x0
	v_fmac_f32_e32 v120, v122, v123
	s_and_not1_b32 exec_lo, exec_lo, s0
	s_cbranch_execnz .LBB57_93
; %bb.94:
	s_or_b32 exec_lo, exec_lo, s0
.LBB57_95:
	s_delay_alu instid0(SALU_CYCLE_1)
	s_or_b32 exec_lo, exec_lo, s18
	v_mov_b32_e32 v121, 0
	ds_load_b32 v121, v121 offset:188
	s_wait_dscnt 0x0
	v_mul_f32_e32 v120, v120, v121
	scratch_store_b32 off, v120, off offset:188
.LBB57_96:
	s_wait_xcnt 0x0
	s_or_b32 exec_lo, exec_lo, s17
	scratch_load_b32 v120, off, off offset:184
	v_cmp_lt_u32_e64 s0, 46, v0
	s_wait_loadcnt 0x0
	ds_store_b32 v1, v120
	s_wait_storecnt_dscnt 0x0
	s_barrier_signal -1
	s_barrier_wait -1
	s_wait_xcnt 0x0
	s_and_saveexec_b32 s16, s0
	s_cbranch_execz .LBB57_106
; %bb.97:
	s_and_not1_b32 vcc_lo, exec_lo, s3
	s_cbranch_vccnz .LBB57_99
; %bb.98:
	scratch_load_b32 v120, v7, off
	ds_load_b32 v121, v1
	s_wait_loadcnt_dscnt 0x0
	v_mul_f32_e32 v120, v120, v121
	s_cbranch_execz .LBB57_100
	s_branch .LBB57_101
.LBB57_99:
                                        ; implicit-def: $vgpr120
.LBB57_100:
	ds_load_b32 v120, v1
.LBB57_101:
	s_and_saveexec_b32 s17, s1
	s_cbranch_execz .LBB57_105
; %bb.102:
	v_subrev_nc_u32_e32 v121, 47, v0
	s_movk_i32 s1, 0xbc
	s_movk_i32 s19, 0x1ac
	s_mov_b32 s18, 0
.LBB57_103:                             ; =>This Inner Loop Header: Depth=1
	scratch_load_b32 v122, off, s1
	v_dual_mov_b32 v123, s19 :: v_dual_add_nc_u32 v121, -1, v121
	s_add_co_i32 s19, s19, 4
	s_wait_xcnt 0x0
	s_add_co_i32 s1, s1, 4
	ds_load_b32 v123, v123
	v_cmp_eq_u32_e32 vcc_lo, 0, v121
	s_or_b32 s18, vcc_lo, s18
	s_wait_loadcnt_dscnt 0x0
	v_fmac_f32_e32 v120, v122, v123
	s_and_not1_b32 exec_lo, exec_lo, s18
	s_cbranch_execnz .LBB57_103
; %bb.104:
	s_or_b32 exec_lo, exec_lo, s18
.LBB57_105:
	s_delay_alu instid0(SALU_CYCLE_1)
	s_or_b32 exec_lo, exec_lo, s17
	v_mov_b32_e32 v121, 0
	ds_load_b32 v121, v121 offset:184
	s_wait_dscnt 0x0
	v_mul_f32_e32 v120, v120, v121
	scratch_store_b32 off, v120, off offset:184
.LBB57_106:
	s_wait_xcnt 0x0
	s_or_b32 exec_lo, exec_lo, s16
	scratch_load_b32 v120, off, off offset:180
	v_cmp_lt_u32_e64 s1, 45, v0
	s_wait_loadcnt 0x0
	ds_store_b32 v1, v120
	s_wait_storecnt_dscnt 0x0
	s_barrier_signal -1
	s_barrier_wait -1
	s_wait_xcnt 0x0
	s_and_saveexec_b32 s16, s1
	s_cbranch_execz .LBB57_116
; %bb.107:
	s_and_not1_b32 vcc_lo, exec_lo, s3
	s_cbranch_vccnz .LBB57_109
; %bb.108:
	scratch_load_b32 v120, v7, off
	ds_load_b32 v121, v1
	s_wait_loadcnt_dscnt 0x0
	v_mul_f32_e32 v120, v120, v121
	s_cbranch_execz .LBB57_110
	s_branch .LBB57_111
.LBB57_109:
                                        ; implicit-def: $vgpr120
.LBB57_110:
	ds_load_b32 v120, v1
.LBB57_111:
	s_and_saveexec_b32 s17, s0
	s_cbranch_execz .LBB57_115
; %bb.112:
	v_subrev_nc_u32_e32 v121, 46, v0
	s_movk_i32 s0, 0xb8
	s_movk_i32 s19, 0x1a8
	s_mov_b32 s18, 0
.LBB57_113:                             ; =>This Inner Loop Header: Depth=1
	scratch_load_b32 v122, off, s0
	v_dual_mov_b32 v123, s19 :: v_dual_add_nc_u32 v121, -1, v121
	s_add_co_i32 s19, s19, 4
	s_wait_xcnt 0x0
	s_add_co_i32 s0, s0, 4
	ds_load_b32 v123, v123
	v_cmp_eq_u32_e32 vcc_lo, 0, v121
	s_or_b32 s18, vcc_lo, s18
	s_wait_loadcnt_dscnt 0x0
	v_fmac_f32_e32 v120, v122, v123
	s_and_not1_b32 exec_lo, exec_lo, s18
	s_cbranch_execnz .LBB57_113
; %bb.114:
	s_or_b32 exec_lo, exec_lo, s18
.LBB57_115:
	s_delay_alu instid0(SALU_CYCLE_1)
	s_or_b32 exec_lo, exec_lo, s17
	v_mov_b32_e32 v121, 0
	ds_load_b32 v121, v121 offset:180
	s_wait_dscnt 0x0
	v_mul_f32_e32 v120, v120, v121
	scratch_store_b32 off, v120, off offset:180
.LBB57_116:
	;; [unrolled: 58-line block ×3, first 2 shown]
	s_wait_xcnt 0x0
	s_or_b32 exec_lo, exec_lo, s16
	scratch_load_b32 v120, off, off offset:172
	v_cmp_lt_u32_e64 s1, 43, v0
	s_wait_loadcnt 0x0
	ds_store_b32 v1, v120
	s_wait_storecnt_dscnt 0x0
	s_barrier_signal -1
	s_barrier_wait -1
	s_wait_xcnt 0x0
	s_and_saveexec_b32 s16, s1
	s_cbranch_execz .LBB57_136
; %bb.127:
	s_and_not1_b32 vcc_lo, exec_lo, s3
	s_cbranch_vccnz .LBB57_129
; %bb.128:
	scratch_load_b32 v120, v7, off
	ds_load_b32 v121, v1
	s_wait_loadcnt_dscnt 0x0
	v_mul_f32_e32 v120, v120, v121
	s_cbranch_execz .LBB57_130
	s_branch .LBB57_131
.LBB57_129:
                                        ; implicit-def: $vgpr120
.LBB57_130:
	ds_load_b32 v120, v1
.LBB57_131:
	s_and_saveexec_b32 s17, s0
	s_cbranch_execz .LBB57_135
; %bb.132:
	v_subrev_nc_u32_e32 v121, 44, v0
	s_movk_i32 s18, 0x1a0
	s_mov_b32 s0, 0
.LBB57_133:                             ; =>This Inner Loop Header: Depth=1
	scratch_load_b32 v122, off, s15
	v_dual_mov_b32 v123, s18 :: v_dual_add_nc_u32 v121, -1, v121
	s_add_co_i32 s18, s18, 4
	s_wait_xcnt 0x0
	s_add_co_i32 s15, s15, 4
	ds_load_b32 v123, v123
	v_cmp_eq_u32_e32 vcc_lo, 0, v121
	s_or_b32 s0, vcc_lo, s0
	s_wait_loadcnt_dscnt 0x0
	v_fmac_f32_e32 v120, v122, v123
	s_and_not1_b32 exec_lo, exec_lo, s0
	s_cbranch_execnz .LBB57_133
; %bb.134:
	s_or_b32 exec_lo, exec_lo, s0
.LBB57_135:
	s_delay_alu instid0(SALU_CYCLE_1)
	s_or_b32 exec_lo, exec_lo, s17
	v_mov_b32_e32 v121, 0
	ds_load_b32 v121, v121 offset:172
	s_wait_dscnt 0x0
	v_mul_f32_e32 v120, v120, v121
	scratch_store_b32 off, v120, off offset:172
.LBB57_136:
	s_wait_xcnt 0x0
	s_or_b32 exec_lo, exec_lo, s16
	scratch_load_b32 v120, off, off offset:168
	v_cmp_lt_u32_e64 s0, 42, v0
	s_wait_loadcnt 0x0
	ds_store_b32 v1, v120
	s_wait_storecnt_dscnt 0x0
	s_barrier_signal -1
	s_barrier_wait -1
	s_wait_xcnt 0x0
	s_and_saveexec_b32 s15, s0
	s_cbranch_execz .LBB57_146
; %bb.137:
	s_and_not1_b32 vcc_lo, exec_lo, s3
	s_cbranch_vccnz .LBB57_139
; %bb.138:
	scratch_load_b32 v120, v7, off
	ds_load_b32 v121, v1
	s_wait_loadcnt_dscnt 0x0
	v_mul_f32_e32 v120, v120, v121
	s_cbranch_execz .LBB57_140
	s_branch .LBB57_141
.LBB57_139:
                                        ; implicit-def: $vgpr120
.LBB57_140:
	ds_load_b32 v120, v1
.LBB57_141:
	s_and_saveexec_b32 s16, s1
	s_cbranch_execz .LBB57_145
; %bb.142:
	v_subrev_nc_u32_e32 v121, 43, v0
	s_movk_i32 s1, 0xac
	s_movk_i32 s18, 0x19c
	s_mov_b32 s17, 0
.LBB57_143:                             ; =>This Inner Loop Header: Depth=1
	scratch_load_b32 v122, off, s1
	v_dual_mov_b32 v123, s18 :: v_dual_add_nc_u32 v121, -1, v121
	s_add_co_i32 s18, s18, 4
	s_wait_xcnt 0x0
	s_add_co_i32 s1, s1, 4
	ds_load_b32 v123, v123
	v_cmp_eq_u32_e32 vcc_lo, 0, v121
	s_or_b32 s17, vcc_lo, s17
	s_wait_loadcnt_dscnt 0x0
	v_fmac_f32_e32 v120, v122, v123
	s_and_not1_b32 exec_lo, exec_lo, s17
	s_cbranch_execnz .LBB57_143
; %bb.144:
	s_or_b32 exec_lo, exec_lo, s17
.LBB57_145:
	s_delay_alu instid0(SALU_CYCLE_1)
	s_or_b32 exec_lo, exec_lo, s16
	v_mov_b32_e32 v121, 0
	ds_load_b32 v121, v121 offset:168
	s_wait_dscnt 0x0
	v_mul_f32_e32 v120, v120, v121
	scratch_store_b32 off, v120, off offset:168
.LBB57_146:
	s_wait_xcnt 0x0
	s_or_b32 exec_lo, exec_lo, s15
	scratch_load_b32 v120, off, off offset:164
	v_cmp_lt_u32_e64 s1, 41, v0
	s_wait_loadcnt 0x0
	ds_store_b32 v1, v120
	s_wait_storecnt_dscnt 0x0
	s_barrier_signal -1
	s_barrier_wait -1
	s_wait_xcnt 0x0
	s_and_saveexec_b32 s15, s1
	s_cbranch_execz .LBB57_156
; %bb.147:
	s_and_not1_b32 vcc_lo, exec_lo, s3
	s_cbranch_vccnz .LBB57_149
; %bb.148:
	scratch_load_b32 v120, v7, off
	ds_load_b32 v121, v1
	s_wait_loadcnt_dscnt 0x0
	v_mul_f32_e32 v120, v120, v121
	s_cbranch_execz .LBB57_150
	s_branch .LBB57_151
.LBB57_149:
                                        ; implicit-def: $vgpr120
.LBB57_150:
	ds_load_b32 v120, v1
.LBB57_151:
	s_and_saveexec_b32 s16, s0
	s_cbranch_execz .LBB57_155
; %bb.152:
	v_subrev_nc_u32_e32 v121, 42, v0
	s_movk_i32 s0, 0xa8
	s_movk_i32 s18, 0x198
	s_mov_b32 s17, 0
.LBB57_153:                             ; =>This Inner Loop Header: Depth=1
	scratch_load_b32 v122, off, s0
	v_dual_mov_b32 v123, s18 :: v_dual_add_nc_u32 v121, -1, v121
	s_add_co_i32 s18, s18, 4
	s_wait_xcnt 0x0
	s_add_co_i32 s0, s0, 4
	ds_load_b32 v123, v123
	v_cmp_eq_u32_e32 vcc_lo, 0, v121
	s_or_b32 s17, vcc_lo, s17
	s_wait_loadcnt_dscnt 0x0
	v_fmac_f32_e32 v120, v122, v123
	s_and_not1_b32 exec_lo, exec_lo, s17
	s_cbranch_execnz .LBB57_153
; %bb.154:
	s_or_b32 exec_lo, exec_lo, s17
.LBB57_155:
	s_delay_alu instid0(SALU_CYCLE_1)
	s_or_b32 exec_lo, exec_lo, s16
	v_mov_b32_e32 v121, 0
	ds_load_b32 v121, v121 offset:164
	s_wait_dscnt 0x0
	v_mul_f32_e32 v120, v120, v121
	scratch_store_b32 off, v120, off offset:164
.LBB57_156:
	;; [unrolled: 58-line block ×3, first 2 shown]
	s_wait_xcnt 0x0
	s_or_b32 exec_lo, exec_lo, s15
	scratch_load_b32 v120, off, off offset:156
	v_cmp_lt_u32_e64 s1, 39, v0
	s_wait_loadcnt 0x0
	ds_store_b32 v1, v120
	s_wait_storecnt_dscnt 0x0
	s_barrier_signal -1
	s_barrier_wait -1
	s_wait_xcnt 0x0
	s_and_saveexec_b32 s15, s1
	s_cbranch_execz .LBB57_176
; %bb.167:
	s_and_not1_b32 vcc_lo, exec_lo, s3
	s_cbranch_vccnz .LBB57_169
; %bb.168:
	scratch_load_b32 v120, v7, off
	ds_load_b32 v121, v1
	s_wait_loadcnt_dscnt 0x0
	v_mul_f32_e32 v120, v120, v121
	s_cbranch_execz .LBB57_170
	s_branch .LBB57_171
.LBB57_169:
                                        ; implicit-def: $vgpr120
.LBB57_170:
	ds_load_b32 v120, v1
.LBB57_171:
	s_and_saveexec_b32 s16, s0
	s_cbranch_execz .LBB57_175
; %bb.172:
	v_subrev_nc_u32_e32 v121, 40, v0
	s_movk_i32 s17, 0x190
	s_mov_b32 s0, 0
.LBB57_173:                             ; =>This Inner Loop Header: Depth=1
	scratch_load_b32 v122, off, s14
	v_dual_mov_b32 v123, s17 :: v_dual_add_nc_u32 v121, -1, v121
	s_add_co_i32 s17, s17, 4
	s_wait_xcnt 0x0
	s_add_co_i32 s14, s14, 4
	ds_load_b32 v123, v123
	v_cmp_eq_u32_e32 vcc_lo, 0, v121
	s_or_b32 s0, vcc_lo, s0
	s_wait_loadcnt_dscnt 0x0
	v_fmac_f32_e32 v120, v122, v123
	s_and_not1_b32 exec_lo, exec_lo, s0
	s_cbranch_execnz .LBB57_173
; %bb.174:
	s_or_b32 exec_lo, exec_lo, s0
.LBB57_175:
	s_delay_alu instid0(SALU_CYCLE_1)
	s_or_b32 exec_lo, exec_lo, s16
	v_mov_b32_e32 v121, 0
	ds_load_b32 v121, v121 offset:156
	s_wait_dscnt 0x0
	v_mul_f32_e32 v120, v120, v121
	scratch_store_b32 off, v120, off offset:156
.LBB57_176:
	s_wait_xcnt 0x0
	s_or_b32 exec_lo, exec_lo, s15
	scratch_load_b32 v120, off, off offset:152
	v_cmp_lt_u32_e64 s0, 38, v0
	s_wait_loadcnt 0x0
	ds_store_b32 v1, v120
	s_wait_storecnt_dscnt 0x0
	s_barrier_signal -1
	s_barrier_wait -1
	s_wait_xcnt 0x0
	s_and_saveexec_b32 s14, s0
	s_cbranch_execz .LBB57_186
; %bb.177:
	s_and_not1_b32 vcc_lo, exec_lo, s3
	s_cbranch_vccnz .LBB57_179
; %bb.178:
	scratch_load_b32 v120, v7, off
	ds_load_b32 v121, v1
	s_wait_loadcnt_dscnt 0x0
	v_mul_f32_e32 v120, v120, v121
	s_cbranch_execz .LBB57_180
	s_branch .LBB57_181
.LBB57_179:
                                        ; implicit-def: $vgpr120
.LBB57_180:
	ds_load_b32 v120, v1
.LBB57_181:
	s_and_saveexec_b32 s15, s1
	s_cbranch_execz .LBB57_185
; %bb.182:
	v_subrev_nc_u32_e32 v121, 39, v0
	s_movk_i32 s1, 0x9c
	s_movk_i32 s17, 0x18c
	s_mov_b32 s16, 0
.LBB57_183:                             ; =>This Inner Loop Header: Depth=1
	scratch_load_b32 v122, off, s1
	v_dual_mov_b32 v123, s17 :: v_dual_add_nc_u32 v121, -1, v121
	s_add_co_i32 s17, s17, 4
	s_wait_xcnt 0x0
	s_add_co_i32 s1, s1, 4
	ds_load_b32 v123, v123
	v_cmp_eq_u32_e32 vcc_lo, 0, v121
	s_or_b32 s16, vcc_lo, s16
	s_wait_loadcnt_dscnt 0x0
	v_fmac_f32_e32 v120, v122, v123
	s_and_not1_b32 exec_lo, exec_lo, s16
	s_cbranch_execnz .LBB57_183
; %bb.184:
	s_or_b32 exec_lo, exec_lo, s16
.LBB57_185:
	s_delay_alu instid0(SALU_CYCLE_1)
	s_or_b32 exec_lo, exec_lo, s15
	v_mov_b32_e32 v121, 0
	ds_load_b32 v121, v121 offset:152
	s_wait_dscnt 0x0
	v_mul_f32_e32 v120, v120, v121
	scratch_store_b32 off, v120, off offset:152
.LBB57_186:
	s_wait_xcnt 0x0
	s_or_b32 exec_lo, exec_lo, s14
	scratch_load_b32 v120, off, off offset:148
	v_cmp_lt_u32_e64 s1, 37, v0
	s_wait_loadcnt 0x0
	ds_store_b32 v1, v120
	s_wait_storecnt_dscnt 0x0
	s_barrier_signal -1
	s_barrier_wait -1
	s_wait_xcnt 0x0
	s_and_saveexec_b32 s14, s1
	s_cbranch_execz .LBB57_196
; %bb.187:
	s_and_not1_b32 vcc_lo, exec_lo, s3
	s_cbranch_vccnz .LBB57_189
; %bb.188:
	scratch_load_b32 v120, v7, off
	ds_load_b32 v121, v1
	s_wait_loadcnt_dscnt 0x0
	v_mul_f32_e32 v120, v120, v121
	s_cbranch_execz .LBB57_190
	s_branch .LBB57_191
.LBB57_189:
                                        ; implicit-def: $vgpr120
.LBB57_190:
	ds_load_b32 v120, v1
.LBB57_191:
	s_and_saveexec_b32 s15, s0
	s_cbranch_execz .LBB57_195
; %bb.192:
	v_subrev_nc_u32_e32 v121, 38, v0
	s_movk_i32 s0, 0x98
	s_movk_i32 s17, 0x188
	s_mov_b32 s16, 0
.LBB57_193:                             ; =>This Inner Loop Header: Depth=1
	scratch_load_b32 v122, off, s0
	v_dual_mov_b32 v123, s17 :: v_dual_add_nc_u32 v121, -1, v121
	s_add_co_i32 s17, s17, 4
	s_wait_xcnt 0x0
	s_add_co_i32 s0, s0, 4
	ds_load_b32 v123, v123
	v_cmp_eq_u32_e32 vcc_lo, 0, v121
	s_or_b32 s16, vcc_lo, s16
	s_wait_loadcnt_dscnt 0x0
	v_fmac_f32_e32 v120, v122, v123
	s_and_not1_b32 exec_lo, exec_lo, s16
	s_cbranch_execnz .LBB57_193
; %bb.194:
	s_or_b32 exec_lo, exec_lo, s16
.LBB57_195:
	s_delay_alu instid0(SALU_CYCLE_1)
	s_or_b32 exec_lo, exec_lo, s15
	v_mov_b32_e32 v121, 0
	ds_load_b32 v121, v121 offset:148
	s_wait_dscnt 0x0
	v_mul_f32_e32 v120, v120, v121
	scratch_store_b32 off, v120, off offset:148
.LBB57_196:
	;; [unrolled: 58-line block ×3, first 2 shown]
	s_wait_xcnt 0x0
	s_or_b32 exec_lo, exec_lo, s14
	scratch_load_b32 v120, off, off offset:140
	v_cmp_lt_u32_e64 s1, 35, v0
	s_wait_loadcnt 0x0
	ds_store_b32 v1, v120
	s_wait_storecnt_dscnt 0x0
	s_barrier_signal -1
	s_barrier_wait -1
	s_wait_xcnt 0x0
	s_and_saveexec_b32 s14, s1
	s_cbranch_execz .LBB57_216
; %bb.207:
	s_and_not1_b32 vcc_lo, exec_lo, s3
	s_cbranch_vccnz .LBB57_209
; %bb.208:
	scratch_load_b32 v120, v7, off
	ds_load_b32 v121, v1
	s_wait_loadcnt_dscnt 0x0
	v_mul_f32_e32 v120, v120, v121
	s_cbranch_execz .LBB57_210
	s_branch .LBB57_211
.LBB57_209:
                                        ; implicit-def: $vgpr120
.LBB57_210:
	ds_load_b32 v120, v1
.LBB57_211:
	s_and_saveexec_b32 s15, s0
	s_cbranch_execz .LBB57_215
; %bb.212:
	v_subrev_nc_u32_e32 v121, 36, v0
	s_movk_i32 s16, 0x180
	s_mov_b32 s0, 0
.LBB57_213:                             ; =>This Inner Loop Header: Depth=1
	scratch_load_b32 v122, off, s13
	v_dual_mov_b32 v123, s16 :: v_dual_add_nc_u32 v121, -1, v121
	s_add_co_i32 s16, s16, 4
	s_wait_xcnt 0x0
	s_add_co_i32 s13, s13, 4
	ds_load_b32 v123, v123
	v_cmp_eq_u32_e32 vcc_lo, 0, v121
	s_or_b32 s0, vcc_lo, s0
	s_wait_loadcnt_dscnt 0x0
	v_fmac_f32_e32 v120, v122, v123
	s_and_not1_b32 exec_lo, exec_lo, s0
	s_cbranch_execnz .LBB57_213
; %bb.214:
	s_or_b32 exec_lo, exec_lo, s0
.LBB57_215:
	s_delay_alu instid0(SALU_CYCLE_1)
	s_or_b32 exec_lo, exec_lo, s15
	v_mov_b32_e32 v121, 0
	ds_load_b32 v121, v121 offset:140
	s_wait_dscnt 0x0
	v_mul_f32_e32 v120, v120, v121
	scratch_store_b32 off, v120, off offset:140
.LBB57_216:
	s_wait_xcnt 0x0
	s_or_b32 exec_lo, exec_lo, s14
	scratch_load_b32 v120, off, off offset:136
	v_cmp_lt_u32_e64 s0, 34, v0
	s_wait_loadcnt 0x0
	ds_store_b32 v1, v120
	s_wait_storecnt_dscnt 0x0
	s_barrier_signal -1
	s_barrier_wait -1
	s_wait_xcnt 0x0
	s_and_saveexec_b32 s13, s0
	s_cbranch_execz .LBB57_226
; %bb.217:
	s_and_not1_b32 vcc_lo, exec_lo, s3
	s_cbranch_vccnz .LBB57_219
; %bb.218:
	scratch_load_b32 v120, v7, off
	ds_load_b32 v121, v1
	s_wait_loadcnt_dscnt 0x0
	v_mul_f32_e32 v120, v120, v121
	s_cbranch_execz .LBB57_220
	s_branch .LBB57_221
.LBB57_219:
                                        ; implicit-def: $vgpr120
.LBB57_220:
	ds_load_b32 v120, v1
.LBB57_221:
	s_and_saveexec_b32 s14, s1
	s_cbranch_execz .LBB57_225
; %bb.222:
	v_subrev_nc_u32_e32 v121, 35, v0
	s_movk_i32 s1, 0x8c
	s_movk_i32 s16, 0x17c
	s_mov_b32 s15, 0
.LBB57_223:                             ; =>This Inner Loop Header: Depth=1
	scratch_load_b32 v122, off, s1
	v_dual_mov_b32 v123, s16 :: v_dual_add_nc_u32 v121, -1, v121
	s_add_co_i32 s16, s16, 4
	s_wait_xcnt 0x0
	s_add_co_i32 s1, s1, 4
	ds_load_b32 v123, v123
	v_cmp_eq_u32_e32 vcc_lo, 0, v121
	s_or_b32 s15, vcc_lo, s15
	s_wait_loadcnt_dscnt 0x0
	v_fmac_f32_e32 v120, v122, v123
	s_and_not1_b32 exec_lo, exec_lo, s15
	s_cbranch_execnz .LBB57_223
; %bb.224:
	s_or_b32 exec_lo, exec_lo, s15
.LBB57_225:
	s_delay_alu instid0(SALU_CYCLE_1)
	s_or_b32 exec_lo, exec_lo, s14
	v_mov_b32_e32 v121, 0
	ds_load_b32 v121, v121 offset:136
	s_wait_dscnt 0x0
	v_mul_f32_e32 v120, v120, v121
	scratch_store_b32 off, v120, off offset:136
.LBB57_226:
	s_wait_xcnt 0x0
	s_or_b32 exec_lo, exec_lo, s13
	scratch_load_b32 v120, off, off offset:132
	v_cmp_lt_u32_e64 s1, 33, v0
	s_wait_loadcnt 0x0
	ds_store_b32 v1, v120
	s_wait_storecnt_dscnt 0x0
	s_barrier_signal -1
	s_barrier_wait -1
	s_wait_xcnt 0x0
	s_and_saveexec_b32 s13, s1
	s_cbranch_execz .LBB57_236
; %bb.227:
	s_and_not1_b32 vcc_lo, exec_lo, s3
	s_cbranch_vccnz .LBB57_229
; %bb.228:
	scratch_load_b32 v120, v7, off
	ds_load_b32 v121, v1
	s_wait_loadcnt_dscnt 0x0
	v_mul_f32_e32 v120, v120, v121
	s_cbranch_execz .LBB57_230
	s_branch .LBB57_231
.LBB57_229:
                                        ; implicit-def: $vgpr120
.LBB57_230:
	ds_load_b32 v120, v1
.LBB57_231:
	s_and_saveexec_b32 s14, s0
	s_cbranch_execz .LBB57_235
; %bb.232:
	v_subrev_nc_u32_e32 v121, 34, v0
	s_movk_i32 s0, 0x88
	s_movk_i32 s16, 0x178
	s_mov_b32 s15, 0
.LBB57_233:                             ; =>This Inner Loop Header: Depth=1
	scratch_load_b32 v122, off, s0
	v_dual_mov_b32 v123, s16 :: v_dual_add_nc_u32 v121, -1, v121
	s_add_co_i32 s16, s16, 4
	s_wait_xcnt 0x0
	s_add_co_i32 s0, s0, 4
	ds_load_b32 v123, v123
	v_cmp_eq_u32_e32 vcc_lo, 0, v121
	s_or_b32 s15, vcc_lo, s15
	s_wait_loadcnt_dscnt 0x0
	v_fmac_f32_e32 v120, v122, v123
	s_and_not1_b32 exec_lo, exec_lo, s15
	s_cbranch_execnz .LBB57_233
; %bb.234:
	s_or_b32 exec_lo, exec_lo, s15
.LBB57_235:
	s_delay_alu instid0(SALU_CYCLE_1)
	s_or_b32 exec_lo, exec_lo, s14
	v_mov_b32_e32 v121, 0
	ds_load_b32 v121, v121 offset:132
	s_wait_dscnt 0x0
	v_mul_f32_e32 v120, v120, v121
	scratch_store_b32 off, v120, off offset:132
.LBB57_236:
	;; [unrolled: 58-line block ×3, first 2 shown]
	s_wait_xcnt 0x0
	s_or_b32 exec_lo, exec_lo, s13
	scratch_load_b32 v120, off, off offset:124
	v_cmp_lt_u32_e64 s1, 31, v0
	s_wait_loadcnt 0x0
	ds_store_b32 v1, v120
	s_wait_storecnt_dscnt 0x0
	s_barrier_signal -1
	s_barrier_wait -1
	s_wait_xcnt 0x0
	s_and_saveexec_b32 s13, s1
	s_cbranch_execz .LBB57_256
; %bb.247:
	s_and_not1_b32 vcc_lo, exec_lo, s3
	s_cbranch_vccnz .LBB57_249
; %bb.248:
	scratch_load_b32 v120, v7, off
	ds_load_b32 v121, v1
	s_wait_loadcnt_dscnt 0x0
	v_mul_f32_e32 v120, v120, v121
	s_cbranch_execz .LBB57_250
	s_branch .LBB57_251
.LBB57_249:
                                        ; implicit-def: $vgpr120
.LBB57_250:
	ds_load_b32 v120, v1
.LBB57_251:
	s_and_saveexec_b32 s14, s0
	s_cbranch_execz .LBB57_255
; %bb.252:
	v_subrev_nc_u32_e32 v121, 32, v0
	s_movk_i32 s15, 0x170
	s_mov_b32 s0, 0
.LBB57_253:                             ; =>This Inner Loop Header: Depth=1
	scratch_load_b32 v122, off, s12
	v_dual_mov_b32 v123, s15 :: v_dual_add_nc_u32 v121, -1, v121
	s_add_co_i32 s15, s15, 4
	s_wait_xcnt 0x0
	s_add_co_i32 s12, s12, 4
	ds_load_b32 v123, v123
	v_cmp_eq_u32_e32 vcc_lo, 0, v121
	s_or_b32 s0, vcc_lo, s0
	s_wait_loadcnt_dscnt 0x0
	v_fmac_f32_e32 v120, v122, v123
	s_and_not1_b32 exec_lo, exec_lo, s0
	s_cbranch_execnz .LBB57_253
; %bb.254:
	s_or_b32 exec_lo, exec_lo, s0
.LBB57_255:
	s_delay_alu instid0(SALU_CYCLE_1)
	s_or_b32 exec_lo, exec_lo, s14
	v_mov_b32_e32 v121, 0
	ds_load_b32 v121, v121 offset:124
	s_wait_dscnt 0x0
	v_mul_f32_e32 v120, v120, v121
	scratch_store_b32 off, v120, off offset:124
.LBB57_256:
	s_wait_xcnt 0x0
	s_or_b32 exec_lo, exec_lo, s13
	scratch_load_b32 v120, off, off offset:120
	v_cmp_lt_u32_e64 s0, 30, v0
	s_wait_loadcnt 0x0
	ds_store_b32 v1, v120
	s_wait_storecnt_dscnt 0x0
	s_barrier_signal -1
	s_barrier_wait -1
	s_wait_xcnt 0x0
	s_and_saveexec_b32 s12, s0
	s_cbranch_execz .LBB57_266
; %bb.257:
	s_and_not1_b32 vcc_lo, exec_lo, s3
	s_cbranch_vccnz .LBB57_259
; %bb.258:
	scratch_load_b32 v120, v7, off
	ds_load_b32 v121, v1
	s_wait_loadcnt_dscnt 0x0
	v_mul_f32_e32 v120, v120, v121
	s_cbranch_execz .LBB57_260
	s_branch .LBB57_261
.LBB57_259:
                                        ; implicit-def: $vgpr120
.LBB57_260:
	ds_load_b32 v120, v1
.LBB57_261:
	s_and_saveexec_b32 s13, s1
	s_cbranch_execz .LBB57_265
; %bb.262:
	v_subrev_nc_u32_e32 v121, 31, v0
	s_movk_i32 s1, 0x7c
	s_movk_i32 s15, 0x16c
	s_mov_b32 s14, 0
.LBB57_263:                             ; =>This Inner Loop Header: Depth=1
	scratch_load_b32 v122, off, s1
	v_dual_mov_b32 v123, s15 :: v_dual_add_nc_u32 v121, -1, v121
	s_add_co_i32 s15, s15, 4
	s_wait_xcnt 0x0
	s_add_co_i32 s1, s1, 4
	ds_load_b32 v123, v123
	v_cmp_eq_u32_e32 vcc_lo, 0, v121
	s_or_b32 s14, vcc_lo, s14
	s_wait_loadcnt_dscnt 0x0
	v_fmac_f32_e32 v120, v122, v123
	s_and_not1_b32 exec_lo, exec_lo, s14
	s_cbranch_execnz .LBB57_263
; %bb.264:
	s_or_b32 exec_lo, exec_lo, s14
.LBB57_265:
	s_delay_alu instid0(SALU_CYCLE_1)
	s_or_b32 exec_lo, exec_lo, s13
	v_mov_b32_e32 v121, 0
	ds_load_b32 v121, v121 offset:120
	s_wait_dscnt 0x0
	v_mul_f32_e32 v120, v120, v121
	scratch_store_b32 off, v120, off offset:120
.LBB57_266:
	s_wait_xcnt 0x0
	s_or_b32 exec_lo, exec_lo, s12
	scratch_load_b32 v120, off, off offset:116
	v_cmp_lt_u32_e64 s1, 29, v0
	s_wait_loadcnt 0x0
	ds_store_b32 v1, v120
	s_wait_storecnt_dscnt 0x0
	s_barrier_signal -1
	s_barrier_wait -1
	s_wait_xcnt 0x0
	s_and_saveexec_b32 s12, s1
	s_cbranch_execz .LBB57_276
; %bb.267:
	s_and_not1_b32 vcc_lo, exec_lo, s3
	s_cbranch_vccnz .LBB57_269
; %bb.268:
	scratch_load_b32 v120, v7, off
	ds_load_b32 v121, v1
	s_wait_loadcnt_dscnt 0x0
	v_mul_f32_e32 v120, v120, v121
	s_cbranch_execz .LBB57_270
	s_branch .LBB57_271
.LBB57_269:
                                        ; implicit-def: $vgpr120
.LBB57_270:
	ds_load_b32 v120, v1
.LBB57_271:
	s_and_saveexec_b32 s13, s0
	s_cbranch_execz .LBB57_275
; %bb.272:
	v_subrev_nc_u32_e32 v121, 30, v0
	s_movk_i32 s0, 0x78
	s_movk_i32 s15, 0x168
	s_mov_b32 s14, 0
.LBB57_273:                             ; =>This Inner Loop Header: Depth=1
	scratch_load_b32 v122, off, s0
	v_dual_mov_b32 v123, s15 :: v_dual_add_nc_u32 v121, -1, v121
	s_add_co_i32 s15, s15, 4
	s_wait_xcnt 0x0
	s_add_co_i32 s0, s0, 4
	ds_load_b32 v123, v123
	v_cmp_eq_u32_e32 vcc_lo, 0, v121
	s_or_b32 s14, vcc_lo, s14
	s_wait_loadcnt_dscnt 0x0
	v_fmac_f32_e32 v120, v122, v123
	s_and_not1_b32 exec_lo, exec_lo, s14
	s_cbranch_execnz .LBB57_273
; %bb.274:
	s_or_b32 exec_lo, exec_lo, s14
.LBB57_275:
	s_delay_alu instid0(SALU_CYCLE_1)
	s_or_b32 exec_lo, exec_lo, s13
	v_mov_b32_e32 v121, 0
	ds_load_b32 v121, v121 offset:116
	s_wait_dscnt 0x0
	v_mul_f32_e32 v120, v120, v121
	scratch_store_b32 off, v120, off offset:116
.LBB57_276:
	;; [unrolled: 58-line block ×3, first 2 shown]
	s_wait_xcnt 0x0
	s_or_b32 exec_lo, exec_lo, s12
	scratch_load_b32 v120, off, off offset:108
	v_cmp_lt_u32_e64 s1, 27, v0
	s_wait_loadcnt 0x0
	ds_store_b32 v1, v120
	s_wait_storecnt_dscnt 0x0
	s_barrier_signal -1
	s_barrier_wait -1
	s_wait_xcnt 0x0
	s_and_saveexec_b32 s12, s1
	s_cbranch_execz .LBB57_296
; %bb.287:
	s_and_not1_b32 vcc_lo, exec_lo, s3
	s_cbranch_vccnz .LBB57_289
; %bb.288:
	scratch_load_b32 v120, v7, off
	ds_load_b32 v121, v1
	s_wait_loadcnt_dscnt 0x0
	v_mul_f32_e32 v120, v120, v121
	s_cbranch_execz .LBB57_290
	s_branch .LBB57_291
.LBB57_289:
                                        ; implicit-def: $vgpr120
.LBB57_290:
	ds_load_b32 v120, v1
.LBB57_291:
	s_and_saveexec_b32 s13, s0
	s_cbranch_execz .LBB57_295
; %bb.292:
	v_subrev_nc_u32_e32 v121, 28, v0
	s_movk_i32 s14, 0x160
	s_mov_b32 s0, 0
.LBB57_293:                             ; =>This Inner Loop Header: Depth=1
	scratch_load_b32 v122, off, s11
	v_dual_mov_b32 v123, s14 :: v_dual_add_nc_u32 v121, -1, v121
	s_add_co_i32 s14, s14, 4
	s_wait_xcnt 0x0
	s_add_co_i32 s11, s11, 4
	ds_load_b32 v123, v123
	v_cmp_eq_u32_e32 vcc_lo, 0, v121
	s_or_b32 s0, vcc_lo, s0
	s_wait_loadcnt_dscnt 0x0
	v_fmac_f32_e32 v120, v122, v123
	s_and_not1_b32 exec_lo, exec_lo, s0
	s_cbranch_execnz .LBB57_293
; %bb.294:
	s_or_b32 exec_lo, exec_lo, s0
.LBB57_295:
	s_delay_alu instid0(SALU_CYCLE_1)
	s_or_b32 exec_lo, exec_lo, s13
	v_mov_b32_e32 v121, 0
	ds_load_b32 v121, v121 offset:108
	s_wait_dscnt 0x0
	v_mul_f32_e32 v120, v120, v121
	scratch_store_b32 off, v120, off offset:108
.LBB57_296:
	s_wait_xcnt 0x0
	s_or_b32 exec_lo, exec_lo, s12
	scratch_load_b32 v120, off, off offset:104
	v_cmp_lt_u32_e64 s0, 26, v0
	s_wait_loadcnt 0x0
	ds_store_b32 v1, v120
	s_wait_storecnt_dscnt 0x0
	s_barrier_signal -1
	s_barrier_wait -1
	s_wait_xcnt 0x0
	s_and_saveexec_b32 s11, s0
	s_cbranch_execz .LBB57_306
; %bb.297:
	s_and_not1_b32 vcc_lo, exec_lo, s3
	s_cbranch_vccnz .LBB57_299
; %bb.298:
	scratch_load_b32 v120, v7, off
	ds_load_b32 v121, v1
	s_wait_loadcnt_dscnt 0x0
	v_mul_f32_e32 v120, v120, v121
	s_cbranch_execz .LBB57_300
	s_branch .LBB57_301
.LBB57_299:
                                        ; implicit-def: $vgpr120
.LBB57_300:
	ds_load_b32 v120, v1
.LBB57_301:
	s_and_saveexec_b32 s12, s1
	s_cbranch_execz .LBB57_305
; %bb.302:
	v_subrev_nc_u32_e32 v121, 27, v0
	s_movk_i32 s1, 0x6c
	s_movk_i32 s14, 0x15c
	s_mov_b32 s13, 0
.LBB57_303:                             ; =>This Inner Loop Header: Depth=1
	scratch_load_b32 v122, off, s1
	v_dual_mov_b32 v123, s14 :: v_dual_add_nc_u32 v121, -1, v121
	s_add_co_i32 s14, s14, 4
	s_wait_xcnt 0x0
	s_add_co_i32 s1, s1, 4
	ds_load_b32 v123, v123
	v_cmp_eq_u32_e32 vcc_lo, 0, v121
	s_or_b32 s13, vcc_lo, s13
	s_wait_loadcnt_dscnt 0x0
	v_fmac_f32_e32 v120, v122, v123
	s_and_not1_b32 exec_lo, exec_lo, s13
	s_cbranch_execnz .LBB57_303
; %bb.304:
	s_or_b32 exec_lo, exec_lo, s13
.LBB57_305:
	s_delay_alu instid0(SALU_CYCLE_1)
	s_or_b32 exec_lo, exec_lo, s12
	v_mov_b32_e32 v121, 0
	ds_load_b32 v121, v121 offset:104
	s_wait_dscnt 0x0
	v_mul_f32_e32 v120, v120, v121
	scratch_store_b32 off, v120, off offset:104
.LBB57_306:
	s_wait_xcnt 0x0
	s_or_b32 exec_lo, exec_lo, s11
	scratch_load_b32 v120, off, off offset:100
	v_cmp_lt_u32_e64 s1, 25, v0
	s_wait_loadcnt 0x0
	ds_store_b32 v1, v120
	s_wait_storecnt_dscnt 0x0
	s_barrier_signal -1
	s_barrier_wait -1
	s_wait_xcnt 0x0
	s_and_saveexec_b32 s11, s1
	s_cbranch_execz .LBB57_316
; %bb.307:
	s_and_not1_b32 vcc_lo, exec_lo, s3
	s_cbranch_vccnz .LBB57_309
; %bb.308:
	scratch_load_b32 v120, v7, off
	ds_load_b32 v121, v1
	s_wait_loadcnt_dscnt 0x0
	v_mul_f32_e32 v120, v120, v121
	s_cbranch_execz .LBB57_310
	s_branch .LBB57_311
.LBB57_309:
                                        ; implicit-def: $vgpr120
.LBB57_310:
	ds_load_b32 v120, v1
.LBB57_311:
	s_and_saveexec_b32 s12, s0
	s_cbranch_execz .LBB57_315
; %bb.312:
	v_subrev_nc_u32_e32 v121, 26, v0
	s_movk_i32 s0, 0x68
	s_movk_i32 s14, 0x158
	s_mov_b32 s13, 0
.LBB57_313:                             ; =>This Inner Loop Header: Depth=1
	scratch_load_b32 v122, off, s0
	v_dual_mov_b32 v123, s14 :: v_dual_add_nc_u32 v121, -1, v121
	s_add_co_i32 s14, s14, 4
	s_wait_xcnt 0x0
	s_add_co_i32 s0, s0, 4
	ds_load_b32 v123, v123
	v_cmp_eq_u32_e32 vcc_lo, 0, v121
	s_or_b32 s13, vcc_lo, s13
	s_wait_loadcnt_dscnt 0x0
	v_fmac_f32_e32 v120, v122, v123
	s_and_not1_b32 exec_lo, exec_lo, s13
	s_cbranch_execnz .LBB57_313
; %bb.314:
	s_or_b32 exec_lo, exec_lo, s13
.LBB57_315:
	s_delay_alu instid0(SALU_CYCLE_1)
	s_or_b32 exec_lo, exec_lo, s12
	v_mov_b32_e32 v121, 0
	ds_load_b32 v121, v121 offset:100
	s_wait_dscnt 0x0
	v_mul_f32_e32 v120, v120, v121
	scratch_store_b32 off, v120, off offset:100
.LBB57_316:
	s_wait_xcnt 0x0
	s_or_b32 exec_lo, exec_lo, s11
	scratch_load_b32 v120, off, off offset:96
	v_cmp_lt_u32_e64 s0, 24, v0
	s_wait_loadcnt 0x0
	ds_store_b32 v1, v120
	s_wait_storecnt_dscnt 0x0
	s_barrier_signal -1
	s_barrier_wait -1
	s_wait_xcnt 0x0
	s_and_saveexec_b32 s11, s0
	s_cbranch_execz .LBB57_326
; %bb.317:
	s_and_not1_b32 vcc_lo, exec_lo, s3
	s_cbranch_vccnz .LBB57_319
; %bb.318:
	scratch_load_b32 v120, v7, off
	ds_load_b32 v121, v1
	s_wait_loadcnt_dscnt 0x0
	v_mul_f32_e32 v120, v120, v121
	s_cbranch_execz .LBB57_320
	s_branch .LBB57_321
.LBB57_319:
                                        ; implicit-def: $vgpr120
.LBB57_320:
	ds_load_b32 v120, v1
.LBB57_321:
	s_and_saveexec_b32 s12, s1
	s_cbranch_execz .LBB57_325
; %bb.322:
	v_subrev_nc_u32_e32 v121, 25, v0
	s_movk_i32 s1, 0x64
	s_movk_i32 s14, 0x154
	s_mov_b32 s13, 0
.LBB57_323:                             ; =>This Inner Loop Header: Depth=1
	scratch_load_b32 v122, off, s1
	v_dual_mov_b32 v123, s14 :: v_dual_add_nc_u32 v121, -1, v121
	s_add_co_i32 s14, s14, 4
	s_wait_xcnt 0x0
	s_add_co_i32 s1, s1, 4
	ds_load_b32 v123, v123
	v_cmp_eq_u32_e32 vcc_lo, 0, v121
	s_or_b32 s13, vcc_lo, s13
	s_wait_loadcnt_dscnt 0x0
	v_fmac_f32_e32 v120, v122, v123
	s_and_not1_b32 exec_lo, exec_lo, s13
	s_cbranch_execnz .LBB57_323
; %bb.324:
	s_or_b32 exec_lo, exec_lo, s13
.LBB57_325:
	s_delay_alu instid0(SALU_CYCLE_1)
	s_or_b32 exec_lo, exec_lo, s12
	v_mov_b32_e32 v121, 0
	ds_load_b32 v121, v121 offset:96
	s_wait_dscnt 0x0
	v_mul_f32_e32 v120, v120, v121
	scratch_store_b32 off, v120, off offset:96
.LBB57_326:
	s_wait_xcnt 0x0
	s_or_b32 exec_lo, exec_lo, s11
	scratch_load_b32 v120, off, off offset:92
	v_cmp_lt_u32_e64 s1, 23, v0
	s_wait_loadcnt 0x0
	ds_store_b32 v1, v120
	s_wait_storecnt_dscnt 0x0
	s_barrier_signal -1
	s_barrier_wait -1
	s_wait_xcnt 0x0
	s_and_saveexec_b32 s11, s1
	s_cbranch_execz .LBB57_336
; %bb.327:
	s_and_not1_b32 vcc_lo, exec_lo, s3
	s_cbranch_vccnz .LBB57_329
; %bb.328:
	scratch_load_b32 v120, v7, off
	ds_load_b32 v121, v1
	s_wait_loadcnt_dscnt 0x0
	v_mul_f32_e32 v120, v120, v121
	s_cbranch_execz .LBB57_330
	s_branch .LBB57_331
.LBB57_329:
                                        ; implicit-def: $vgpr120
.LBB57_330:
	ds_load_b32 v120, v1
.LBB57_331:
	s_and_saveexec_b32 s12, s0
	s_cbranch_execz .LBB57_335
; %bb.332:
	v_subrev_nc_u32_e32 v121, 24, v0
	s_movk_i32 s13, 0x150
	s_mov_b32 s0, 0
.LBB57_333:                             ; =>This Inner Loop Header: Depth=1
	scratch_load_b32 v122, off, s10
	v_dual_mov_b32 v123, s13 :: v_dual_add_nc_u32 v121, -1, v121
	s_add_co_i32 s13, s13, 4
	s_wait_xcnt 0x0
	s_add_co_i32 s10, s10, 4
	ds_load_b32 v123, v123
	v_cmp_eq_u32_e32 vcc_lo, 0, v121
	s_or_b32 s0, vcc_lo, s0
	s_wait_loadcnt_dscnt 0x0
	v_fmac_f32_e32 v120, v122, v123
	s_and_not1_b32 exec_lo, exec_lo, s0
	s_cbranch_execnz .LBB57_333
; %bb.334:
	s_or_b32 exec_lo, exec_lo, s0
.LBB57_335:
	s_delay_alu instid0(SALU_CYCLE_1)
	s_or_b32 exec_lo, exec_lo, s12
	v_mov_b32_e32 v121, 0
	ds_load_b32 v121, v121 offset:92
	s_wait_dscnt 0x0
	v_mul_f32_e32 v120, v120, v121
	scratch_store_b32 off, v120, off offset:92
.LBB57_336:
	s_wait_xcnt 0x0
	s_or_b32 exec_lo, exec_lo, s11
	scratch_load_b32 v120, off, off offset:88
	v_cmp_lt_u32_e64 s0, 22, v0
	s_wait_loadcnt 0x0
	ds_store_b32 v1, v120
	s_wait_storecnt_dscnt 0x0
	s_barrier_signal -1
	s_barrier_wait -1
	s_wait_xcnt 0x0
	s_and_saveexec_b32 s10, s0
	s_cbranch_execz .LBB57_346
; %bb.337:
	s_and_not1_b32 vcc_lo, exec_lo, s3
	s_cbranch_vccnz .LBB57_339
; %bb.338:
	scratch_load_b32 v120, v7, off
	ds_load_b32 v121, v1
	s_wait_loadcnt_dscnt 0x0
	v_mul_f32_e32 v120, v120, v121
	s_cbranch_execz .LBB57_340
	s_branch .LBB57_341
.LBB57_339:
                                        ; implicit-def: $vgpr120
.LBB57_340:
	ds_load_b32 v120, v1
.LBB57_341:
	s_and_saveexec_b32 s11, s1
	s_cbranch_execz .LBB57_345
; %bb.342:
	v_subrev_nc_u32_e32 v121, 23, v0
	s_movk_i32 s1, 0x5c
	s_movk_i32 s13, 0x14c
	s_mov_b32 s12, 0
.LBB57_343:                             ; =>This Inner Loop Header: Depth=1
	scratch_load_b32 v122, off, s1
	v_dual_mov_b32 v123, s13 :: v_dual_add_nc_u32 v121, -1, v121
	s_add_co_i32 s13, s13, 4
	s_wait_xcnt 0x0
	s_add_co_i32 s1, s1, 4
	ds_load_b32 v123, v123
	v_cmp_eq_u32_e32 vcc_lo, 0, v121
	s_or_b32 s12, vcc_lo, s12
	s_wait_loadcnt_dscnt 0x0
	v_fmac_f32_e32 v120, v122, v123
	s_and_not1_b32 exec_lo, exec_lo, s12
	s_cbranch_execnz .LBB57_343
; %bb.344:
	s_or_b32 exec_lo, exec_lo, s12
.LBB57_345:
	s_delay_alu instid0(SALU_CYCLE_1)
	s_or_b32 exec_lo, exec_lo, s11
	v_mov_b32_e32 v121, 0
	ds_load_b32 v121, v121 offset:88
	s_wait_dscnt 0x0
	v_mul_f32_e32 v120, v120, v121
	scratch_store_b32 off, v120, off offset:88
.LBB57_346:
	s_wait_xcnt 0x0
	s_or_b32 exec_lo, exec_lo, s10
	scratch_load_b32 v120, off, off offset:84
	v_cmp_lt_u32_e64 s1, 21, v0
	s_wait_loadcnt 0x0
	ds_store_b32 v1, v120
	s_wait_storecnt_dscnt 0x0
	s_barrier_signal -1
	s_barrier_wait -1
	s_wait_xcnt 0x0
	s_and_saveexec_b32 s10, s1
	s_cbranch_execz .LBB57_356
; %bb.347:
	s_and_not1_b32 vcc_lo, exec_lo, s3
	s_cbranch_vccnz .LBB57_349
; %bb.348:
	scratch_load_b32 v120, v7, off
	ds_load_b32 v121, v1
	s_wait_loadcnt_dscnt 0x0
	v_mul_f32_e32 v120, v120, v121
	s_cbranch_execz .LBB57_350
	s_branch .LBB57_351
.LBB57_349:
                                        ; implicit-def: $vgpr120
.LBB57_350:
	ds_load_b32 v120, v1
.LBB57_351:
	s_and_saveexec_b32 s11, s0
	s_cbranch_execz .LBB57_355
; %bb.352:
	v_subrev_nc_u32_e32 v121, 22, v0
	s_movk_i32 s0, 0x58
	s_movk_i32 s13, 0x148
	s_mov_b32 s12, 0
.LBB57_353:                             ; =>This Inner Loop Header: Depth=1
	scratch_load_b32 v122, off, s0
	v_dual_mov_b32 v123, s13 :: v_dual_add_nc_u32 v121, -1, v121
	s_add_co_i32 s13, s13, 4
	s_wait_xcnt 0x0
	s_add_co_i32 s0, s0, 4
	ds_load_b32 v123, v123
	v_cmp_eq_u32_e32 vcc_lo, 0, v121
	s_or_b32 s12, vcc_lo, s12
	s_wait_loadcnt_dscnt 0x0
	v_fmac_f32_e32 v120, v122, v123
	s_and_not1_b32 exec_lo, exec_lo, s12
	s_cbranch_execnz .LBB57_353
; %bb.354:
	s_or_b32 exec_lo, exec_lo, s12
.LBB57_355:
	s_delay_alu instid0(SALU_CYCLE_1)
	s_or_b32 exec_lo, exec_lo, s11
	v_mov_b32_e32 v121, 0
	ds_load_b32 v121, v121 offset:84
	s_wait_dscnt 0x0
	v_mul_f32_e32 v120, v120, v121
	scratch_store_b32 off, v120, off offset:84
.LBB57_356:
	;; [unrolled: 58-line block ×3, first 2 shown]
	s_wait_xcnt 0x0
	s_or_b32 exec_lo, exec_lo, s10
	scratch_load_b32 v120, off, off offset:76
	v_cmp_lt_u32_e64 s1, 19, v0
	s_wait_loadcnt 0x0
	ds_store_b32 v1, v120
	s_wait_storecnt_dscnt 0x0
	s_barrier_signal -1
	s_barrier_wait -1
	s_wait_xcnt 0x0
	s_and_saveexec_b32 s10, s1
	s_cbranch_execz .LBB57_376
; %bb.367:
	s_and_not1_b32 vcc_lo, exec_lo, s3
	s_cbranch_vccnz .LBB57_369
; %bb.368:
	scratch_load_b32 v120, v7, off
	ds_load_b32 v121, v1
	s_wait_loadcnt_dscnt 0x0
	v_mul_f32_e32 v120, v120, v121
	s_cbranch_execz .LBB57_370
	s_branch .LBB57_371
.LBB57_369:
                                        ; implicit-def: $vgpr120
.LBB57_370:
	ds_load_b32 v120, v1
.LBB57_371:
	s_and_saveexec_b32 s11, s0
	s_cbranch_execz .LBB57_375
; %bb.372:
	v_subrev_nc_u32_e32 v121, 20, v0
	s_movk_i32 s12, 0x140
	s_mov_b32 s0, 0
.LBB57_373:                             ; =>This Inner Loop Header: Depth=1
	scratch_load_b32 v122, off, s9
	v_dual_mov_b32 v123, s12 :: v_dual_add_nc_u32 v121, -1, v121
	s_add_co_i32 s12, s12, 4
	s_wait_xcnt 0x0
	s_add_co_i32 s9, s9, 4
	ds_load_b32 v123, v123
	v_cmp_eq_u32_e32 vcc_lo, 0, v121
	s_or_b32 s0, vcc_lo, s0
	s_wait_loadcnt_dscnt 0x0
	v_fmac_f32_e32 v120, v122, v123
	s_and_not1_b32 exec_lo, exec_lo, s0
	s_cbranch_execnz .LBB57_373
; %bb.374:
	s_or_b32 exec_lo, exec_lo, s0
.LBB57_375:
	s_delay_alu instid0(SALU_CYCLE_1)
	s_or_b32 exec_lo, exec_lo, s11
	v_mov_b32_e32 v121, 0
	ds_load_b32 v121, v121 offset:76
	s_wait_dscnt 0x0
	v_mul_f32_e32 v120, v120, v121
	scratch_store_b32 off, v120, off offset:76
.LBB57_376:
	s_wait_xcnt 0x0
	s_or_b32 exec_lo, exec_lo, s10
	scratch_load_b32 v120, off, off offset:72
	v_cmp_lt_u32_e64 s0, 18, v0
	s_wait_loadcnt 0x0
	ds_store_b32 v1, v120
	s_wait_storecnt_dscnt 0x0
	s_barrier_signal -1
	s_barrier_wait -1
	s_wait_xcnt 0x0
	s_and_saveexec_b32 s9, s0
	s_cbranch_execz .LBB57_386
; %bb.377:
	s_and_not1_b32 vcc_lo, exec_lo, s3
	s_cbranch_vccnz .LBB57_379
; %bb.378:
	scratch_load_b32 v120, v7, off
	ds_load_b32 v121, v1
	s_wait_loadcnt_dscnt 0x0
	v_mul_f32_e32 v120, v120, v121
	s_cbranch_execz .LBB57_380
	s_branch .LBB57_381
.LBB57_379:
                                        ; implicit-def: $vgpr120
.LBB57_380:
	ds_load_b32 v120, v1
.LBB57_381:
	s_and_saveexec_b32 s10, s1
	s_cbranch_execz .LBB57_385
; %bb.382:
	v_subrev_nc_u32_e32 v121, 19, v0
	s_movk_i32 s1, 0x4c
	s_movk_i32 s12, 0x13c
	s_mov_b32 s11, 0
.LBB57_383:                             ; =>This Inner Loop Header: Depth=1
	scratch_load_b32 v122, off, s1
	v_dual_mov_b32 v123, s12 :: v_dual_add_nc_u32 v121, -1, v121
	s_add_co_i32 s12, s12, 4
	s_wait_xcnt 0x0
	s_add_co_i32 s1, s1, 4
	ds_load_b32 v123, v123
	v_cmp_eq_u32_e32 vcc_lo, 0, v121
	s_or_b32 s11, vcc_lo, s11
	s_wait_loadcnt_dscnt 0x0
	v_fmac_f32_e32 v120, v122, v123
	s_and_not1_b32 exec_lo, exec_lo, s11
	s_cbranch_execnz .LBB57_383
; %bb.384:
	s_or_b32 exec_lo, exec_lo, s11
.LBB57_385:
	s_delay_alu instid0(SALU_CYCLE_1)
	s_or_b32 exec_lo, exec_lo, s10
	v_mov_b32_e32 v121, 0
	ds_load_b32 v121, v121 offset:72
	s_wait_dscnt 0x0
	v_mul_f32_e32 v120, v120, v121
	scratch_store_b32 off, v120, off offset:72
.LBB57_386:
	s_wait_xcnt 0x0
	s_or_b32 exec_lo, exec_lo, s9
	scratch_load_b32 v120, off, off offset:68
	v_cmp_lt_u32_e64 s1, 17, v0
	s_wait_loadcnt 0x0
	ds_store_b32 v1, v120
	s_wait_storecnt_dscnt 0x0
	s_barrier_signal -1
	s_barrier_wait -1
	s_wait_xcnt 0x0
	s_and_saveexec_b32 s9, s1
	s_cbranch_execz .LBB57_396
; %bb.387:
	s_and_not1_b32 vcc_lo, exec_lo, s3
	s_cbranch_vccnz .LBB57_389
; %bb.388:
	scratch_load_b32 v120, v7, off
	ds_load_b32 v121, v1
	s_wait_loadcnt_dscnt 0x0
	v_mul_f32_e32 v120, v120, v121
	s_cbranch_execz .LBB57_390
	s_branch .LBB57_391
.LBB57_389:
                                        ; implicit-def: $vgpr120
.LBB57_390:
	ds_load_b32 v120, v1
.LBB57_391:
	s_and_saveexec_b32 s10, s0
	s_cbranch_execz .LBB57_395
; %bb.392:
	v_subrev_nc_u32_e32 v121, 18, v0
	s_movk_i32 s0, 0x48
	s_movk_i32 s12, 0x138
	s_mov_b32 s11, 0
.LBB57_393:                             ; =>This Inner Loop Header: Depth=1
	scratch_load_b32 v122, off, s0
	v_dual_mov_b32 v123, s12 :: v_dual_add_nc_u32 v121, -1, v121
	s_add_co_i32 s12, s12, 4
	s_wait_xcnt 0x0
	s_add_co_i32 s0, s0, 4
	ds_load_b32 v123, v123
	v_cmp_eq_u32_e32 vcc_lo, 0, v121
	s_or_b32 s11, vcc_lo, s11
	s_wait_loadcnt_dscnt 0x0
	v_fmac_f32_e32 v120, v122, v123
	s_and_not1_b32 exec_lo, exec_lo, s11
	s_cbranch_execnz .LBB57_393
; %bb.394:
	s_or_b32 exec_lo, exec_lo, s11
.LBB57_395:
	s_delay_alu instid0(SALU_CYCLE_1)
	s_or_b32 exec_lo, exec_lo, s10
	v_mov_b32_e32 v121, 0
	ds_load_b32 v121, v121 offset:68
	s_wait_dscnt 0x0
	v_mul_f32_e32 v120, v120, v121
	scratch_store_b32 off, v120, off offset:68
.LBB57_396:
	s_wait_xcnt 0x0
	s_or_b32 exec_lo, exec_lo, s9
	scratch_load_b32 v120, off, off offset:64
	v_cmp_lt_u32_e64 s0, 16, v0
	s_wait_loadcnt 0x0
	ds_store_b32 v1, v120
	s_wait_storecnt_dscnt 0x0
	s_barrier_signal -1
	s_barrier_wait -1
	s_wait_xcnt 0x0
	s_and_saveexec_b32 s9, s0
	s_cbranch_execz .LBB57_406
; %bb.397:
	s_and_not1_b32 vcc_lo, exec_lo, s3
	s_cbranch_vccnz .LBB57_399
; %bb.398:
	scratch_load_b32 v120, v7, off
	ds_load_b32 v121, v1
	s_wait_loadcnt_dscnt 0x0
	v_mul_f32_e32 v120, v120, v121
	s_cbranch_execz .LBB57_400
	s_branch .LBB57_401
.LBB57_399:
                                        ; implicit-def: $vgpr120
.LBB57_400:
	ds_load_b32 v120, v1
.LBB57_401:
	s_and_saveexec_b32 s10, s1
	s_cbranch_execz .LBB57_405
; %bb.402:
	v_subrev_nc_u32_e32 v121, 17, v0
	s_movk_i32 s1, 0x44
	s_movk_i32 s12, 0x134
	s_mov_b32 s11, 0
.LBB57_403:                             ; =>This Inner Loop Header: Depth=1
	scratch_load_b32 v122, off, s1
	v_dual_mov_b32 v123, s12 :: v_dual_add_nc_u32 v121, -1, v121
	s_add_co_i32 s12, s12, 4
	s_wait_xcnt 0x0
	s_add_co_i32 s1, s1, 4
	ds_load_b32 v123, v123
	v_cmp_eq_u32_e32 vcc_lo, 0, v121
	s_or_b32 s11, vcc_lo, s11
	s_wait_loadcnt_dscnt 0x0
	v_fmac_f32_e32 v120, v122, v123
	s_and_not1_b32 exec_lo, exec_lo, s11
	s_cbranch_execnz .LBB57_403
; %bb.404:
	s_or_b32 exec_lo, exec_lo, s11
.LBB57_405:
	s_delay_alu instid0(SALU_CYCLE_1)
	s_or_b32 exec_lo, exec_lo, s10
	v_mov_b32_e32 v121, 0
	ds_load_b32 v121, v121 offset:64
	s_wait_dscnt 0x0
	v_mul_f32_e32 v120, v120, v121
	scratch_store_b32 off, v120, off offset:64
.LBB57_406:
	s_wait_xcnt 0x0
	s_or_b32 exec_lo, exec_lo, s9
	scratch_load_b32 v120, off, off offset:60
	v_cmp_lt_u32_e64 s1, 15, v0
	s_wait_loadcnt 0x0
	ds_store_b32 v1, v120
	s_wait_storecnt_dscnt 0x0
	s_barrier_signal -1
	s_barrier_wait -1
	s_wait_xcnt 0x0
	s_and_saveexec_b32 s9, s1
	s_cbranch_execz .LBB57_416
; %bb.407:
	s_and_not1_b32 vcc_lo, exec_lo, s3
	s_cbranch_vccnz .LBB57_409
; %bb.408:
	scratch_load_b32 v120, v7, off
	ds_load_b32 v121, v1
	s_wait_loadcnt_dscnt 0x0
	v_mul_f32_e32 v120, v120, v121
	s_cbranch_execz .LBB57_410
	s_branch .LBB57_411
.LBB57_409:
                                        ; implicit-def: $vgpr120
.LBB57_410:
	ds_load_b32 v120, v1
.LBB57_411:
	s_and_saveexec_b32 s10, s0
	s_cbranch_execz .LBB57_415
; %bb.412:
	v_add_nc_u32_e32 v121, -16, v0
	s_movk_i32 s11, 0x130
	s_mov_b32 s0, 0
.LBB57_413:                             ; =>This Inner Loop Header: Depth=1
	scratch_load_b32 v122, off, s8
	v_dual_mov_b32 v123, s11 :: v_dual_add_nc_u32 v121, -1, v121
	s_add_co_i32 s11, s11, 4
	s_wait_xcnt 0x0
	s_add_co_i32 s8, s8, 4
	ds_load_b32 v123, v123
	v_cmp_eq_u32_e32 vcc_lo, 0, v121
	s_or_b32 s0, vcc_lo, s0
	s_wait_loadcnt_dscnt 0x0
	v_fmac_f32_e32 v120, v122, v123
	s_and_not1_b32 exec_lo, exec_lo, s0
	s_cbranch_execnz .LBB57_413
; %bb.414:
	s_or_b32 exec_lo, exec_lo, s0
.LBB57_415:
	s_delay_alu instid0(SALU_CYCLE_1)
	s_or_b32 exec_lo, exec_lo, s10
	v_mov_b32_e32 v121, 0
	ds_load_b32 v121, v121 offset:60
	s_wait_dscnt 0x0
	v_mul_f32_e32 v120, v120, v121
	scratch_store_b32 off, v120, off offset:60
.LBB57_416:
	s_wait_xcnt 0x0
	s_or_b32 exec_lo, exec_lo, s9
	scratch_load_b32 v120, off, off offset:56
	v_cmp_lt_u32_e64 s0, 14, v0
	s_wait_loadcnt 0x0
	ds_store_b32 v1, v120
	s_wait_storecnt_dscnt 0x0
	s_barrier_signal -1
	s_barrier_wait -1
	s_wait_xcnt 0x0
	s_and_saveexec_b32 s8, s0
	s_cbranch_execz .LBB57_426
; %bb.417:
	s_and_not1_b32 vcc_lo, exec_lo, s3
	s_cbranch_vccnz .LBB57_419
; %bb.418:
	scratch_load_b32 v120, v7, off
	ds_load_b32 v121, v1
	s_wait_loadcnt_dscnt 0x0
	v_mul_f32_e32 v120, v120, v121
	s_cbranch_execz .LBB57_420
	s_branch .LBB57_421
.LBB57_419:
                                        ; implicit-def: $vgpr120
.LBB57_420:
	ds_load_b32 v120, v1
.LBB57_421:
	s_and_saveexec_b32 s9, s1
	s_cbranch_execz .LBB57_425
; %bb.422:
	v_add_nc_u32_e32 v121, -15, v0
	s_mov_b32 s1, 60
	s_movk_i32 s11, 0x12c
	s_mov_b32 s10, 0
.LBB57_423:                             ; =>This Inner Loop Header: Depth=1
	scratch_load_b32 v122, off, s1
	v_dual_mov_b32 v123, s11 :: v_dual_add_nc_u32 v121, -1, v121
	s_add_co_i32 s11, s11, 4
	s_wait_xcnt 0x0
	s_add_co_i32 s1, s1, 4
	ds_load_b32 v123, v123
	v_cmp_eq_u32_e32 vcc_lo, 0, v121
	s_or_b32 s10, vcc_lo, s10
	s_wait_loadcnt_dscnt 0x0
	v_fmac_f32_e32 v120, v122, v123
	s_and_not1_b32 exec_lo, exec_lo, s10
	s_cbranch_execnz .LBB57_423
; %bb.424:
	s_or_b32 exec_lo, exec_lo, s10
.LBB57_425:
	s_delay_alu instid0(SALU_CYCLE_1)
	s_or_b32 exec_lo, exec_lo, s9
	v_mov_b32_e32 v121, 0
	ds_load_b32 v121, v121 offset:56
	s_wait_dscnt 0x0
	v_mul_f32_e32 v120, v120, v121
	scratch_store_b32 off, v120, off offset:56
.LBB57_426:
	s_wait_xcnt 0x0
	s_or_b32 exec_lo, exec_lo, s8
	scratch_load_b32 v120, off, off offset:52
	v_cmp_lt_u32_e64 s1, 13, v0
	s_wait_loadcnt 0x0
	ds_store_b32 v1, v120
	s_wait_storecnt_dscnt 0x0
	s_barrier_signal -1
	s_barrier_wait -1
	s_wait_xcnt 0x0
	s_and_saveexec_b32 s8, s1
	s_cbranch_execz .LBB57_436
; %bb.427:
	s_and_not1_b32 vcc_lo, exec_lo, s3
	s_cbranch_vccnz .LBB57_429
; %bb.428:
	scratch_load_b32 v120, v7, off
	ds_load_b32 v121, v1
	s_wait_loadcnt_dscnt 0x0
	v_mul_f32_e32 v120, v120, v121
	s_cbranch_execz .LBB57_430
	s_branch .LBB57_431
.LBB57_429:
                                        ; implicit-def: $vgpr120
.LBB57_430:
	ds_load_b32 v120, v1
.LBB57_431:
	s_and_saveexec_b32 s9, s0
	s_cbranch_execz .LBB57_435
; %bb.432:
	v_add_nc_u32_e32 v121, -14, v0
	s_mov_b32 s0, 56
	s_movk_i32 s11, 0x128
	s_mov_b32 s10, 0
.LBB57_433:                             ; =>This Inner Loop Header: Depth=1
	scratch_load_b32 v122, off, s0
	v_dual_mov_b32 v123, s11 :: v_dual_add_nc_u32 v121, -1, v121
	s_add_co_i32 s11, s11, 4
	s_wait_xcnt 0x0
	s_add_co_i32 s0, s0, 4
	ds_load_b32 v123, v123
	v_cmp_eq_u32_e32 vcc_lo, 0, v121
	s_or_b32 s10, vcc_lo, s10
	s_wait_loadcnt_dscnt 0x0
	v_fmac_f32_e32 v120, v122, v123
	s_and_not1_b32 exec_lo, exec_lo, s10
	s_cbranch_execnz .LBB57_433
; %bb.434:
	s_or_b32 exec_lo, exec_lo, s10
.LBB57_435:
	s_delay_alu instid0(SALU_CYCLE_1)
	s_or_b32 exec_lo, exec_lo, s9
	v_mov_b32_e32 v121, 0
	ds_load_b32 v121, v121 offset:52
	s_wait_dscnt 0x0
	v_mul_f32_e32 v120, v120, v121
	scratch_store_b32 off, v120, off offset:52
.LBB57_436:
	;; [unrolled: 58-line block ×3, first 2 shown]
	s_wait_xcnt 0x0
	s_or_b32 exec_lo, exec_lo, s8
	scratch_load_b32 v120, off, off offset:44
	v_cmp_lt_u32_e64 s1, 11, v0
	s_wait_loadcnt 0x0
	ds_store_b32 v1, v120
	s_wait_storecnt_dscnt 0x0
	s_barrier_signal -1
	s_barrier_wait -1
	s_wait_xcnt 0x0
	s_and_saveexec_b32 s8, s1
	s_cbranch_execz .LBB57_456
; %bb.447:
	s_and_not1_b32 vcc_lo, exec_lo, s3
	s_cbranch_vccnz .LBB57_449
; %bb.448:
	scratch_load_b32 v120, v7, off
	ds_load_b32 v121, v1
	s_wait_loadcnt_dscnt 0x0
	v_mul_f32_e32 v120, v120, v121
	s_cbranch_execz .LBB57_450
	s_branch .LBB57_451
.LBB57_449:
                                        ; implicit-def: $vgpr120
.LBB57_450:
	ds_load_b32 v120, v1
.LBB57_451:
	s_and_saveexec_b32 s9, s0
	s_cbranch_execz .LBB57_455
; %bb.452:
	v_add_nc_u32_e32 v121, -12, v0
	s_movk_i32 s10, 0x120
	s_mov_b32 s0, 0
.LBB57_453:                             ; =>This Inner Loop Header: Depth=1
	scratch_load_b32 v122, off, s5
	v_dual_mov_b32 v123, s10 :: v_dual_add_nc_u32 v121, -1, v121
	s_add_co_i32 s10, s10, 4
	s_wait_xcnt 0x0
	s_add_co_i32 s5, s5, 4
	ds_load_b32 v123, v123
	v_cmp_eq_u32_e32 vcc_lo, 0, v121
	s_or_b32 s0, vcc_lo, s0
	s_wait_loadcnt_dscnt 0x0
	v_fmac_f32_e32 v120, v122, v123
	s_and_not1_b32 exec_lo, exec_lo, s0
	s_cbranch_execnz .LBB57_453
; %bb.454:
	s_or_b32 exec_lo, exec_lo, s0
.LBB57_455:
	s_delay_alu instid0(SALU_CYCLE_1)
	s_or_b32 exec_lo, exec_lo, s9
	v_mov_b32_e32 v121, 0
	ds_load_b32 v121, v121 offset:44
	s_wait_dscnt 0x0
	v_mul_f32_e32 v120, v120, v121
	scratch_store_b32 off, v120, off offset:44
.LBB57_456:
	s_wait_xcnt 0x0
	s_or_b32 exec_lo, exec_lo, s8
	scratch_load_b32 v120, off, off offset:40
	v_cmp_lt_u32_e64 s0, 10, v0
	s_wait_loadcnt 0x0
	ds_store_b32 v1, v120
	s_wait_storecnt_dscnt 0x0
	s_barrier_signal -1
	s_barrier_wait -1
	s_wait_xcnt 0x0
	s_and_saveexec_b32 s5, s0
	s_cbranch_execz .LBB57_466
; %bb.457:
	s_and_not1_b32 vcc_lo, exec_lo, s3
	s_cbranch_vccnz .LBB57_459
; %bb.458:
	scratch_load_b32 v120, v7, off
	ds_load_b32 v121, v1
	s_wait_loadcnt_dscnt 0x0
	v_mul_f32_e32 v120, v120, v121
	s_cbranch_execz .LBB57_460
	s_branch .LBB57_461
.LBB57_459:
                                        ; implicit-def: $vgpr120
.LBB57_460:
	ds_load_b32 v120, v1
.LBB57_461:
	s_and_saveexec_b32 s8, s1
	s_cbranch_execz .LBB57_465
; %bb.462:
	v_add_nc_u32_e32 v121, -11, v0
	s_mov_b32 s1, 44
	s_movk_i32 s10, 0x11c
	s_mov_b32 s9, 0
.LBB57_463:                             ; =>This Inner Loop Header: Depth=1
	scratch_load_b32 v122, off, s1
	v_dual_mov_b32 v123, s10 :: v_dual_add_nc_u32 v121, -1, v121
	s_add_co_i32 s10, s10, 4
	s_wait_xcnt 0x0
	s_add_co_i32 s1, s1, 4
	ds_load_b32 v123, v123
	v_cmp_eq_u32_e32 vcc_lo, 0, v121
	s_or_b32 s9, vcc_lo, s9
	s_wait_loadcnt_dscnt 0x0
	v_fmac_f32_e32 v120, v122, v123
	s_and_not1_b32 exec_lo, exec_lo, s9
	s_cbranch_execnz .LBB57_463
; %bb.464:
	s_or_b32 exec_lo, exec_lo, s9
.LBB57_465:
	s_delay_alu instid0(SALU_CYCLE_1)
	s_or_b32 exec_lo, exec_lo, s8
	v_mov_b32_e32 v121, 0
	ds_load_b32 v121, v121 offset:40
	s_wait_dscnt 0x0
	v_mul_f32_e32 v120, v120, v121
	scratch_store_b32 off, v120, off offset:40
.LBB57_466:
	s_wait_xcnt 0x0
	s_or_b32 exec_lo, exec_lo, s5
	scratch_load_b32 v120, off, off offset:36
	v_cmp_lt_u32_e64 s1, 9, v0
	s_wait_loadcnt 0x0
	ds_store_b32 v1, v120
	s_wait_storecnt_dscnt 0x0
	s_barrier_signal -1
	s_barrier_wait -1
	s_wait_xcnt 0x0
	s_and_saveexec_b32 s5, s1
	s_cbranch_execz .LBB57_476
; %bb.467:
	s_and_not1_b32 vcc_lo, exec_lo, s3
	s_cbranch_vccnz .LBB57_469
; %bb.468:
	scratch_load_b32 v120, v7, off
	ds_load_b32 v121, v1
	s_wait_loadcnt_dscnt 0x0
	v_mul_f32_e32 v120, v120, v121
	s_cbranch_execz .LBB57_470
	s_branch .LBB57_471
.LBB57_469:
                                        ; implicit-def: $vgpr120
.LBB57_470:
	ds_load_b32 v120, v1
.LBB57_471:
	s_and_saveexec_b32 s8, s0
	s_cbranch_execz .LBB57_475
; %bb.472:
	v_add_nc_u32_e32 v121, -10, v0
	s_mov_b32 s0, 40
	s_movk_i32 s10, 0x118
	s_mov_b32 s9, 0
.LBB57_473:                             ; =>This Inner Loop Header: Depth=1
	scratch_load_b32 v122, off, s0
	v_dual_mov_b32 v123, s10 :: v_dual_add_nc_u32 v121, -1, v121
	s_add_co_i32 s10, s10, 4
	s_wait_xcnt 0x0
	s_add_co_i32 s0, s0, 4
	ds_load_b32 v123, v123
	v_cmp_eq_u32_e32 vcc_lo, 0, v121
	s_or_b32 s9, vcc_lo, s9
	s_wait_loadcnt_dscnt 0x0
	v_fmac_f32_e32 v120, v122, v123
	s_and_not1_b32 exec_lo, exec_lo, s9
	s_cbranch_execnz .LBB57_473
; %bb.474:
	s_or_b32 exec_lo, exec_lo, s9
.LBB57_475:
	s_delay_alu instid0(SALU_CYCLE_1)
	s_or_b32 exec_lo, exec_lo, s8
	v_mov_b32_e32 v121, 0
	ds_load_b32 v121, v121 offset:36
	s_wait_dscnt 0x0
	v_mul_f32_e32 v120, v120, v121
	scratch_store_b32 off, v120, off offset:36
.LBB57_476:
	;; [unrolled: 58-line block ×3, first 2 shown]
	s_wait_xcnt 0x0
	s_or_b32 exec_lo, exec_lo, s5
	scratch_load_b32 v120, off, off offset:28
	v_cmp_lt_u32_e64 s1, 7, v0
	s_wait_loadcnt 0x0
	ds_store_b32 v1, v120
	s_wait_storecnt_dscnt 0x0
	s_barrier_signal -1
	s_barrier_wait -1
	s_wait_xcnt 0x0
	s_and_saveexec_b32 s5, s1
	s_cbranch_execz .LBB57_496
; %bb.487:
	s_and_not1_b32 vcc_lo, exec_lo, s3
	s_cbranch_vccnz .LBB57_489
; %bb.488:
	scratch_load_b32 v120, v7, off
	ds_load_b32 v121, v1
	s_wait_loadcnt_dscnt 0x0
	v_mul_f32_e32 v120, v120, v121
	s_cbranch_execz .LBB57_490
	s_branch .LBB57_491
.LBB57_489:
                                        ; implicit-def: $vgpr120
.LBB57_490:
	ds_load_b32 v120, v1
.LBB57_491:
	s_and_saveexec_b32 s8, s0
	s_cbranch_execz .LBB57_495
; %bb.492:
	v_add_nc_u32_e32 v121, -8, v0
	s_movk_i32 s9, 0x110
	s_mov_b32 s0, 0
.LBB57_493:                             ; =>This Inner Loop Header: Depth=1
	scratch_load_b32 v122, off, s2
	v_dual_mov_b32 v123, s9 :: v_dual_add_nc_u32 v121, -1, v121
	s_add_co_i32 s9, s9, 4
	s_wait_xcnt 0x0
	s_add_co_i32 s2, s2, 4
	ds_load_b32 v123, v123
	v_cmp_eq_u32_e32 vcc_lo, 0, v121
	s_or_b32 s0, vcc_lo, s0
	s_wait_loadcnt_dscnt 0x0
	v_fmac_f32_e32 v120, v122, v123
	s_and_not1_b32 exec_lo, exec_lo, s0
	s_cbranch_execnz .LBB57_493
; %bb.494:
	s_or_b32 exec_lo, exec_lo, s0
.LBB57_495:
	s_delay_alu instid0(SALU_CYCLE_1)
	s_or_b32 exec_lo, exec_lo, s8
	v_mov_b32_e32 v121, 0
	ds_load_b32 v121, v121 offset:28
	s_wait_dscnt 0x0
	v_mul_f32_e32 v120, v120, v121
	scratch_store_b32 off, v120, off offset:28
.LBB57_496:
	s_wait_xcnt 0x0
	s_or_b32 exec_lo, exec_lo, s5
	scratch_load_b32 v120, off, off offset:24
	v_cmp_lt_u32_e64 s0, 6, v0
	s_wait_loadcnt 0x0
	ds_store_b32 v1, v120
	s_wait_storecnt_dscnt 0x0
	s_barrier_signal -1
	s_barrier_wait -1
	s_wait_xcnt 0x0
	s_and_saveexec_b32 s2, s0
	s_cbranch_execz .LBB57_506
; %bb.497:
	s_and_not1_b32 vcc_lo, exec_lo, s3
	s_cbranch_vccnz .LBB57_499
; %bb.498:
	scratch_load_b32 v120, v7, off
	ds_load_b32 v121, v1
	s_wait_loadcnt_dscnt 0x0
	v_mul_f32_e32 v120, v120, v121
	s_cbranch_execz .LBB57_500
	s_branch .LBB57_501
.LBB57_499:
                                        ; implicit-def: $vgpr120
.LBB57_500:
	ds_load_b32 v120, v1
.LBB57_501:
	s_and_saveexec_b32 s5, s1
	s_cbranch_execz .LBB57_505
; %bb.502:
	v_add_nc_u32_e32 v121, -7, v0
	s_mov_b32 s1, 28
	s_movk_i32 s9, 0x10c
	s_mov_b32 s8, 0
.LBB57_503:                             ; =>This Inner Loop Header: Depth=1
	scratch_load_b32 v122, off, s1
	v_dual_mov_b32 v123, s9 :: v_dual_add_nc_u32 v121, -1, v121
	s_add_co_i32 s9, s9, 4
	s_wait_xcnt 0x0
	s_add_co_i32 s1, s1, 4
	ds_load_b32 v123, v123
	v_cmp_eq_u32_e32 vcc_lo, 0, v121
	s_or_b32 s8, vcc_lo, s8
	s_wait_loadcnt_dscnt 0x0
	v_fmac_f32_e32 v120, v122, v123
	s_and_not1_b32 exec_lo, exec_lo, s8
	s_cbranch_execnz .LBB57_503
; %bb.504:
	s_or_b32 exec_lo, exec_lo, s8
.LBB57_505:
	s_delay_alu instid0(SALU_CYCLE_1)
	s_or_b32 exec_lo, exec_lo, s5
	v_mov_b32_e32 v121, 0
	ds_load_b32 v121, v121 offset:24
	s_wait_dscnt 0x0
	v_mul_f32_e32 v120, v120, v121
	scratch_store_b32 off, v120, off offset:24
.LBB57_506:
	s_wait_xcnt 0x0
	s_or_b32 exec_lo, exec_lo, s2
	scratch_load_b32 v120, off, off offset:20
	v_cmp_lt_u32_e64 s1, 5, v0
	s_wait_loadcnt 0x0
	ds_store_b32 v1, v120
	s_wait_storecnt_dscnt 0x0
	s_barrier_signal -1
	s_barrier_wait -1
	s_wait_xcnt 0x0
	s_and_saveexec_b32 s2, s1
	s_cbranch_execz .LBB57_516
; %bb.507:
	s_and_not1_b32 vcc_lo, exec_lo, s3
	s_cbranch_vccnz .LBB57_509
; %bb.508:
	scratch_load_b32 v120, v7, off
	ds_load_b32 v121, v1
	s_wait_loadcnt_dscnt 0x0
	v_mul_f32_e32 v120, v120, v121
	s_cbranch_execz .LBB57_510
	s_branch .LBB57_511
.LBB57_509:
                                        ; implicit-def: $vgpr120
.LBB57_510:
	ds_load_b32 v120, v1
.LBB57_511:
	s_and_saveexec_b32 s5, s0
	s_cbranch_execz .LBB57_515
; %bb.512:
	v_add_nc_u32_e32 v121, -6, v0
	s_mov_b32 s0, 24
	s_movk_i32 s9, 0x108
	s_mov_b32 s8, 0
.LBB57_513:                             ; =>This Inner Loop Header: Depth=1
	scratch_load_b32 v122, off, s0
	v_dual_mov_b32 v123, s9 :: v_dual_add_nc_u32 v121, -1, v121
	s_add_co_i32 s9, s9, 4
	s_wait_xcnt 0x0
	s_add_co_i32 s0, s0, 4
	ds_load_b32 v123, v123
	v_cmp_eq_u32_e32 vcc_lo, 0, v121
	s_or_b32 s8, vcc_lo, s8
	s_wait_loadcnt_dscnt 0x0
	v_fmac_f32_e32 v120, v122, v123
	s_and_not1_b32 exec_lo, exec_lo, s8
	s_cbranch_execnz .LBB57_513
; %bb.514:
	s_or_b32 exec_lo, exec_lo, s8
.LBB57_515:
	s_delay_alu instid0(SALU_CYCLE_1)
	s_or_b32 exec_lo, exec_lo, s5
	v_mov_b32_e32 v121, 0
	ds_load_b32 v121, v121 offset:20
	s_wait_dscnt 0x0
	v_mul_f32_e32 v120, v120, v121
	scratch_store_b32 off, v120, off offset:20
.LBB57_516:
	;; [unrolled: 58-line block ×3, first 2 shown]
	s_wait_xcnt 0x0
	s_or_b32 exec_lo, exec_lo, s2
	scratch_load_b32 v120, off, off offset:12
	v_cmp_lt_u32_e64 s2, 3, v0
	s_wait_loadcnt 0x0
	ds_store_b32 v1, v120
	s_wait_storecnt_dscnt 0x0
	s_barrier_signal -1
	s_barrier_wait -1
	s_wait_xcnt 0x0
	s_and_saveexec_b32 s1, s2
	s_cbranch_execz .LBB57_536
; %bb.527:
	s_and_not1_b32 vcc_lo, exec_lo, s3
	s_cbranch_vccnz .LBB57_529
; %bb.528:
	scratch_load_b32 v120, v7, off
	ds_load_b32 v121, v1
	s_wait_loadcnt_dscnt 0x0
	v_mul_f32_e32 v120, v120, v121
	s_cbranch_execz .LBB57_530
	s_branch .LBB57_531
.LBB57_529:
                                        ; implicit-def: $vgpr120
.LBB57_530:
	ds_load_b32 v120, v1
.LBB57_531:
	s_and_saveexec_b32 s5, s0
	s_cbranch_execz .LBB57_535
; %bb.532:
	v_add_nc_u32_e32 v121, -4, v0
	s_movk_i32 s8, 0x100
	s_mov_b32 s0, 0
.LBB57_533:                             ; =>This Inner Loop Header: Depth=1
	scratch_load_b32 v122, off, s4
	v_dual_mov_b32 v123, s8 :: v_dual_add_nc_u32 v121, -1, v121
	s_add_co_i32 s8, s8, 4
	s_wait_xcnt 0x0
	s_add_co_i32 s4, s4, 4
	ds_load_b32 v123, v123
	v_cmp_eq_u32_e32 vcc_lo, 0, v121
	s_or_b32 s0, vcc_lo, s0
	s_wait_loadcnt_dscnt 0x0
	v_fmac_f32_e32 v120, v122, v123
	s_and_not1_b32 exec_lo, exec_lo, s0
	s_cbranch_execnz .LBB57_533
; %bb.534:
	s_or_b32 exec_lo, exec_lo, s0
.LBB57_535:
	s_delay_alu instid0(SALU_CYCLE_1)
	s_or_b32 exec_lo, exec_lo, s5
	v_mov_b32_e32 v121, 0
	ds_load_b32 v121, v121 offset:12
	s_wait_dscnt 0x0
	v_mul_f32_e32 v120, v120, v121
	scratch_store_b32 off, v120, off offset:12
.LBB57_536:
	s_wait_xcnt 0x0
	s_or_b32 exec_lo, exec_lo, s1
	scratch_load_b32 v120, off, off offset:8
	v_cmp_lt_u32_e64 s1, 2, v0
	s_wait_loadcnt 0x0
	ds_store_b32 v1, v120
	s_wait_storecnt_dscnt 0x0
	s_barrier_signal -1
	s_barrier_wait -1
	s_wait_xcnt 0x0
	s_and_saveexec_b32 s0, s1
	s_cbranch_execz .LBB57_546
; %bb.537:
	s_and_not1_b32 vcc_lo, exec_lo, s3
	s_cbranch_vccnz .LBB57_539
; %bb.538:
	scratch_load_b32 v120, v7, off
	ds_load_b32 v121, v1
	s_wait_loadcnt_dscnt 0x0
	v_mul_f32_e32 v120, v120, v121
	s_cbranch_execz .LBB57_540
	s_branch .LBB57_541
.LBB57_539:
                                        ; implicit-def: $vgpr120
.LBB57_540:
	ds_load_b32 v120, v1
.LBB57_541:
	s_and_saveexec_b32 s4, s2
	s_cbranch_execz .LBB57_545
; %bb.542:
	v_add_nc_u32_e32 v121, -3, v0
	s_or_b32 s2, 0, 12
	s_movk_i32 s8, 0xfc
	s_mov_b32 s5, 0
.LBB57_543:                             ; =>This Inner Loop Header: Depth=1
	scratch_load_b32 v122, off, s2
	v_dual_mov_b32 v123, s8 :: v_dual_add_nc_u32 v121, -1, v121
	s_add_co_i32 s8, s8, 4
	s_wait_xcnt 0x0
	s_add_co_i32 s2, s2, 4
	ds_load_b32 v123, v123
	v_cmp_eq_u32_e32 vcc_lo, 0, v121
	s_or_b32 s5, vcc_lo, s5
	s_wait_loadcnt_dscnt 0x0
	v_fmac_f32_e32 v120, v122, v123
	s_and_not1_b32 exec_lo, exec_lo, s5
	s_cbranch_execnz .LBB57_543
; %bb.544:
	s_or_b32 exec_lo, exec_lo, s5
.LBB57_545:
	s_delay_alu instid0(SALU_CYCLE_1)
	s_or_b32 exec_lo, exec_lo, s4
	v_mov_b32_e32 v121, 0
	ds_load_b32 v121, v121 offset:8
	s_wait_dscnt 0x0
	v_mul_f32_e32 v120, v120, v121
	scratch_store_b32 off, v120, off offset:8
.LBB57_546:
	s_wait_xcnt 0x0
	s_or_b32 exec_lo, exec_lo, s0
	scratch_load_b32 v120, off, off offset:4
	v_cmp_lt_u32_e64 s0, 1, v0
	s_wait_loadcnt 0x0
	ds_store_b32 v1, v120
	s_wait_storecnt_dscnt 0x0
	s_barrier_signal -1
	s_barrier_wait -1
	s_wait_xcnt 0x0
	s_and_saveexec_b32 s2, s0
	s_cbranch_execz .LBB57_556
; %bb.547:
	s_and_not1_b32 vcc_lo, exec_lo, s3
	s_cbranch_vccnz .LBB57_549
; %bb.548:
	scratch_load_b32 v120, v7, off
	ds_load_b32 v121, v1
	s_wait_loadcnt_dscnt 0x0
	v_mul_f32_e32 v120, v120, v121
	s_cbranch_execz .LBB57_550
	s_branch .LBB57_551
.LBB57_549:
                                        ; implicit-def: $vgpr120
.LBB57_550:
	ds_load_b32 v120, v1
.LBB57_551:
	s_and_saveexec_b32 s4, s1
	s_cbranch_execz .LBB57_555
; %bb.552:
	v_add_nc_u32_e32 v121, -2, v0
	s_or_b32 s1, 0, 8
	s_movk_i32 s8, 0xf8
	s_mov_b32 s5, 0
.LBB57_553:                             ; =>This Inner Loop Header: Depth=1
	scratch_load_b32 v122, off, s1
	v_dual_mov_b32 v123, s8 :: v_dual_add_nc_u32 v121, -1, v121
	s_add_co_i32 s8, s8, 4
	s_wait_xcnt 0x0
	s_add_co_i32 s1, s1, 4
	ds_load_b32 v123, v123
	v_cmp_eq_u32_e32 vcc_lo, 0, v121
	s_or_b32 s5, vcc_lo, s5
	s_wait_loadcnt_dscnt 0x0
	v_fmac_f32_e32 v120, v122, v123
	s_and_not1_b32 exec_lo, exec_lo, s5
	s_cbranch_execnz .LBB57_553
; %bb.554:
	s_or_b32 exec_lo, exec_lo, s5
.LBB57_555:
	s_delay_alu instid0(SALU_CYCLE_1)
	s_or_b32 exec_lo, exec_lo, s4
	v_mov_b32_e32 v121, 0
	ds_load_b32 v121, v121 offset:4
	s_wait_dscnt 0x0
	v_mul_f32_e32 v120, v120, v121
	scratch_store_b32 off, v120, off offset:4
.LBB57_556:
	s_wait_xcnt 0x0
	s_or_b32 exec_lo, exec_lo, s2
	scratch_load_b32 v120, off, off
	s_mov_b32 s1, 0
	s_mov_b32 s2, exec_lo
	s_wait_loadcnt 0x0
	ds_store_b32 v1, v120
	s_wait_storecnt_dscnt 0x0
	s_barrier_signal -1
	s_barrier_wait -1
	s_wait_xcnt 0x0
	v_cmpx_ne_u32_e32 0, v0
	s_cbranch_execz .LBB57_566
; %bb.557:
	s_and_not1_b32 vcc_lo, exec_lo, s3
	s_cbranch_vccnz .LBB57_559
; %bb.558:
	scratch_load_b32 v120, v7, off
	ds_load_b32 v121, v1
	s_wait_loadcnt_dscnt 0x0
	v_mul_f32_e32 v120, v120, v121
	s_cbranch_execz .LBB57_560
	s_branch .LBB57_561
.LBB57_559:
                                        ; implicit-def: $vgpr120
.LBB57_560:
	ds_load_b32 v120, v1
.LBB57_561:
	s_and_saveexec_b32 s4, s0
	s_cbranch_execz .LBB57_565
; %bb.562:
	v_add_nc_u32_e32 v121, -1, v0
	s_or_b32 s0, 0, 4
	s_movk_i32 s8, 0xf4
	s_mov_b32 s5, 0
.LBB57_563:                             ; =>This Inner Loop Header: Depth=1
	scratch_load_b32 v122, off, s0
	v_dual_mov_b32 v123, s8 :: v_dual_add_nc_u32 v121, -1, v121
	s_add_co_i32 s8, s8, 4
	s_wait_xcnt 0x0
	s_add_co_i32 s0, s0, 4
	ds_load_b32 v123, v123
	v_cmp_eq_u32_e32 vcc_lo, 0, v121
	s_or_b32 s5, vcc_lo, s5
	s_wait_loadcnt_dscnt 0x0
	v_fmac_f32_e32 v120, v122, v123
	s_and_not1_b32 exec_lo, exec_lo, s5
	s_cbranch_execnz .LBB57_563
; %bb.564:
	s_or_b32 exec_lo, exec_lo, s5
.LBB57_565:
	s_delay_alu instid0(SALU_CYCLE_1)
	s_or_b32 exec_lo, exec_lo, s4
	v_mov_b32_e32 v121, 0
	ds_load_b32 v121, v121
	s_wait_dscnt 0x0
	v_mul_f32_e32 v120, v120, v121
	scratch_store_b32 off, v120, off
.LBB57_566:
	s_wait_xcnt 0x0
	s_or_b32 exec_lo, exec_lo, s2
.LBB57_567:
	v_lshl_add_u64 v[146:147], v[8:9], 2, s[6:7]
	v_lshl_add_u64 v[148:149], v[10:11], 2, s[6:7]
	;; [unrolled: 1-line block ×56, first 2 shown]
	s_and_b32 vcc_lo, exec_lo, s1
	s_cbranch_vccz .LBB57_1129
; %bb.568:
	scratch_load_b32 v90, off, off offset:4
	v_cmp_eq_u32_e64 s0, 0, v0
	s_wait_loadcnt 0x0
	ds_store_b32 v1, v90
	s_wait_storecnt_dscnt 0x0
	s_barrier_signal -1
	s_barrier_wait -1
	s_wait_xcnt 0x0
	s_and_saveexec_b32 s1, s0
	s_cbranch_execz .LBB57_574
; %bb.569:
	s_and_b32 vcc_lo, exec_lo, s3
	s_cbranch_vccz .LBB57_571
; %bb.570:
	scratch_load_b32 v90, v7, off
	ds_load_b32 v91, v1
	s_wait_loadcnt_dscnt 0x0
	v_mul_f32_e32 v90, v90, v91
	s_cbranch_execz .LBB57_572
	s_branch .LBB57_573
.LBB57_571:
                                        ; implicit-def: $vgpr90
.LBB57_572:
	ds_load_b32 v90, v1
.LBB57_573:
	v_mov_b32_e32 v91, 0
	ds_load_b32 v91, v91 offset:4
	s_wait_dscnt 0x0
	v_mul_f32_e32 v90, v90, v91
	scratch_store_b32 off, v90, off offset:4
.LBB57_574:
	s_wait_xcnt 0x0
	s_or_b32 exec_lo, exec_lo, s1
	scratch_load_b32 v91, off, off offset:8
	v_cndmask_b32_e64 v90, 0, 1, s3
	s_mov_b32 s1, exec_lo
	s_wait_loadcnt 0x0
	ds_store_b32 v1, v91
	s_wait_storecnt_dscnt 0x0
	s_barrier_signal -1
	s_barrier_wait -1
	s_wait_xcnt 0x0
	v_cmpx_gt_u32_e32 2, v0
	s_cbranch_execz .LBB57_580
; %bb.575:
	s_and_not1_b32 vcc_lo, exec_lo, s3
	s_cbranch_vccnz .LBB57_577
; %bb.576:
	scratch_load_b32 v91, v7, off
	ds_load_b32 v92, v1
	s_wait_loadcnt_dscnt 0x0
	v_mul_f32_e32 v91, v91, v92
	s_cbranch_execz .LBB57_578
	s_branch .LBB57_579
.LBB57_577:
                                        ; implicit-def: $vgpr91
.LBB57_578:
	ds_load_b32 v91, v1
.LBB57_579:
	scratch_load_b32 v94, off, off offset:4
	v_mov_b32_e32 v92, 0
	ds_load_2addr_b32 v[92:93], v92 offset0:2 offset1:61
	s_wait_loadcnt_dscnt 0x0
	v_fma_f32 v93, v94, v93, v91
	s_delay_alu instid0(VALU_DEP_1) | instskip(NEXT) | instid1(VALU_DEP_1)
	v_cndmask_b32_e64 v91, v91, v93, s0
	v_mul_f32_e32 v91, v91, v92
	scratch_store_b32 off, v91, off offset:8
.LBB57_580:
	s_wait_xcnt 0x0
	s_or_b32 exec_lo, exec_lo, s1
	scratch_load_b32 v91, off, off offset:12
	s_mov_b32 s1, exec_lo
	s_wait_loadcnt 0x0
	ds_store_b32 v1, v91
	s_wait_storecnt_dscnt 0x0
	s_barrier_signal -1
	s_barrier_wait -1
	s_wait_xcnt 0x0
	v_cmpx_gt_u32_e32 3, v0
	s_cbranch_execz .LBB57_588
; %bb.581:
	v_cmp_ne_u32_e32 vcc_lo, 1, v90
	s_cbranch_vccnz .LBB57_583
; %bb.582:
	scratch_load_b32 v91, v7, off
	ds_load_b32 v92, v1
	s_wait_loadcnt_dscnt 0x0
	v_mul_f32_e32 v91, v91, v92
	s_cbranch_execz .LBB57_584
	s_branch .LBB57_585
.LBB57_583:
                                        ; implicit-def: $vgpr91
.LBB57_584:
	ds_load_b32 v91, v1
.LBB57_585:
	s_mov_b32 s2, exec_lo
	v_cmpx_ne_u32_e32 2, v0
	s_cbranch_execz .LBB57_587
; %bb.586:
	scratch_load_b32 v92, v7, off offset:4
	scratch_load_b32 v93, off, off offset:8
	ds_load_b32 v94, v1 offset:4
	v_mov_b32_e32 v95, 0
	ds_load_b32 v95, v95 offset:248
	s_wait_loadcnt_dscnt 0x101
	v_fmac_f32_e32 v91, v92, v94
	s_wait_loadcnt_dscnt 0x0
	s_delay_alu instid0(VALU_DEP_1) | instskip(NEXT) | instid1(VALU_DEP_1)
	v_fma_f32 v92, v93, v95, v91
	v_cndmask_b32_e64 v91, v91, v92, s0
.LBB57_587:
	s_or_b32 exec_lo, exec_lo, s2
	v_mov_b32_e32 v92, 0
	ds_load_b32 v92, v92 offset:12
	s_wait_dscnt 0x0
	v_mul_f32_e32 v91, v91, v92
	scratch_store_b32 off, v91, off offset:12
.LBB57_588:
	s_wait_xcnt 0x0
	s_or_b32 exec_lo, exec_lo, s1
	scratch_load_b32 v91, off, off offset:16
	s_mov_b32 s0, exec_lo
	s_wait_loadcnt 0x0
	ds_store_b32 v1, v91
	s_wait_storecnt_dscnt 0x0
	s_barrier_signal -1
	s_barrier_wait -1
	s_wait_xcnt 0x0
	v_cmpx_gt_u32_e32 4, v0
	s_cbranch_execz .LBB57_598
; %bb.589:
	v_cmp_ne_u32_e32 vcc_lo, 1, v90
	s_cbranch_vccnz .LBB57_591
; %bb.590:
	scratch_load_b32 v91, v7, off
	ds_load_b32 v92, v1
	s_wait_loadcnt_dscnt 0x0
	v_mul_f32_e32 v91, v91, v92
	s_cbranch_execz .LBB57_592
	s_branch .LBB57_593
.LBB57_591:
                                        ; implicit-def: $vgpr91
.LBB57_592:
	ds_load_b32 v91, v1
.LBB57_593:
	s_mov_b32 s1, exec_lo
	v_cmpx_ne_u32_e32 3, v0
	s_cbranch_execz .LBB57_597
; %bb.594:
	v_add_nc_u32_e32 v92, 0xf4, v6
	v_add3_u32 v93, 0, v6, 4
	v_mov_b32_e32 v94, v0
	s_mov_b32 s2, 0
.LBB57_595:                             ; =>This Inner Loop Header: Depth=1
	scratch_load_b32 v95, v93, off
	ds_load_b32 v96, v92
	v_dual_add_nc_u32 v94, 1, v94 :: v_dual_add_nc_u32 v92, 4, v92
	s_wait_xcnt 0x0
	v_add_nc_u32_e32 v93, 4, v93
	s_delay_alu instid0(VALU_DEP_2)
	v_cmp_lt_u32_e32 vcc_lo, 2, v94
	s_or_b32 s2, vcc_lo, s2
	s_wait_loadcnt_dscnt 0x0
	v_fmac_f32_e32 v91, v95, v96
	s_and_not1_b32 exec_lo, exec_lo, s2
	s_cbranch_execnz .LBB57_595
; %bb.596:
	s_or_b32 exec_lo, exec_lo, s2
.LBB57_597:
	s_delay_alu instid0(SALU_CYCLE_1)
	s_or_b32 exec_lo, exec_lo, s1
	v_mov_b32_e32 v92, 0
	ds_load_b32 v92, v92 offset:16
	s_wait_dscnt 0x0
	v_mul_f32_e32 v91, v91, v92
	scratch_store_b32 off, v91, off offset:16
.LBB57_598:
	s_wait_xcnt 0x0
	s_or_b32 exec_lo, exec_lo, s0
	scratch_load_b32 v91, off, off offset:20
	s_mov_b32 s0, exec_lo
	s_wait_loadcnt 0x0
	ds_store_b32 v1, v91
	s_wait_storecnt_dscnt 0x0
	s_barrier_signal -1
	s_barrier_wait -1
	s_wait_xcnt 0x0
	v_cmpx_gt_u32_e32 5, v0
	s_cbranch_execz .LBB57_608
; %bb.599:
	v_cmp_ne_u32_e32 vcc_lo, 1, v90
	s_cbranch_vccnz .LBB57_601
; %bb.600:
	scratch_load_b32 v91, v7, off
	ds_load_b32 v92, v1
	s_wait_loadcnt_dscnt 0x0
	v_mul_f32_e32 v91, v91, v92
	s_cbranch_execz .LBB57_602
	s_branch .LBB57_603
.LBB57_601:
                                        ; implicit-def: $vgpr91
.LBB57_602:
	ds_load_b32 v91, v1
.LBB57_603:
	s_mov_b32 s1, exec_lo
	v_cmpx_ne_u32_e32 4, v0
	s_cbranch_execz .LBB57_607
; %bb.604:
	v_add_nc_u32_e32 v92, 0xf4, v6
	v_add3_u32 v93, 0, v6, 4
	v_mov_b32_e32 v94, v0
	s_mov_b32 s2, 0
.LBB57_605:                             ; =>This Inner Loop Header: Depth=1
	scratch_load_b32 v95, v93, off
	ds_load_b32 v96, v92
	v_dual_add_nc_u32 v94, 1, v94 :: v_dual_add_nc_u32 v92, 4, v92
	s_wait_xcnt 0x0
	v_add_nc_u32_e32 v93, 4, v93
	s_delay_alu instid0(VALU_DEP_2)
	v_cmp_lt_u32_e32 vcc_lo, 3, v94
	s_or_b32 s2, vcc_lo, s2
	s_wait_loadcnt_dscnt 0x0
	v_fmac_f32_e32 v91, v95, v96
	s_and_not1_b32 exec_lo, exec_lo, s2
	s_cbranch_execnz .LBB57_605
; %bb.606:
	s_or_b32 exec_lo, exec_lo, s2
.LBB57_607:
	s_delay_alu instid0(SALU_CYCLE_1)
	s_or_b32 exec_lo, exec_lo, s1
	v_mov_b32_e32 v92, 0
	ds_load_b32 v92, v92 offset:20
	s_wait_dscnt 0x0
	v_mul_f32_e32 v91, v91, v92
	scratch_store_b32 off, v91, off offset:20
.LBB57_608:
	;; [unrolled: 59-line block ×41, first 2 shown]
	s_wait_xcnt 0x0
	s_or_b32 exec_lo, exec_lo, s0
	scratch_load_b32 v91, off, off offset:180
	s_mov_b32 s0, exec_lo
	s_wait_loadcnt 0x0
	ds_store_b32 v1, v91
	s_wait_storecnt_dscnt 0x0
	s_barrier_signal -1
	s_barrier_wait -1
	s_wait_xcnt 0x0
	v_cmpx_gt_u32_e32 45, v0
	s_cbranch_execz .LBB57_1008
; %bb.999:
	v_cmp_ne_u32_e32 vcc_lo, 1, v90
	s_cbranch_vccnz .LBB57_1001
; %bb.1000:
	scratch_load_b32 v91, v7, off
	ds_load_b32 v92, v1
	s_wait_loadcnt_dscnt 0x0
	v_mul_f32_e32 v91, v91, v92
	s_cbranch_execz .LBB57_1002
	s_branch .LBB57_1003
.LBB57_1001:
                                        ; implicit-def: $vgpr91
.LBB57_1002:
	ds_load_b32 v91, v1
.LBB57_1003:
	s_mov_b32 s1, exec_lo
	v_cmpx_ne_u32_e32 44, v0
	s_cbranch_execz .LBB57_1007
; %bb.1004:
	v_add_nc_u32_e32 v92, 0xf4, v6
	v_add3_u32 v93, 0, v6, 4
	v_mov_b32_e32 v94, v0
	s_mov_b32 s2, 0
.LBB57_1005:                            ; =>This Inner Loop Header: Depth=1
	scratch_load_b32 v95, v93, off
	ds_load_b32 v96, v92
	v_dual_add_nc_u32 v94, 1, v94 :: v_dual_add_nc_u32 v92, 4, v92
	s_wait_xcnt 0x0
	v_add_nc_u32_e32 v93, 4, v93
	s_delay_alu instid0(VALU_DEP_2)
	v_cmp_lt_u32_e32 vcc_lo, 43, v94
	s_or_b32 s2, vcc_lo, s2
	s_wait_loadcnt_dscnt 0x0
	v_fmac_f32_e32 v91, v95, v96
	s_and_not1_b32 exec_lo, exec_lo, s2
	s_cbranch_execnz .LBB57_1005
; %bb.1006:
	s_or_b32 exec_lo, exec_lo, s2
.LBB57_1007:
	s_delay_alu instid0(SALU_CYCLE_1)
	s_or_b32 exec_lo, exec_lo, s1
	v_mov_b32_e32 v92, 0
	ds_load_b32 v92, v92 offset:180
	s_wait_dscnt 0x0
	v_mul_f32_e32 v91, v91, v92
	scratch_store_b32 off, v91, off offset:180
.LBB57_1008:
	s_wait_xcnt 0x0
	s_or_b32 exec_lo, exec_lo, s0
	scratch_load_b32 v91, off, off offset:184
	s_mov_b32 s0, exec_lo
	s_wait_loadcnt 0x0
	ds_store_b32 v1, v91
	s_wait_storecnt_dscnt 0x0
	s_barrier_signal -1
	s_barrier_wait -1
	s_wait_xcnt 0x0
	v_cmpx_gt_u32_e32 46, v0
	s_cbranch_execz .LBB57_1018
; %bb.1009:
	v_cmp_ne_u32_e32 vcc_lo, 1, v90
	s_cbranch_vccnz .LBB57_1011
; %bb.1010:
	scratch_load_b32 v91, v7, off
	ds_load_b32 v92, v1
	s_wait_loadcnt_dscnt 0x0
	v_mul_f32_e32 v91, v91, v92
	s_cbranch_execz .LBB57_1012
	s_branch .LBB57_1013
.LBB57_1011:
                                        ; implicit-def: $vgpr91
.LBB57_1012:
	ds_load_b32 v91, v1
.LBB57_1013:
	s_mov_b32 s1, exec_lo
	v_cmpx_ne_u32_e32 45, v0
	s_cbranch_execz .LBB57_1017
; %bb.1014:
	v_add_nc_u32_e32 v92, 0xf4, v6
	v_add3_u32 v93, 0, v6, 4
	v_mov_b32_e32 v94, v0
	s_mov_b32 s2, 0
.LBB57_1015:                            ; =>This Inner Loop Header: Depth=1
	scratch_load_b32 v95, v93, off
	ds_load_b32 v96, v92
	v_dual_add_nc_u32 v94, 1, v94 :: v_dual_add_nc_u32 v92, 4, v92
	s_wait_xcnt 0x0
	v_add_nc_u32_e32 v93, 4, v93
	s_delay_alu instid0(VALU_DEP_2)
	v_cmp_lt_u32_e32 vcc_lo, 44, v94
	s_or_b32 s2, vcc_lo, s2
	s_wait_loadcnt_dscnt 0x0
	v_fmac_f32_e32 v91, v95, v96
	s_and_not1_b32 exec_lo, exec_lo, s2
	s_cbranch_execnz .LBB57_1015
; %bb.1016:
	s_or_b32 exec_lo, exec_lo, s2
.LBB57_1017:
	s_delay_alu instid0(SALU_CYCLE_1)
	s_or_b32 exec_lo, exec_lo, s1
	v_mov_b32_e32 v92, 0
	ds_load_b32 v92, v92 offset:184
	s_wait_dscnt 0x0
	v_mul_f32_e32 v91, v91, v92
	scratch_store_b32 off, v91, off offset:184
.LBB57_1018:
	;; [unrolled: 59-line block ×11, first 2 shown]
	s_wait_xcnt 0x0
	s_or_b32 exec_lo, exec_lo, s0
	scratch_load_b32 v91, off, off offset:224
	v_cmp_gt_u32_e64 s0, 56, v0
	s_wait_loadcnt 0x0
	ds_store_b32 v1, v91
	s_wait_storecnt_dscnt 0x0
	s_barrier_signal -1
	s_barrier_wait -1
	s_wait_xcnt 0x0
	s_and_saveexec_b32 s1, s0
	s_cbranch_execz .LBB57_1118
; %bb.1109:
	v_cmp_ne_u32_e32 vcc_lo, 1, v90
	s_cbranch_vccnz .LBB57_1111
; %bb.1110:
	scratch_load_b32 v91, v7, off
	ds_load_b32 v92, v1
	s_wait_loadcnt_dscnt 0x0
	v_mul_f32_e32 v91, v91, v92
	s_cbranch_execz .LBB57_1112
	s_branch .LBB57_1113
.LBB57_1111:
                                        ; implicit-def: $vgpr91
.LBB57_1112:
	ds_load_b32 v91, v1
.LBB57_1113:
	s_mov_b32 s2, exec_lo
	v_cmpx_ne_u32_e32 55, v0
	s_cbranch_execz .LBB57_1117
; %bb.1114:
	v_add_nc_u32_e32 v92, 0xf4, v6
	v_add3_u32 v93, 0, v6, 4
	v_mov_b32_e32 v94, v0
	s_mov_b32 s3, 0
.LBB57_1115:                            ; =>This Inner Loop Header: Depth=1
	scratch_load_b32 v95, v93, off
	ds_load_b32 v96, v92
	v_dual_add_nc_u32 v94, 1, v94 :: v_dual_add_nc_u32 v92, 4, v92
	s_wait_xcnt 0x0
	v_add_nc_u32_e32 v93, 4, v93
	s_delay_alu instid0(VALU_DEP_2)
	v_cmp_lt_u32_e32 vcc_lo, 54, v94
	s_or_b32 s3, vcc_lo, s3
	s_wait_loadcnt_dscnt 0x0
	v_fmac_f32_e32 v91, v95, v96
	s_and_not1_b32 exec_lo, exec_lo, s3
	s_cbranch_execnz .LBB57_1115
; %bb.1116:
	s_or_b32 exec_lo, exec_lo, s3
.LBB57_1117:
	s_delay_alu instid0(SALU_CYCLE_1)
	s_or_b32 exec_lo, exec_lo, s2
	v_mov_b32_e32 v92, 0
	ds_load_b32 v92, v92 offset:224
	s_wait_dscnt 0x0
	v_mul_f32_e32 v91, v91, v92
	scratch_store_b32 off, v91, off offset:224
.LBB57_1118:
	s_wait_xcnt 0x0
	s_or_b32 exec_lo, exec_lo, s1
	scratch_load_b32 v91, off, off offset:228
	s_mov_b32 s1, exec_lo
	s_wait_loadcnt 0x0
	ds_store_b32 v1, v91
	s_wait_storecnt_dscnt 0x0
	s_barrier_signal -1
	s_barrier_wait -1
	s_wait_xcnt 0x0
	v_cmpx_ne_u32_e32 57, v0
	s_cbranch_execz .LBB57_1128
; %bb.1119:
	v_cmp_ne_u32_e32 vcc_lo, 1, v90
	s_cbranch_vccnz .LBB57_1121
; %bb.1120:
	scratch_load_b32 v7, v7, off
	ds_load_b32 v90, v1
	s_wait_loadcnt_dscnt 0x0
	v_mul_f32_e32 v7, v7, v90
	s_cbranch_execz .LBB57_1122
	s_branch .LBB57_1123
.LBB57_1121:
                                        ; implicit-def: $vgpr7
.LBB57_1122:
	ds_load_b32 v7, v1
.LBB57_1123:
	s_and_saveexec_b32 s2, s0
	s_cbranch_execz .LBB57_1127
; %bb.1124:
	v_add_nc_u32_e32 v1, 0xf4, v6
	v_add3_u32 v6, 0, v6, 4
	s_mov_b32 s0, 0
.LBB57_1125:                            ; =>This Inner Loop Header: Depth=1
	scratch_load_b32 v90, v6, off
	ds_load_b32 v91, v1
	v_dual_add_nc_u32 v0, 1, v0 :: v_dual_add_nc_u32 v1, 4, v1
	s_wait_xcnt 0x0
	v_add_nc_u32_e32 v6, 4, v6
	s_delay_alu instid0(VALU_DEP_2)
	v_cmp_lt_u32_e32 vcc_lo, 55, v0
	s_or_b32 s0, vcc_lo, s0
	s_wait_loadcnt_dscnt 0x0
	v_fmac_f32_e32 v7, v90, v91
	s_and_not1_b32 exec_lo, exec_lo, s0
	s_cbranch_execnz .LBB57_1125
; %bb.1126:
	s_or_b32 exec_lo, exec_lo, s0
.LBB57_1127:
	s_delay_alu instid0(SALU_CYCLE_1)
	s_or_b32 exec_lo, exec_lo, s2
	v_mov_b32_e32 v0, 0
	ds_load_b32 v0, v0 offset:228
	s_wait_dscnt 0x0
	v_mul_f32_e32 v0, v7, v0
	scratch_store_b32 off, v0, off offset:228
.LBB57_1128:
	s_wait_xcnt 0x0
	s_or_b32 exec_lo, exec_lo, s1
.LBB57_1129:
	s_clause 0x1
	scratch_load_b128 v[90:93], off, off
	scratch_load_b128 v[94:97], off, off offset:16
	s_wait_loadcnt 0x1
	s_clause 0x1
	global_store_b32 v[2:3], v90, off
	global_store_b32 v[4:5], v91, off
	scratch_load_b128 v[0:3], off, off offset:32
	s_clause 0x1
	global_store_b32 v[146:147], v92, off
	global_store_b32 v[148:149], v93, off
	s_clause 0x1
	scratch_load_b128 v[4:7], off, off offset:48
	scratch_load_b128 v[90:93], off, off offset:64
	s_wait_loadcnt 0x3
	s_clause 0x1
	global_store_b32 v[142:143], v94, off
	global_store_b32 v[144:145], v95, off
	scratch_load_b128 v[98:101], off, off offset:80
	s_clause 0x1
	global_store_b32 v[138:139], v96, off
	global_store_b32 v[140:141], v97, off
	s_clause 0x1
	scratch_load_b128 v[94:97], off, off offset:96
	;; [unrolled: 11-line block ×4, first 2 shown]
	scratch_load_b128 v[122:125], off, off offset:208
	scratch_load_b64 v[118:119], off, off offset:224
	s_wait_loadcnt 0xa
	s_clause 0x3
	global_store_b32 v[120:121], v90, off
	global_store_b32 v[8:9], v91, off
	global_store_b32 v[10:11], v92, off
	global_store_b32 v[12:13], v93, off
	s_wait_loadcnt 0x9
	s_clause 0x3
	global_store_b32 v[14:15], v98, off
	global_store_b32 v[16:17], v99, off
	global_store_b32 v[18:19], v100, off
	global_store_b32 v[20:21], v101, off
	;; [unrolled: 6-line block ×10, first 2 shown]
	s_wait_loadcnt 0x0
	s_clause 0x1
	global_store_b32 v[86:87], v118, off
	global_store_b32 v[88:89], v119, off
.LBB57_1130:
	s_sendmsg sendmsg(MSG_DEALLOC_VGPRS)
	s_endpgm
	.section	.rodata,"a",@progbits
	.p2align	6, 0x0
	.amdhsa_kernel _ZN9rocsolver6v33100L18trti2_kernel_smallILi58EfPfEEv13rocblas_fill_17rocblas_diagonal_T1_iil
		.amdhsa_group_segment_fixed_size 472
		.amdhsa_private_segment_fixed_size 240
		.amdhsa_kernarg_size 32
		.amdhsa_user_sgpr_count 2
		.amdhsa_user_sgpr_dispatch_ptr 0
		.amdhsa_user_sgpr_queue_ptr 0
		.amdhsa_user_sgpr_kernarg_segment_ptr 1
		.amdhsa_user_sgpr_dispatch_id 0
		.amdhsa_user_sgpr_kernarg_preload_length 0
		.amdhsa_user_sgpr_kernarg_preload_offset 0
		.amdhsa_user_sgpr_private_segment_size 0
		.amdhsa_wavefront_size32 1
		.amdhsa_uses_dynamic_stack 0
		.amdhsa_enable_private_segment 1
		.amdhsa_system_sgpr_workgroup_id_x 1
		.amdhsa_system_sgpr_workgroup_id_y 0
		.amdhsa_system_sgpr_workgroup_id_z 0
		.amdhsa_system_sgpr_workgroup_info 0
		.amdhsa_system_vgpr_workitem_id 0
		.amdhsa_next_free_vgpr 150
		.amdhsa_next_free_sgpr 22
		.amdhsa_named_barrier_count 0
		.amdhsa_reserve_vcc 1
		.amdhsa_float_round_mode_32 0
		.amdhsa_float_round_mode_16_64 0
		.amdhsa_float_denorm_mode_32 3
		.amdhsa_float_denorm_mode_16_64 3
		.amdhsa_fp16_overflow 0
		.amdhsa_memory_ordered 1
		.amdhsa_forward_progress 1
		.amdhsa_inst_pref_size 253
		.amdhsa_round_robin_scheduling 0
		.amdhsa_exception_fp_ieee_invalid_op 0
		.amdhsa_exception_fp_denorm_src 0
		.amdhsa_exception_fp_ieee_div_zero 0
		.amdhsa_exception_fp_ieee_overflow 0
		.amdhsa_exception_fp_ieee_underflow 0
		.amdhsa_exception_fp_ieee_inexact 0
		.amdhsa_exception_int_div_zero 0
	.end_amdhsa_kernel
	.section	.text._ZN9rocsolver6v33100L18trti2_kernel_smallILi58EfPfEEv13rocblas_fill_17rocblas_diagonal_T1_iil,"axG",@progbits,_ZN9rocsolver6v33100L18trti2_kernel_smallILi58EfPfEEv13rocblas_fill_17rocblas_diagonal_T1_iil,comdat
.Lfunc_end57:
	.size	_ZN9rocsolver6v33100L18trti2_kernel_smallILi58EfPfEEv13rocblas_fill_17rocblas_diagonal_T1_iil, .Lfunc_end57-_ZN9rocsolver6v33100L18trti2_kernel_smallILi58EfPfEEv13rocblas_fill_17rocblas_diagonal_T1_iil
                                        ; -- End function
	.set _ZN9rocsolver6v33100L18trti2_kernel_smallILi58EfPfEEv13rocblas_fill_17rocblas_diagonal_T1_iil.num_vgpr, 150
	.set _ZN9rocsolver6v33100L18trti2_kernel_smallILi58EfPfEEv13rocblas_fill_17rocblas_diagonal_T1_iil.num_agpr, 0
	.set _ZN9rocsolver6v33100L18trti2_kernel_smallILi58EfPfEEv13rocblas_fill_17rocblas_diagonal_T1_iil.numbered_sgpr, 22
	.set _ZN9rocsolver6v33100L18trti2_kernel_smallILi58EfPfEEv13rocblas_fill_17rocblas_diagonal_T1_iil.num_named_barrier, 0
	.set _ZN9rocsolver6v33100L18trti2_kernel_smallILi58EfPfEEv13rocblas_fill_17rocblas_diagonal_T1_iil.private_seg_size, 240
	.set _ZN9rocsolver6v33100L18trti2_kernel_smallILi58EfPfEEv13rocblas_fill_17rocblas_diagonal_T1_iil.uses_vcc, 1
	.set _ZN9rocsolver6v33100L18trti2_kernel_smallILi58EfPfEEv13rocblas_fill_17rocblas_diagonal_T1_iil.uses_flat_scratch, 1
	.set _ZN9rocsolver6v33100L18trti2_kernel_smallILi58EfPfEEv13rocblas_fill_17rocblas_diagonal_T1_iil.has_dyn_sized_stack, 0
	.set _ZN9rocsolver6v33100L18trti2_kernel_smallILi58EfPfEEv13rocblas_fill_17rocblas_diagonal_T1_iil.has_recursion, 0
	.set _ZN9rocsolver6v33100L18trti2_kernel_smallILi58EfPfEEv13rocblas_fill_17rocblas_diagonal_T1_iil.has_indirect_call, 0
	.section	.AMDGPU.csdata,"",@progbits
; Kernel info:
; codeLenInByte = 32352
; TotalNumSgprs: 24
; NumVgprs: 150
; ScratchSize: 240
; MemoryBound: 0
; FloatMode: 240
; IeeeMode: 1
; LDSByteSize: 472 bytes/workgroup (compile time only)
; SGPRBlocks: 0
; VGPRBlocks: 9
; NumSGPRsForWavesPerEU: 24
; NumVGPRsForWavesPerEU: 150
; NamedBarCnt: 0
; Occupancy: 6
; WaveLimiterHint : 0
; COMPUTE_PGM_RSRC2:SCRATCH_EN: 1
; COMPUTE_PGM_RSRC2:USER_SGPR: 2
; COMPUTE_PGM_RSRC2:TRAP_HANDLER: 0
; COMPUTE_PGM_RSRC2:TGID_X_EN: 1
; COMPUTE_PGM_RSRC2:TGID_Y_EN: 0
; COMPUTE_PGM_RSRC2:TGID_Z_EN: 0
; COMPUTE_PGM_RSRC2:TIDIG_COMP_CNT: 0
	.section	.text._ZN9rocsolver6v33100L18trti2_kernel_smallILi59EfPfEEv13rocblas_fill_17rocblas_diagonal_T1_iil,"axG",@progbits,_ZN9rocsolver6v33100L18trti2_kernel_smallILi59EfPfEEv13rocblas_fill_17rocblas_diagonal_T1_iil,comdat
	.globl	_ZN9rocsolver6v33100L18trti2_kernel_smallILi59EfPfEEv13rocblas_fill_17rocblas_diagonal_T1_iil ; -- Begin function _ZN9rocsolver6v33100L18trti2_kernel_smallILi59EfPfEEv13rocblas_fill_17rocblas_diagonal_T1_iil
	.p2align	8
	.type	_ZN9rocsolver6v33100L18trti2_kernel_smallILi59EfPfEEv13rocblas_fill_17rocblas_diagonal_T1_iil,@function
_ZN9rocsolver6v33100L18trti2_kernel_smallILi59EfPfEEv13rocblas_fill_17rocblas_diagonal_T1_iil: ; @_ZN9rocsolver6v33100L18trti2_kernel_smallILi59EfPfEEv13rocblas_fill_17rocblas_diagonal_T1_iil
; %bb.0:
	s_mov_b32 s2, exec_lo
	v_cmpx_gt_u32_e32 59, v0
	s_cbranch_execz .LBB58_1150
; %bb.1:
	s_load_b256 s[4:11], s[0:1], 0x0
	s_wait_xcnt 0x0
	s_bfe_u32 s0, ttmp6, 0x4000c
	s_and_b32 s1, ttmp6, 15
	s_add_co_i32 s0, s0, 1
	s_getreg_b32 s2, hwreg(HW_REG_IB_STS2, 6, 4)
	s_mul_i32 s0, ttmp9, s0
	v_lshlrev_b32_e32 v6, 2, v0
	s_add_co_i32 s0, s1, s0
	v_mov_b32_e32 v7, 0
	s_wait_kmcnt 0x0
	v_add3_u32 v8, s9, s9, v0
	s_ashr_i32 s1, s8, 31
	s_cmp_eq_u32 s2, 0
	s_cselect_b32 s2, ttmp9, s0
	s_delay_alu instid0(VALU_DEP_1)
	v_add_nc_u32_e32 v10, s9, v8
	s_ashr_i32 s3, s2, 31
	s_mov_b32 s0, s8
	s_mul_u64 s[2:3], s[10:11], s[2:3]
	s_lshl_b64 s[0:1], s[0:1], 2
	v_add_nc_u32_e32 v12, s9, v10
	s_lshl_b64 s[2:3], s[2:3], 2
	v_ashrrev_i32_e32 v9, 31, v8
	s_add_nc_u64 s[2:3], s[6:7], s[2:3]
	s_delay_alu instid0(VALU_DEP_2)
	v_add_nc_u32_e32 v14, s9, v12
	s_add_nc_u64 s[6:7], s[2:3], s[0:1]
	s_mov_b32 s0, s9
	v_add_nc_u64_e32 v[2:3], s[6:7], v[6:7]
	s_ashr_i32 s1, s9, 31
	v_add_nc_u32_e32 v16, s9, v14
	s_cmp_lg_u32 s5, 0x84
	v_ashrrev_i32_e32 v11, 31, v10
	s_cselect_b32 s3, -1, 0
	s_cmp_eq_u32 s5, 0x84
	v_add_nc_u32_e32 v18, s9, v16
	v_lshl_add_u64 v[4:5], s[0:1], 2, v[2:3]
	s_delay_alu instid0(VALU_DEP_2)
	v_dual_ashrrev_i32 v17, 31, v16 :: v_dual_ashrrev_i32 v19, 31, v18
	v_add_nc_u32_e32 v20, s9, v18
	s_clause 0x7
	global_load_b32 v100, v0, s[6:7] scale_offset
	global_load_b32 v101, v[4:5], off
	global_load_b32 v102, v8, s[6:7] scale_offset
	global_load_b32 v103, v10, s[6:7] scale_offset
	;; [unrolled: 1-line block ×6, first 2 shown]
	v_dual_ashrrev_i32 v13, 31, v12 :: v_dual_ashrrev_i32 v15, 31, v14
	v_add_nc_u32_e32 v22, s9, v20
	s_delay_alu instid0(VALU_DEP_1) | instskip(NEXT) | instid1(VALU_DEP_1)
	v_add_nc_u32_e32 v24, s9, v22
	v_add_nc_u32_e32 v26, s9, v24
	s_delay_alu instid0(VALU_DEP_1) | instskip(NEXT) | instid1(VALU_DEP_1)
	v_dual_add_nc_u32 v28, s9, v26 :: v_dual_ashrrev_i32 v21, 31, v20
	v_dual_ashrrev_i32 v23, 31, v22 :: v_dual_add_nc_u32 v30, s9, v28
	s_delay_alu instid0(VALU_DEP_1)
	v_dual_ashrrev_i32 v29, 31, v28 :: v_dual_ashrrev_i32 v31, 31, v30
	v_add_nc_u32_e32 v32, s9, v30
	s_clause 0x3
	global_load_b32 v108, v20, s[6:7] scale_offset
	global_load_b32 v109, v22, s[6:7] scale_offset
	;; [unrolled: 1-line block ×4, first 2 shown]
	v_dual_ashrrev_i32 v25, 31, v24 :: v_dual_ashrrev_i32 v27, 31, v26
	v_add_nc_u32_e32 v34, s9, v32
	s_delay_alu instid0(VALU_DEP_1) | instskip(NEXT) | instid1(VALU_DEP_1)
	v_add_nc_u32_e32 v36, s9, v34
	v_add_nc_u32_e32 v38, s9, v36
	s_delay_alu instid0(VALU_DEP_1)
	v_add_nc_u32_e32 v40, s9, v38
	s_clause 0x3
	global_load_b32 v112, v28, s[6:7] scale_offset
	global_load_b32 v113, v30, s[6:7] scale_offset
	;; [unrolled: 1-line block ×4, first 2 shown]
	v_dual_ashrrev_i32 v33, 31, v32 :: v_dual_ashrrev_i32 v35, 31, v34
	v_dual_add_nc_u32 v42, s9, v40 :: v_dual_ashrrev_i32 v41, 31, v40
	s_delay_alu instid0(VALU_DEP_1)
	v_dual_ashrrev_i32 v43, 31, v42 :: v_dual_add_nc_u32 v44, s9, v42
	s_clause 0x3
	global_load_b32 v116, v36, s[6:7] scale_offset
	global_load_b32 v117, v38, s[6:7] scale_offset
	;; [unrolled: 1-line block ×4, first 2 shown]
	v_dual_ashrrev_i32 v37, 31, v36 :: v_dual_ashrrev_i32 v39, 31, v38
	v_add_nc_u32_e32 v46, s9, v44
	s_delay_alu instid0(VALU_DEP_1) | instskip(NEXT) | instid1(VALU_DEP_1)
	v_add_nc_u32_e32 v48, s9, v46
	v_dual_add_nc_u32 v50, s9, v48 :: v_dual_ashrrev_i32 v49, 31, v48
	s_delay_alu instid0(VALU_DEP_1)
	v_dual_ashrrev_i32 v51, 31, v50 :: v_dual_add_nc_u32 v52, s9, v50
	s_clause 0x3
	global_load_b32 v120, v44, s[6:7] scale_offset
	global_load_b32 v121, v46, s[6:7] scale_offset
	;; [unrolled: 1-line block ×4, first 2 shown]
	v_dual_ashrrev_i32 v45, 31, v44 :: v_dual_ashrrev_i32 v47, 31, v46
	v_add_nc_u32_e32 v54, s9, v52
	s_delay_alu instid0(VALU_DEP_1) | instskip(NEXT) | instid1(VALU_DEP_1)
	v_add_nc_u32_e32 v56, s9, v54
	v_add_nc_u32_e32 v58, s9, v56
	s_delay_alu instid0(VALU_DEP_1) | instskip(NEXT) | instid1(VALU_DEP_1)
	v_dual_add_nc_u32 v60, s9, v58 :: v_dual_ashrrev_i32 v53, 31, v52
	v_dual_ashrrev_i32 v55, 31, v54 :: v_dual_add_nc_u32 v62, s9, v60
	s_delay_alu instid0(VALU_DEP_1) | instskip(SKIP_1) | instid1(VALU_DEP_1)
	v_dual_ashrrev_i32 v61, 31, v60 :: v_dual_ashrrev_i32 v63, 31, v62
	v_dual_add_nc_u32 v64, s9, v62 :: v_dual_ashrrev_i32 v57, 31, v56
	v_dual_ashrrev_i32 v59, 31, v58 :: v_dual_add_nc_u32 v66, s9, v64
	s_delay_alu instid0(VALU_DEP_1) | instskip(NEXT) | instid1(VALU_DEP_1)
	v_add_nc_u32_e32 v68, s9, v66
	v_add_nc_u32_e32 v70, s9, v68
	s_delay_alu instid0(VALU_DEP_1)
	v_add_nc_u32_e32 v72, s9, v70
	s_clause 0x7
	global_load_b32 v124, v52, s[6:7] scale_offset
	global_load_b32 v125, v54, s[6:7] scale_offset
	;; [unrolled: 1-line block ×8, first 2 shown]
	v_dual_ashrrev_i32 v65, 31, v64 :: v_dual_ashrrev_i32 v67, 31, v66
	v_dual_add_nc_u32 v74, s9, v72 :: v_dual_ashrrev_i32 v73, 31, v72
	s_delay_alu instid0(VALU_DEP_1) | instskip(SKIP_1) | instid1(VALU_DEP_2)
	v_dual_ashrrev_i32 v75, 31, v74 :: v_dual_add_nc_u32 v76, s9, v74
	v_dual_ashrrev_i32 v69, 31, v68 :: v_dual_ashrrev_i32 v71, 31, v70
	v_add_nc_u32_e32 v78, s9, v76
	s_delay_alu instid0(VALU_DEP_1) | instskip(NEXT) | instid1(VALU_DEP_1)
	v_add_nc_u32_e32 v80, s9, v78
	v_add_nc_u32_e32 v82, s9, v80
	s_delay_alu instid0(VALU_DEP_1) | instskip(NEXT) | instid1(VALU_DEP_1)
	v_dual_add_nc_u32 v84, s9, v82 :: v_dual_ashrrev_i32 v77, 31, v76
	v_dual_ashrrev_i32 v79, 31, v78 :: v_dual_add_nc_u32 v86, s9, v84
	s_delay_alu instid0(VALU_DEP_1)
	v_dual_ashrrev_i32 v85, 31, v84 :: v_dual_ashrrev_i32 v87, 31, v86
	v_add_nc_u32_e32 v88, s9, v86
	s_clause 0x7
	global_load_b32 v132, v68, s[6:7] scale_offset
	global_load_b32 v133, v70, s[6:7] scale_offset
	;; [unrolled: 1-line block ×8, first 2 shown]
	v_dual_ashrrev_i32 v81, 31, v80 :: v_dual_ashrrev_i32 v83, 31, v82
	v_add_nc_u32_e32 v90, s9, v88
	s_delay_alu instid0(VALU_DEP_1) | instskip(NEXT) | instid1(VALU_DEP_1)
	v_add_nc_u32_e32 v92, s9, v90
	v_add_nc_u32_e32 v94, s9, v92
	s_delay_alu instid0(VALU_DEP_1) | instskip(NEXT) | instid1(VALU_DEP_1)
	v_dual_add_nc_u32 v96, s9, v94 :: v_dual_ashrrev_i32 v89, 31, v88
	v_dual_ashrrev_i32 v91, 31, v90 :: v_dual_add_nc_u32 v98, s9, v96
	s_delay_alu instid0(VALU_DEP_1)
	v_dual_ashrrev_i32 v97, 31, v96 :: v_dual_ashrrev_i32 v99, 31, v98
	s_wait_loadcnt 0x24
	scratch_store_b128 off, v[100:103], off
	s_wait_xcnt 0x0
	v_add_nc_u32_e32 v100, s9, v98
	s_wait_loadcnt 0x20
	scratch_store_b128 off, v[104:107], off offset:16
	s_wait_loadcnt 0x1c
	scratch_store_b128 off, v[108:111], off offset:32
	v_add_nc_u32_e32 v102, s9, v100
	s_clause 0x7
	global_load_b32 v140, v84, s[6:7] scale_offset
	global_load_b32 v141, v86, s[6:7] scale_offset
	;; [unrolled: 1-line block ×8, first 2 shown]
	v_dual_ashrrev_i32 v93, 31, v92 :: v_dual_ashrrev_i32 v95, 31, v94
	s_wait_xcnt 0x9
	v_add_nc_u32_e32 v104, s9, v102
	s_delay_alu instid0(VALU_DEP_1) | instskip(SKIP_1) | instid1(VALU_DEP_1)
	v_add_nc_u32_e32 v106, s9, v104
	s_wait_xcnt 0x8
	v_dual_add_nc_u32 v108, s9, v106 :: v_dual_ashrrev_i32 v101, 31, v100
	v_ashrrev_i32_e32 v103, 31, v102
	s_wait_loadcnt 0x20
	scratch_store_b128 off, v[112:115], off offset:48
	v_dual_add_nc_u32 v110, s9, v108 :: v_dual_ashrrev_i32 v109, 31, v108
	s_wait_xcnt 0x0
	s_delay_alu instid0(VALU_DEP_1)
	v_dual_ashrrev_i32 v111, 31, v110 :: v_dual_add_nc_u32 v112, s9, v110
	v_dual_ashrrev_i32 v105, 31, v104 :: v_dual_ashrrev_i32 v107, 31, v106
	s_wait_loadcnt 0x1c
	scratch_store_b128 off, v[116:119], off offset:64
	v_add_nc_u32_e32 v114, s9, v112
	s_wait_xcnt 0x0
	s_delay_alu instid0(VALU_DEP_1) | instskip(NEXT) | instid1(VALU_DEP_1)
	v_add_nc_u32_e32 v116, s9, v114
	v_dual_add_nc_u32 v118, s9, v116 :: v_dual_ashrrev_i32 v117, 31, v116
	s_delay_alu instid0(VALU_DEP_1)
	v_ashrrev_i32_e32 v119, 31, v118
	s_wait_loadcnt 0x18
	scratch_store_b128 off, v[120:123], off offset:80
	s_wait_xcnt 0x0
	v_dual_add_nc_u32 v120, s9, v118 :: v_dual_ashrrev_i32 v113, 31, v112
	v_dual_mov_b32 v122, -1.0 :: v_dual_ashrrev_i32 v115, 31, v114
	s_delay_alu instid0(VALU_DEP_2)
	v_ashrrev_i32_e32 v121, 31, v120
	s_wait_loadcnt 0x14
	scratch_store_b128 off, v[124:127], off offset:96
	s_wait_loadcnt 0x10
	scratch_store_b128 off, v[128:131], off offset:112
	;; [unrolled: 2-line block ×4, first 2 shown]
	s_clause 0xa
	global_load_b32 v124, v100, s[6:7] scale_offset
	global_load_b32 v125, v102, s[6:7] scale_offset
	;; [unrolled: 1-line block ×11, first 2 shown]
	s_wait_loadcnt 0xf
	scratch_store_b128 off, v[140:143], off offset:160
	s_wait_loadcnt 0xb
	scratch_store_b128 off, v[144:147], off offset:176
	;; [unrolled: 2-line block ×4, first 2 shown]
	s_wait_loadcnt 0x0
	scratch_store_b96 off, v[132:134], off offset:224
	s_cbranch_scc1 .LBB58_3
; %bb.2:
	scratch_load_b32 v1, v0, off scale_offset
	s_wait_loadcnt 0x0
	v_div_scale_f32 v7, null, v1, v1, 1.0
	s_delay_alu instid0(VALU_DEP_1) | instskip(SKIP_1) | instid1(TRANS32_DEP_1)
	v_rcp_f32_e32 v122, v7
	v_nop
	v_fma_f32 v123, -v7, v122, 1.0
	s_delay_alu instid0(VALU_DEP_1) | instskip(SKIP_2) | instid1(VALU_DEP_1)
	v_fmac_f32_e32 v122, v123, v122
	v_div_scale_f32 v123, vcc_lo, 1.0, v1, 1.0
	s_wait_xcnt 0x3
	v_mul_f32_e32 v124, v123, v122
	s_delay_alu instid0(VALU_DEP_1) | instskip(NEXT) | instid1(VALU_DEP_1)
	v_fma_f32 v125, -v7, v124, v123
	v_fmac_f32_e32 v124, v125, v122
	s_delay_alu instid0(VALU_DEP_1) | instskip(NEXT) | instid1(VALU_DEP_1)
	v_fma_f32 v7, -v7, v124, v123
	v_div_fmas_f32 v7, v7, v122, v124
	s_delay_alu instid0(VALU_DEP_1) | instskip(NEXT) | instid1(VALU_DEP_1)
	v_div_fixup_f32 v1, v7, v1, 1.0
	v_xor_b32_e32 v122, 0x80000000, v1
	scratch_store_b32 v0, v1, off scale_offset
.LBB58_3:
	s_wait_xcnt 0x0
	v_add_nc_u32_e32 v1, 0xf0, v6
	v_mov_b32_e32 v7, v6
	s_cmp_eq_u32 s4, 0x79
	s_mov_b32 s1, -1
	ds_store_b32 v6, v122
	s_cbranch_scc1 .LBB58_577
; %bb.4:
	scratch_load_b32 v122, off, off offset:228
	v_cmp_eq_u32_e64 s0, 58, v0
	s_movk_i32 s1, 0x50
	s_movk_i32 s2, 0x60
	;; [unrolled: 1-line block ×10, first 2 shown]
	s_wait_loadcnt 0x0
	ds_store_b32 v1, v122
	s_wait_storecnt_dscnt 0x0
	s_barrier_signal -1
	s_barrier_wait -1
	s_wait_xcnt 0x0
	s_and_saveexec_b32 s4, s0
	s_cbranch_execz .LBB58_10
; %bb.5:
	s_and_b32 vcc_lo, exec_lo, s3
	s_cbranch_vccz .LBB58_7
; %bb.6:
	scratch_load_b32 v122, v7, off
	ds_load_b32 v123, v1
	s_wait_loadcnt_dscnt 0x0
	v_mul_f32_e32 v122, v122, v123
	s_cbranch_execz .LBB58_8
	s_branch .LBB58_9
.LBB58_7:
                                        ; implicit-def: $vgpr122
.LBB58_8:
	ds_load_b32 v122, v1
.LBB58_9:
	v_mov_b32_e32 v123, 0
	ds_load_b32 v123, v123 offset:228
	s_wait_dscnt 0x0
	v_mul_f32_e32 v122, v122, v123
	scratch_store_b32 off, v122, off offset:228
.LBB58_10:
	s_wait_xcnt 0x0
	s_or_b32 exec_lo, exec_lo, s4
	scratch_load_b32 v122, off, off offset:224
	s_mov_b32 s11, s2
	v_cmp_lt_u32_e64 s2, 56, v0
	s_mov_b32 s4, 16
	s_mov_b32 s5, 32
	;; [unrolled: 1-line block ×5, first 2 shown]
	s_wait_loadcnt 0x0
	ds_store_b32 v1, v122
	s_wait_storecnt_dscnt 0x0
	s_barrier_signal -1
	s_barrier_wait -1
	s_wait_xcnt 0x0
	s_and_saveexec_b32 s1, s2
	s_cbranch_execz .LBB58_16
; %bb.11:
	s_and_not1_b32 vcc_lo, exec_lo, s3
	s_cbranch_vccnz .LBB58_13
; %bb.12:
	scratch_load_b32 v122, v7, off
	ds_load_b32 v123, v1
	s_wait_loadcnt_dscnt 0x0
	v_mul_f32_e32 v122, v122, v123
	s_cbranch_execz .LBB58_14
	s_branch .LBB58_15
.LBB58_13:
                                        ; implicit-def: $vgpr122
.LBB58_14:
	ds_load_b32 v122, v1
.LBB58_15:
	scratch_load_b32 v123, off, off offset:228
	v_mov_b32_e32 v124, 0
	ds_load_2addr_b32 v[124:125], v124 offset0:56 offset1:117
	s_wait_loadcnt_dscnt 0x0
	v_fma_f32 v123, v123, v125, v122
	s_delay_alu instid0(VALU_DEP_1) | instskip(NEXT) | instid1(VALU_DEP_1)
	v_cndmask_b32_e64 v122, v122, v123, s0
	v_mul_f32_e32 v122, v122, v124
	scratch_store_b32 off, v122, off offset:224
.LBB58_16:
	s_wait_xcnt 0x0
	s_or_b32 exec_lo, exec_lo, s1
	scratch_load_b32 v122, off, off offset:220
	v_cmp_lt_u32_e64 s1, 55, v0
	s_wait_loadcnt 0x0
	ds_store_b32 v1, v122
	s_wait_storecnt_dscnt 0x0
	s_barrier_signal -1
	s_barrier_wait -1
	s_wait_xcnt 0x0
	s_and_saveexec_b32 s0, s1
	s_cbranch_execz .LBB58_26
; %bb.17:
	s_and_not1_b32 vcc_lo, exec_lo, s3
	s_cbranch_vccnz .LBB58_19
; %bb.18:
	scratch_load_b32 v122, v7, off
	ds_load_b32 v123, v1
	s_wait_loadcnt_dscnt 0x0
	v_mul_f32_e32 v122, v122, v123
	s_cbranch_execz .LBB58_20
	s_branch .LBB58_21
.LBB58_19:
                                        ; implicit-def: $vgpr122
.LBB58_20:
	ds_load_b32 v122, v1
.LBB58_21:
	s_and_saveexec_b32 s20, s2
	s_cbranch_execz .LBB58_25
; %bb.22:
	v_subrev_nc_u32_e32 v123, 56, v0
	s_movk_i32 s21, 0x1d0
	s_mov_b32 s2, 0
.LBB58_23:                              ; =>This Inner Loop Header: Depth=1
	scratch_load_b32 v124, off, s19
	v_dual_mov_b32 v125, s21 :: v_dual_add_nc_u32 v123, -1, v123
	s_add_co_i32 s21, s21, 4
	s_wait_xcnt 0x0
	s_add_co_i32 s19, s19, 4
	ds_load_b32 v125, v125
	v_cmp_eq_u32_e32 vcc_lo, 0, v123
	s_or_b32 s2, vcc_lo, s2
	s_wait_loadcnt_dscnt 0x0
	v_fmac_f32_e32 v122, v124, v125
	s_and_not1_b32 exec_lo, exec_lo, s2
	s_cbranch_execnz .LBB58_23
; %bb.24:
	s_or_b32 exec_lo, exec_lo, s2
.LBB58_25:
	s_delay_alu instid0(SALU_CYCLE_1)
	s_or_b32 exec_lo, exec_lo, s20
	v_mov_b32_e32 v123, 0
	ds_load_b32 v123, v123 offset:220
	s_wait_dscnt 0x0
	v_mul_f32_e32 v122, v122, v123
	scratch_store_b32 off, v122, off offset:220
.LBB58_26:
	s_wait_xcnt 0x0
	s_or_b32 exec_lo, exec_lo, s0
	scratch_load_b32 v122, off, off offset:216
	v_cmp_lt_u32_e64 s0, 54, v0
	s_wait_loadcnt 0x0
	ds_store_b32 v1, v122
	s_wait_storecnt_dscnt 0x0
	s_barrier_signal -1
	s_barrier_wait -1
	s_wait_xcnt 0x0
	s_and_saveexec_b32 s2, s0
	s_cbranch_execz .LBB58_36
; %bb.27:
	s_and_not1_b32 vcc_lo, exec_lo, s3
	s_cbranch_vccnz .LBB58_29
; %bb.28:
	scratch_load_b32 v122, v7, off
	ds_load_b32 v123, v1
	s_wait_loadcnt_dscnt 0x0
	v_mul_f32_e32 v122, v122, v123
	s_cbranch_execz .LBB58_30
	s_branch .LBB58_31
.LBB58_29:
                                        ; implicit-def: $vgpr122
.LBB58_30:
	ds_load_b32 v122, v1
.LBB58_31:
	s_and_saveexec_b32 s19, s1
	s_cbranch_execz .LBB58_35
; %bb.32:
	v_subrev_nc_u32_e32 v123, 55, v0
	s_movk_i32 s1, 0xdc
	s_movk_i32 s21, 0x1cc
	s_mov_b32 s20, 0
.LBB58_33:                              ; =>This Inner Loop Header: Depth=1
	scratch_load_b32 v124, off, s1
	v_dual_mov_b32 v125, s21 :: v_dual_add_nc_u32 v123, -1, v123
	s_add_co_i32 s21, s21, 4
	s_wait_xcnt 0x0
	s_add_co_i32 s1, s1, 4
	ds_load_b32 v125, v125
	v_cmp_eq_u32_e32 vcc_lo, 0, v123
	s_or_b32 s20, vcc_lo, s20
	s_wait_loadcnt_dscnt 0x0
	v_fmac_f32_e32 v122, v124, v125
	s_and_not1_b32 exec_lo, exec_lo, s20
	s_cbranch_execnz .LBB58_33
; %bb.34:
	s_or_b32 exec_lo, exec_lo, s20
.LBB58_35:
	s_delay_alu instid0(SALU_CYCLE_1)
	s_or_b32 exec_lo, exec_lo, s19
	v_mov_b32_e32 v123, 0
	ds_load_b32 v123, v123 offset:216
	s_wait_dscnt 0x0
	v_mul_f32_e32 v122, v122, v123
	scratch_store_b32 off, v122, off offset:216
.LBB58_36:
	s_wait_xcnt 0x0
	s_or_b32 exec_lo, exec_lo, s2
	scratch_load_b32 v122, off, off offset:212
	v_cmp_lt_u32_e64 s1, 53, v0
	s_wait_loadcnt 0x0
	ds_store_b32 v1, v122
	s_wait_storecnt_dscnt 0x0
	s_barrier_signal -1
	s_barrier_wait -1
	s_wait_xcnt 0x0
	s_and_saveexec_b32 s2, s1
	s_cbranch_execz .LBB58_46
; %bb.37:
	s_and_not1_b32 vcc_lo, exec_lo, s3
	s_cbranch_vccnz .LBB58_39
; %bb.38:
	scratch_load_b32 v122, v7, off
	ds_load_b32 v123, v1
	s_wait_loadcnt_dscnt 0x0
	v_mul_f32_e32 v122, v122, v123
	s_cbranch_execz .LBB58_40
	s_branch .LBB58_41
.LBB58_39:
                                        ; implicit-def: $vgpr122
.LBB58_40:
	ds_load_b32 v122, v1
.LBB58_41:
	s_and_saveexec_b32 s19, s0
	s_cbranch_execz .LBB58_45
; %bb.42:
	v_subrev_nc_u32_e32 v123, 54, v0
	s_movk_i32 s0, 0xd8
	s_movk_i32 s21, 0x1c8
	s_mov_b32 s20, 0
.LBB58_43:                              ; =>This Inner Loop Header: Depth=1
	scratch_load_b32 v124, off, s0
	v_dual_mov_b32 v125, s21 :: v_dual_add_nc_u32 v123, -1, v123
	s_add_co_i32 s21, s21, 4
	s_wait_xcnt 0x0
	s_add_co_i32 s0, s0, 4
	ds_load_b32 v125, v125
	v_cmp_eq_u32_e32 vcc_lo, 0, v123
	s_or_b32 s20, vcc_lo, s20
	s_wait_loadcnt_dscnt 0x0
	v_fmac_f32_e32 v122, v124, v125
	s_and_not1_b32 exec_lo, exec_lo, s20
	s_cbranch_execnz .LBB58_43
; %bb.44:
	s_or_b32 exec_lo, exec_lo, s20
.LBB58_45:
	s_delay_alu instid0(SALU_CYCLE_1)
	s_or_b32 exec_lo, exec_lo, s19
	v_mov_b32_e32 v123, 0
	ds_load_b32 v123, v123 offset:212
	s_wait_dscnt 0x0
	v_mul_f32_e32 v122, v122, v123
	scratch_store_b32 off, v122, off offset:212
.LBB58_46:
	;; [unrolled: 58-line block ×3, first 2 shown]
	s_wait_xcnt 0x0
	s_or_b32 exec_lo, exec_lo, s2
	scratch_load_b32 v122, off, off offset:204
	v_cmp_lt_u32_e64 s1, 51, v0
	s_wait_loadcnt 0x0
	ds_store_b32 v1, v122
	s_wait_storecnt_dscnt 0x0
	s_barrier_signal -1
	s_barrier_wait -1
	s_wait_xcnt 0x0
	s_and_saveexec_b32 s2, s1
	s_cbranch_execz .LBB58_66
; %bb.57:
	s_and_not1_b32 vcc_lo, exec_lo, s3
	s_cbranch_vccnz .LBB58_59
; %bb.58:
	scratch_load_b32 v122, v7, off
	ds_load_b32 v123, v1
	s_wait_loadcnt_dscnt 0x0
	v_mul_f32_e32 v122, v122, v123
	s_cbranch_execz .LBB58_60
	s_branch .LBB58_61
.LBB58_59:
                                        ; implicit-def: $vgpr122
.LBB58_60:
	ds_load_b32 v122, v1
.LBB58_61:
	s_and_saveexec_b32 s19, s0
	s_cbranch_execz .LBB58_65
; %bb.62:
	v_subrev_nc_u32_e32 v123, 52, v0
	s_movk_i32 s20, 0x1c0
	s_mov_b32 s0, 0
.LBB58_63:                              ; =>This Inner Loop Header: Depth=1
	scratch_load_b32 v124, off, s18
	v_dual_mov_b32 v125, s20 :: v_dual_add_nc_u32 v123, -1, v123
	s_add_co_i32 s20, s20, 4
	s_wait_xcnt 0x0
	s_add_co_i32 s18, s18, 4
	ds_load_b32 v125, v125
	v_cmp_eq_u32_e32 vcc_lo, 0, v123
	s_or_b32 s0, vcc_lo, s0
	s_wait_loadcnt_dscnt 0x0
	v_fmac_f32_e32 v122, v124, v125
	s_and_not1_b32 exec_lo, exec_lo, s0
	s_cbranch_execnz .LBB58_63
; %bb.64:
	s_or_b32 exec_lo, exec_lo, s0
.LBB58_65:
	s_delay_alu instid0(SALU_CYCLE_1)
	s_or_b32 exec_lo, exec_lo, s19
	v_mov_b32_e32 v123, 0
	ds_load_b32 v123, v123 offset:204
	s_wait_dscnt 0x0
	v_mul_f32_e32 v122, v122, v123
	scratch_store_b32 off, v122, off offset:204
.LBB58_66:
	s_wait_xcnt 0x0
	s_or_b32 exec_lo, exec_lo, s2
	scratch_load_b32 v122, off, off offset:200
	v_cmp_lt_u32_e64 s0, 50, v0
	s_wait_loadcnt 0x0
	ds_store_b32 v1, v122
	s_wait_storecnt_dscnt 0x0
	s_barrier_signal -1
	s_barrier_wait -1
	s_wait_xcnt 0x0
	s_and_saveexec_b32 s2, s0
	s_cbranch_execz .LBB58_76
; %bb.67:
	s_and_not1_b32 vcc_lo, exec_lo, s3
	s_cbranch_vccnz .LBB58_69
; %bb.68:
	scratch_load_b32 v122, v7, off
	ds_load_b32 v123, v1
	s_wait_loadcnt_dscnt 0x0
	v_mul_f32_e32 v122, v122, v123
	s_cbranch_execz .LBB58_70
	s_branch .LBB58_71
.LBB58_69:
                                        ; implicit-def: $vgpr122
.LBB58_70:
	ds_load_b32 v122, v1
.LBB58_71:
	s_and_saveexec_b32 s18, s1
	s_cbranch_execz .LBB58_75
; %bb.72:
	v_subrev_nc_u32_e32 v123, 51, v0
	s_movk_i32 s1, 0xcc
	s_movk_i32 s20, 0x1bc
	s_mov_b32 s19, 0
.LBB58_73:                              ; =>This Inner Loop Header: Depth=1
	scratch_load_b32 v124, off, s1
	v_dual_mov_b32 v125, s20 :: v_dual_add_nc_u32 v123, -1, v123
	s_add_co_i32 s20, s20, 4
	s_wait_xcnt 0x0
	s_add_co_i32 s1, s1, 4
	ds_load_b32 v125, v125
	v_cmp_eq_u32_e32 vcc_lo, 0, v123
	s_or_b32 s19, vcc_lo, s19
	s_wait_loadcnt_dscnt 0x0
	v_fmac_f32_e32 v122, v124, v125
	s_and_not1_b32 exec_lo, exec_lo, s19
	s_cbranch_execnz .LBB58_73
; %bb.74:
	s_or_b32 exec_lo, exec_lo, s19
.LBB58_75:
	s_delay_alu instid0(SALU_CYCLE_1)
	s_or_b32 exec_lo, exec_lo, s18
	v_mov_b32_e32 v123, 0
	ds_load_b32 v123, v123 offset:200
	s_wait_dscnt 0x0
	v_mul_f32_e32 v122, v122, v123
	scratch_store_b32 off, v122, off offset:200
.LBB58_76:
	s_wait_xcnt 0x0
	s_or_b32 exec_lo, exec_lo, s2
	scratch_load_b32 v122, off, off offset:196
	v_cmp_lt_u32_e64 s1, 49, v0
	s_wait_loadcnt 0x0
	ds_store_b32 v1, v122
	s_wait_storecnt_dscnt 0x0
	s_barrier_signal -1
	s_barrier_wait -1
	s_wait_xcnt 0x0
	s_and_saveexec_b32 s2, s1
	s_cbranch_execz .LBB58_86
; %bb.77:
	s_and_not1_b32 vcc_lo, exec_lo, s3
	s_cbranch_vccnz .LBB58_79
; %bb.78:
	scratch_load_b32 v122, v7, off
	ds_load_b32 v123, v1
	s_wait_loadcnt_dscnt 0x0
	v_mul_f32_e32 v122, v122, v123
	s_cbranch_execz .LBB58_80
	s_branch .LBB58_81
.LBB58_79:
                                        ; implicit-def: $vgpr122
.LBB58_80:
	ds_load_b32 v122, v1
.LBB58_81:
	s_and_saveexec_b32 s18, s0
	s_cbranch_execz .LBB58_85
; %bb.82:
	v_subrev_nc_u32_e32 v123, 50, v0
	s_movk_i32 s0, 0xc8
	s_movk_i32 s20, 0x1b8
	s_mov_b32 s19, 0
.LBB58_83:                              ; =>This Inner Loop Header: Depth=1
	scratch_load_b32 v124, off, s0
	v_dual_mov_b32 v125, s20 :: v_dual_add_nc_u32 v123, -1, v123
	s_add_co_i32 s20, s20, 4
	s_wait_xcnt 0x0
	s_add_co_i32 s0, s0, 4
	ds_load_b32 v125, v125
	v_cmp_eq_u32_e32 vcc_lo, 0, v123
	s_or_b32 s19, vcc_lo, s19
	s_wait_loadcnt_dscnt 0x0
	v_fmac_f32_e32 v122, v124, v125
	s_and_not1_b32 exec_lo, exec_lo, s19
	s_cbranch_execnz .LBB58_83
; %bb.84:
	s_or_b32 exec_lo, exec_lo, s19
.LBB58_85:
	s_delay_alu instid0(SALU_CYCLE_1)
	s_or_b32 exec_lo, exec_lo, s18
	v_mov_b32_e32 v123, 0
	ds_load_b32 v123, v123 offset:196
	s_wait_dscnt 0x0
	v_mul_f32_e32 v122, v122, v123
	scratch_store_b32 off, v122, off offset:196
.LBB58_86:
	;; [unrolled: 58-line block ×3, first 2 shown]
	s_wait_xcnt 0x0
	s_or_b32 exec_lo, exec_lo, s2
	scratch_load_b32 v122, off, off offset:188
	v_cmp_lt_u32_e64 s1, 47, v0
	s_wait_loadcnt 0x0
	ds_store_b32 v1, v122
	s_wait_storecnt_dscnt 0x0
	s_barrier_signal -1
	s_barrier_wait -1
	s_wait_xcnt 0x0
	s_and_saveexec_b32 s2, s1
	s_cbranch_execz .LBB58_106
; %bb.97:
	s_and_not1_b32 vcc_lo, exec_lo, s3
	s_cbranch_vccnz .LBB58_99
; %bb.98:
	scratch_load_b32 v122, v7, off
	ds_load_b32 v123, v1
	s_wait_loadcnt_dscnt 0x0
	v_mul_f32_e32 v122, v122, v123
	s_cbranch_execz .LBB58_100
	s_branch .LBB58_101
.LBB58_99:
                                        ; implicit-def: $vgpr122
.LBB58_100:
	ds_load_b32 v122, v1
.LBB58_101:
	s_and_saveexec_b32 s18, s0
	s_cbranch_execz .LBB58_105
; %bb.102:
	v_subrev_nc_u32_e32 v123, 48, v0
	s_movk_i32 s19, 0x1b0
	s_mov_b32 s0, 0
.LBB58_103:                             ; =>This Inner Loop Header: Depth=1
	scratch_load_b32 v124, off, s17
	v_dual_mov_b32 v125, s19 :: v_dual_add_nc_u32 v123, -1, v123
	s_add_co_i32 s19, s19, 4
	s_wait_xcnt 0x0
	s_add_co_i32 s17, s17, 4
	ds_load_b32 v125, v125
	v_cmp_eq_u32_e32 vcc_lo, 0, v123
	s_or_b32 s0, vcc_lo, s0
	s_wait_loadcnt_dscnt 0x0
	v_fmac_f32_e32 v122, v124, v125
	s_and_not1_b32 exec_lo, exec_lo, s0
	s_cbranch_execnz .LBB58_103
; %bb.104:
	s_or_b32 exec_lo, exec_lo, s0
.LBB58_105:
	s_delay_alu instid0(SALU_CYCLE_1)
	s_or_b32 exec_lo, exec_lo, s18
	v_mov_b32_e32 v123, 0
	ds_load_b32 v123, v123 offset:188
	s_wait_dscnt 0x0
	v_mul_f32_e32 v122, v122, v123
	scratch_store_b32 off, v122, off offset:188
.LBB58_106:
	s_wait_xcnt 0x0
	s_or_b32 exec_lo, exec_lo, s2
	scratch_load_b32 v122, off, off offset:184
	v_cmp_lt_u32_e64 s0, 46, v0
	s_wait_loadcnt 0x0
	ds_store_b32 v1, v122
	s_wait_storecnt_dscnt 0x0
	s_barrier_signal -1
	s_barrier_wait -1
	s_wait_xcnt 0x0
	s_and_saveexec_b32 s2, s0
	s_cbranch_execz .LBB58_116
; %bb.107:
	s_and_not1_b32 vcc_lo, exec_lo, s3
	s_cbranch_vccnz .LBB58_109
; %bb.108:
	scratch_load_b32 v122, v7, off
	ds_load_b32 v123, v1
	s_wait_loadcnt_dscnt 0x0
	v_mul_f32_e32 v122, v122, v123
	s_cbranch_execz .LBB58_110
	s_branch .LBB58_111
.LBB58_109:
                                        ; implicit-def: $vgpr122
.LBB58_110:
	ds_load_b32 v122, v1
.LBB58_111:
	s_and_saveexec_b32 s17, s1
	s_cbranch_execz .LBB58_115
; %bb.112:
	v_subrev_nc_u32_e32 v123, 47, v0
	s_movk_i32 s1, 0xbc
	s_movk_i32 s19, 0x1ac
	s_mov_b32 s18, 0
.LBB58_113:                             ; =>This Inner Loop Header: Depth=1
	scratch_load_b32 v124, off, s1
	v_dual_mov_b32 v125, s19 :: v_dual_add_nc_u32 v123, -1, v123
	s_add_co_i32 s19, s19, 4
	s_wait_xcnt 0x0
	s_add_co_i32 s1, s1, 4
	ds_load_b32 v125, v125
	v_cmp_eq_u32_e32 vcc_lo, 0, v123
	s_or_b32 s18, vcc_lo, s18
	s_wait_loadcnt_dscnt 0x0
	v_fmac_f32_e32 v122, v124, v125
	s_and_not1_b32 exec_lo, exec_lo, s18
	s_cbranch_execnz .LBB58_113
; %bb.114:
	s_or_b32 exec_lo, exec_lo, s18
.LBB58_115:
	s_delay_alu instid0(SALU_CYCLE_1)
	s_or_b32 exec_lo, exec_lo, s17
	v_mov_b32_e32 v123, 0
	ds_load_b32 v123, v123 offset:184
	s_wait_dscnt 0x0
	v_mul_f32_e32 v122, v122, v123
	scratch_store_b32 off, v122, off offset:184
.LBB58_116:
	s_wait_xcnt 0x0
	s_or_b32 exec_lo, exec_lo, s2
	scratch_load_b32 v122, off, off offset:180
	v_cmp_lt_u32_e64 s1, 45, v0
	s_wait_loadcnt 0x0
	ds_store_b32 v1, v122
	s_wait_storecnt_dscnt 0x0
	s_barrier_signal -1
	s_barrier_wait -1
	s_wait_xcnt 0x0
	s_and_saveexec_b32 s2, s1
	s_cbranch_execz .LBB58_126
; %bb.117:
	s_and_not1_b32 vcc_lo, exec_lo, s3
	s_cbranch_vccnz .LBB58_119
; %bb.118:
	scratch_load_b32 v122, v7, off
	ds_load_b32 v123, v1
	s_wait_loadcnt_dscnt 0x0
	v_mul_f32_e32 v122, v122, v123
	s_cbranch_execz .LBB58_120
	s_branch .LBB58_121
.LBB58_119:
                                        ; implicit-def: $vgpr122
.LBB58_120:
	ds_load_b32 v122, v1
.LBB58_121:
	s_and_saveexec_b32 s17, s0
	s_cbranch_execz .LBB58_125
; %bb.122:
	v_subrev_nc_u32_e32 v123, 46, v0
	s_movk_i32 s0, 0xb8
	s_movk_i32 s19, 0x1a8
	s_mov_b32 s18, 0
.LBB58_123:                             ; =>This Inner Loop Header: Depth=1
	scratch_load_b32 v124, off, s0
	v_dual_mov_b32 v125, s19 :: v_dual_add_nc_u32 v123, -1, v123
	s_add_co_i32 s19, s19, 4
	s_wait_xcnt 0x0
	s_add_co_i32 s0, s0, 4
	ds_load_b32 v125, v125
	v_cmp_eq_u32_e32 vcc_lo, 0, v123
	s_or_b32 s18, vcc_lo, s18
	s_wait_loadcnt_dscnt 0x0
	v_fmac_f32_e32 v122, v124, v125
	s_and_not1_b32 exec_lo, exec_lo, s18
	s_cbranch_execnz .LBB58_123
; %bb.124:
	s_or_b32 exec_lo, exec_lo, s18
.LBB58_125:
	s_delay_alu instid0(SALU_CYCLE_1)
	s_or_b32 exec_lo, exec_lo, s17
	v_mov_b32_e32 v123, 0
	ds_load_b32 v123, v123 offset:180
	s_wait_dscnt 0x0
	v_mul_f32_e32 v122, v122, v123
	scratch_store_b32 off, v122, off offset:180
.LBB58_126:
	;; [unrolled: 58-line block ×3, first 2 shown]
	s_wait_xcnt 0x0
	s_or_b32 exec_lo, exec_lo, s2
	scratch_load_b32 v122, off, off offset:172
	v_cmp_lt_u32_e64 s1, 43, v0
	s_wait_loadcnt 0x0
	ds_store_b32 v1, v122
	s_wait_storecnt_dscnt 0x0
	s_barrier_signal -1
	s_barrier_wait -1
	s_wait_xcnt 0x0
	s_and_saveexec_b32 s2, s1
	s_cbranch_execz .LBB58_146
; %bb.137:
	s_and_not1_b32 vcc_lo, exec_lo, s3
	s_cbranch_vccnz .LBB58_139
; %bb.138:
	scratch_load_b32 v122, v7, off
	ds_load_b32 v123, v1
	s_wait_loadcnt_dscnt 0x0
	v_mul_f32_e32 v122, v122, v123
	s_cbranch_execz .LBB58_140
	s_branch .LBB58_141
.LBB58_139:
                                        ; implicit-def: $vgpr122
.LBB58_140:
	ds_load_b32 v122, v1
.LBB58_141:
	s_and_saveexec_b32 s17, s0
	s_cbranch_execz .LBB58_145
; %bb.142:
	v_subrev_nc_u32_e32 v123, 44, v0
	s_movk_i32 s18, 0x1a0
	s_mov_b32 s0, 0
.LBB58_143:                             ; =>This Inner Loop Header: Depth=1
	scratch_load_b32 v124, off, s16
	v_dual_mov_b32 v125, s18 :: v_dual_add_nc_u32 v123, -1, v123
	s_add_co_i32 s18, s18, 4
	s_wait_xcnt 0x0
	s_add_co_i32 s16, s16, 4
	ds_load_b32 v125, v125
	v_cmp_eq_u32_e32 vcc_lo, 0, v123
	s_or_b32 s0, vcc_lo, s0
	s_wait_loadcnt_dscnt 0x0
	v_fmac_f32_e32 v122, v124, v125
	s_and_not1_b32 exec_lo, exec_lo, s0
	s_cbranch_execnz .LBB58_143
; %bb.144:
	s_or_b32 exec_lo, exec_lo, s0
.LBB58_145:
	s_delay_alu instid0(SALU_CYCLE_1)
	s_or_b32 exec_lo, exec_lo, s17
	v_mov_b32_e32 v123, 0
	ds_load_b32 v123, v123 offset:172
	s_wait_dscnt 0x0
	v_mul_f32_e32 v122, v122, v123
	scratch_store_b32 off, v122, off offset:172
.LBB58_146:
	s_wait_xcnt 0x0
	s_or_b32 exec_lo, exec_lo, s2
	scratch_load_b32 v122, off, off offset:168
	v_cmp_lt_u32_e64 s0, 42, v0
	s_wait_loadcnt 0x0
	ds_store_b32 v1, v122
	s_wait_storecnt_dscnt 0x0
	s_barrier_signal -1
	s_barrier_wait -1
	s_wait_xcnt 0x0
	s_and_saveexec_b32 s2, s0
	s_cbranch_execz .LBB58_156
; %bb.147:
	s_and_not1_b32 vcc_lo, exec_lo, s3
	s_cbranch_vccnz .LBB58_149
; %bb.148:
	scratch_load_b32 v122, v7, off
	ds_load_b32 v123, v1
	s_wait_loadcnt_dscnt 0x0
	v_mul_f32_e32 v122, v122, v123
	s_cbranch_execz .LBB58_150
	s_branch .LBB58_151
.LBB58_149:
                                        ; implicit-def: $vgpr122
.LBB58_150:
	ds_load_b32 v122, v1
.LBB58_151:
	s_and_saveexec_b32 s16, s1
	s_cbranch_execz .LBB58_155
; %bb.152:
	v_subrev_nc_u32_e32 v123, 43, v0
	s_movk_i32 s1, 0xac
	s_movk_i32 s18, 0x19c
	s_mov_b32 s17, 0
.LBB58_153:                             ; =>This Inner Loop Header: Depth=1
	scratch_load_b32 v124, off, s1
	v_dual_mov_b32 v125, s18 :: v_dual_add_nc_u32 v123, -1, v123
	s_add_co_i32 s18, s18, 4
	s_wait_xcnt 0x0
	s_add_co_i32 s1, s1, 4
	ds_load_b32 v125, v125
	v_cmp_eq_u32_e32 vcc_lo, 0, v123
	s_or_b32 s17, vcc_lo, s17
	s_wait_loadcnt_dscnt 0x0
	v_fmac_f32_e32 v122, v124, v125
	s_and_not1_b32 exec_lo, exec_lo, s17
	s_cbranch_execnz .LBB58_153
; %bb.154:
	s_or_b32 exec_lo, exec_lo, s17
.LBB58_155:
	s_delay_alu instid0(SALU_CYCLE_1)
	s_or_b32 exec_lo, exec_lo, s16
	v_mov_b32_e32 v123, 0
	ds_load_b32 v123, v123 offset:168
	s_wait_dscnt 0x0
	v_mul_f32_e32 v122, v122, v123
	scratch_store_b32 off, v122, off offset:168
.LBB58_156:
	s_wait_xcnt 0x0
	s_or_b32 exec_lo, exec_lo, s2
	scratch_load_b32 v122, off, off offset:164
	v_cmp_lt_u32_e64 s1, 41, v0
	s_wait_loadcnt 0x0
	ds_store_b32 v1, v122
	s_wait_storecnt_dscnt 0x0
	s_barrier_signal -1
	s_barrier_wait -1
	s_wait_xcnt 0x0
	s_and_saveexec_b32 s2, s1
	s_cbranch_execz .LBB58_166
; %bb.157:
	s_and_not1_b32 vcc_lo, exec_lo, s3
	s_cbranch_vccnz .LBB58_159
; %bb.158:
	scratch_load_b32 v122, v7, off
	ds_load_b32 v123, v1
	s_wait_loadcnt_dscnt 0x0
	v_mul_f32_e32 v122, v122, v123
	s_cbranch_execz .LBB58_160
	s_branch .LBB58_161
.LBB58_159:
                                        ; implicit-def: $vgpr122
.LBB58_160:
	ds_load_b32 v122, v1
.LBB58_161:
	s_and_saveexec_b32 s16, s0
	s_cbranch_execz .LBB58_165
; %bb.162:
	v_subrev_nc_u32_e32 v123, 42, v0
	s_movk_i32 s0, 0xa8
	s_movk_i32 s18, 0x198
	s_mov_b32 s17, 0
.LBB58_163:                             ; =>This Inner Loop Header: Depth=1
	scratch_load_b32 v124, off, s0
	v_dual_mov_b32 v125, s18 :: v_dual_add_nc_u32 v123, -1, v123
	s_add_co_i32 s18, s18, 4
	s_wait_xcnt 0x0
	s_add_co_i32 s0, s0, 4
	ds_load_b32 v125, v125
	v_cmp_eq_u32_e32 vcc_lo, 0, v123
	s_or_b32 s17, vcc_lo, s17
	s_wait_loadcnt_dscnt 0x0
	v_fmac_f32_e32 v122, v124, v125
	s_and_not1_b32 exec_lo, exec_lo, s17
	s_cbranch_execnz .LBB58_163
; %bb.164:
	s_or_b32 exec_lo, exec_lo, s17
.LBB58_165:
	s_delay_alu instid0(SALU_CYCLE_1)
	s_or_b32 exec_lo, exec_lo, s16
	v_mov_b32_e32 v123, 0
	ds_load_b32 v123, v123 offset:164
	s_wait_dscnt 0x0
	v_mul_f32_e32 v122, v122, v123
	scratch_store_b32 off, v122, off offset:164
.LBB58_166:
	;; [unrolled: 58-line block ×3, first 2 shown]
	s_wait_xcnt 0x0
	s_or_b32 exec_lo, exec_lo, s2
	scratch_load_b32 v122, off, off offset:156
	v_cmp_lt_u32_e64 s1, 39, v0
	s_wait_loadcnt 0x0
	ds_store_b32 v1, v122
	s_wait_storecnt_dscnt 0x0
	s_barrier_signal -1
	s_barrier_wait -1
	s_wait_xcnt 0x0
	s_and_saveexec_b32 s2, s1
	s_cbranch_execz .LBB58_186
; %bb.177:
	s_and_not1_b32 vcc_lo, exec_lo, s3
	s_cbranch_vccnz .LBB58_179
; %bb.178:
	scratch_load_b32 v122, v7, off
	ds_load_b32 v123, v1
	s_wait_loadcnt_dscnt 0x0
	v_mul_f32_e32 v122, v122, v123
	s_cbranch_execz .LBB58_180
	s_branch .LBB58_181
.LBB58_179:
                                        ; implicit-def: $vgpr122
.LBB58_180:
	ds_load_b32 v122, v1
.LBB58_181:
	s_and_saveexec_b32 s16, s0
	s_cbranch_execz .LBB58_185
; %bb.182:
	v_subrev_nc_u32_e32 v123, 40, v0
	s_movk_i32 s17, 0x190
	s_mov_b32 s0, 0
.LBB58_183:                             ; =>This Inner Loop Header: Depth=1
	scratch_load_b32 v124, off, s15
	v_dual_mov_b32 v125, s17 :: v_dual_add_nc_u32 v123, -1, v123
	s_add_co_i32 s17, s17, 4
	s_wait_xcnt 0x0
	s_add_co_i32 s15, s15, 4
	ds_load_b32 v125, v125
	v_cmp_eq_u32_e32 vcc_lo, 0, v123
	s_or_b32 s0, vcc_lo, s0
	s_wait_loadcnt_dscnt 0x0
	v_fmac_f32_e32 v122, v124, v125
	s_and_not1_b32 exec_lo, exec_lo, s0
	s_cbranch_execnz .LBB58_183
; %bb.184:
	s_or_b32 exec_lo, exec_lo, s0
.LBB58_185:
	s_delay_alu instid0(SALU_CYCLE_1)
	s_or_b32 exec_lo, exec_lo, s16
	v_mov_b32_e32 v123, 0
	ds_load_b32 v123, v123 offset:156
	s_wait_dscnt 0x0
	v_mul_f32_e32 v122, v122, v123
	scratch_store_b32 off, v122, off offset:156
.LBB58_186:
	s_wait_xcnt 0x0
	s_or_b32 exec_lo, exec_lo, s2
	scratch_load_b32 v122, off, off offset:152
	v_cmp_lt_u32_e64 s0, 38, v0
	s_wait_loadcnt 0x0
	ds_store_b32 v1, v122
	s_wait_storecnt_dscnt 0x0
	s_barrier_signal -1
	s_barrier_wait -1
	s_wait_xcnt 0x0
	s_and_saveexec_b32 s2, s0
	s_cbranch_execz .LBB58_196
; %bb.187:
	s_and_not1_b32 vcc_lo, exec_lo, s3
	s_cbranch_vccnz .LBB58_189
; %bb.188:
	scratch_load_b32 v122, v7, off
	ds_load_b32 v123, v1
	s_wait_loadcnt_dscnt 0x0
	v_mul_f32_e32 v122, v122, v123
	s_cbranch_execz .LBB58_190
	s_branch .LBB58_191
.LBB58_189:
                                        ; implicit-def: $vgpr122
.LBB58_190:
	ds_load_b32 v122, v1
.LBB58_191:
	s_and_saveexec_b32 s15, s1
	s_cbranch_execz .LBB58_195
; %bb.192:
	v_subrev_nc_u32_e32 v123, 39, v0
	s_movk_i32 s1, 0x9c
	s_movk_i32 s17, 0x18c
	s_mov_b32 s16, 0
.LBB58_193:                             ; =>This Inner Loop Header: Depth=1
	scratch_load_b32 v124, off, s1
	v_dual_mov_b32 v125, s17 :: v_dual_add_nc_u32 v123, -1, v123
	s_add_co_i32 s17, s17, 4
	s_wait_xcnt 0x0
	s_add_co_i32 s1, s1, 4
	ds_load_b32 v125, v125
	v_cmp_eq_u32_e32 vcc_lo, 0, v123
	s_or_b32 s16, vcc_lo, s16
	s_wait_loadcnt_dscnt 0x0
	v_fmac_f32_e32 v122, v124, v125
	s_and_not1_b32 exec_lo, exec_lo, s16
	s_cbranch_execnz .LBB58_193
; %bb.194:
	s_or_b32 exec_lo, exec_lo, s16
.LBB58_195:
	s_delay_alu instid0(SALU_CYCLE_1)
	s_or_b32 exec_lo, exec_lo, s15
	v_mov_b32_e32 v123, 0
	ds_load_b32 v123, v123 offset:152
	s_wait_dscnt 0x0
	v_mul_f32_e32 v122, v122, v123
	scratch_store_b32 off, v122, off offset:152
.LBB58_196:
	s_wait_xcnt 0x0
	s_or_b32 exec_lo, exec_lo, s2
	scratch_load_b32 v122, off, off offset:148
	v_cmp_lt_u32_e64 s1, 37, v0
	s_wait_loadcnt 0x0
	ds_store_b32 v1, v122
	s_wait_storecnt_dscnt 0x0
	s_barrier_signal -1
	s_barrier_wait -1
	s_wait_xcnt 0x0
	s_and_saveexec_b32 s2, s1
	s_cbranch_execz .LBB58_206
; %bb.197:
	s_and_not1_b32 vcc_lo, exec_lo, s3
	s_cbranch_vccnz .LBB58_199
; %bb.198:
	scratch_load_b32 v122, v7, off
	ds_load_b32 v123, v1
	s_wait_loadcnt_dscnt 0x0
	v_mul_f32_e32 v122, v122, v123
	s_cbranch_execz .LBB58_200
	s_branch .LBB58_201
.LBB58_199:
                                        ; implicit-def: $vgpr122
.LBB58_200:
	ds_load_b32 v122, v1
.LBB58_201:
	s_and_saveexec_b32 s15, s0
	s_cbranch_execz .LBB58_205
; %bb.202:
	v_subrev_nc_u32_e32 v123, 38, v0
	s_movk_i32 s0, 0x98
	s_movk_i32 s17, 0x188
	s_mov_b32 s16, 0
.LBB58_203:                             ; =>This Inner Loop Header: Depth=1
	scratch_load_b32 v124, off, s0
	v_dual_mov_b32 v125, s17 :: v_dual_add_nc_u32 v123, -1, v123
	s_add_co_i32 s17, s17, 4
	s_wait_xcnt 0x0
	s_add_co_i32 s0, s0, 4
	ds_load_b32 v125, v125
	v_cmp_eq_u32_e32 vcc_lo, 0, v123
	s_or_b32 s16, vcc_lo, s16
	s_wait_loadcnt_dscnt 0x0
	v_fmac_f32_e32 v122, v124, v125
	s_and_not1_b32 exec_lo, exec_lo, s16
	s_cbranch_execnz .LBB58_203
; %bb.204:
	s_or_b32 exec_lo, exec_lo, s16
.LBB58_205:
	s_delay_alu instid0(SALU_CYCLE_1)
	s_or_b32 exec_lo, exec_lo, s15
	v_mov_b32_e32 v123, 0
	ds_load_b32 v123, v123 offset:148
	s_wait_dscnt 0x0
	v_mul_f32_e32 v122, v122, v123
	scratch_store_b32 off, v122, off offset:148
.LBB58_206:
	;; [unrolled: 58-line block ×3, first 2 shown]
	s_wait_xcnt 0x0
	s_or_b32 exec_lo, exec_lo, s2
	scratch_load_b32 v122, off, off offset:140
	v_cmp_lt_u32_e64 s1, 35, v0
	s_wait_loadcnt 0x0
	ds_store_b32 v1, v122
	s_wait_storecnt_dscnt 0x0
	s_barrier_signal -1
	s_barrier_wait -1
	s_wait_xcnt 0x0
	s_and_saveexec_b32 s2, s1
	s_cbranch_execz .LBB58_226
; %bb.217:
	s_and_not1_b32 vcc_lo, exec_lo, s3
	s_cbranch_vccnz .LBB58_219
; %bb.218:
	scratch_load_b32 v122, v7, off
	ds_load_b32 v123, v1
	s_wait_loadcnt_dscnt 0x0
	v_mul_f32_e32 v122, v122, v123
	s_cbranch_execz .LBB58_220
	s_branch .LBB58_221
.LBB58_219:
                                        ; implicit-def: $vgpr122
.LBB58_220:
	ds_load_b32 v122, v1
.LBB58_221:
	s_and_saveexec_b32 s15, s0
	s_cbranch_execz .LBB58_225
; %bb.222:
	v_subrev_nc_u32_e32 v123, 36, v0
	s_movk_i32 s16, 0x180
	s_mov_b32 s0, 0
.LBB58_223:                             ; =>This Inner Loop Header: Depth=1
	scratch_load_b32 v124, off, s14
	v_dual_mov_b32 v125, s16 :: v_dual_add_nc_u32 v123, -1, v123
	s_add_co_i32 s16, s16, 4
	s_wait_xcnt 0x0
	s_add_co_i32 s14, s14, 4
	ds_load_b32 v125, v125
	v_cmp_eq_u32_e32 vcc_lo, 0, v123
	s_or_b32 s0, vcc_lo, s0
	s_wait_loadcnt_dscnt 0x0
	v_fmac_f32_e32 v122, v124, v125
	s_and_not1_b32 exec_lo, exec_lo, s0
	s_cbranch_execnz .LBB58_223
; %bb.224:
	s_or_b32 exec_lo, exec_lo, s0
.LBB58_225:
	s_delay_alu instid0(SALU_CYCLE_1)
	s_or_b32 exec_lo, exec_lo, s15
	v_mov_b32_e32 v123, 0
	ds_load_b32 v123, v123 offset:140
	s_wait_dscnt 0x0
	v_mul_f32_e32 v122, v122, v123
	scratch_store_b32 off, v122, off offset:140
.LBB58_226:
	s_wait_xcnt 0x0
	s_or_b32 exec_lo, exec_lo, s2
	scratch_load_b32 v122, off, off offset:136
	v_cmp_lt_u32_e64 s0, 34, v0
	s_wait_loadcnt 0x0
	ds_store_b32 v1, v122
	s_wait_storecnt_dscnt 0x0
	s_barrier_signal -1
	s_barrier_wait -1
	s_wait_xcnt 0x0
	s_and_saveexec_b32 s2, s0
	s_cbranch_execz .LBB58_236
; %bb.227:
	s_and_not1_b32 vcc_lo, exec_lo, s3
	s_cbranch_vccnz .LBB58_229
; %bb.228:
	scratch_load_b32 v122, v7, off
	ds_load_b32 v123, v1
	s_wait_loadcnt_dscnt 0x0
	v_mul_f32_e32 v122, v122, v123
	s_cbranch_execz .LBB58_230
	s_branch .LBB58_231
.LBB58_229:
                                        ; implicit-def: $vgpr122
.LBB58_230:
	ds_load_b32 v122, v1
.LBB58_231:
	s_and_saveexec_b32 s14, s1
	s_cbranch_execz .LBB58_235
; %bb.232:
	v_subrev_nc_u32_e32 v123, 35, v0
	s_movk_i32 s1, 0x8c
	s_movk_i32 s16, 0x17c
	s_mov_b32 s15, 0
.LBB58_233:                             ; =>This Inner Loop Header: Depth=1
	scratch_load_b32 v124, off, s1
	v_dual_mov_b32 v125, s16 :: v_dual_add_nc_u32 v123, -1, v123
	s_add_co_i32 s16, s16, 4
	s_wait_xcnt 0x0
	s_add_co_i32 s1, s1, 4
	ds_load_b32 v125, v125
	v_cmp_eq_u32_e32 vcc_lo, 0, v123
	s_or_b32 s15, vcc_lo, s15
	s_wait_loadcnt_dscnt 0x0
	v_fmac_f32_e32 v122, v124, v125
	s_and_not1_b32 exec_lo, exec_lo, s15
	s_cbranch_execnz .LBB58_233
; %bb.234:
	s_or_b32 exec_lo, exec_lo, s15
.LBB58_235:
	s_delay_alu instid0(SALU_CYCLE_1)
	s_or_b32 exec_lo, exec_lo, s14
	v_mov_b32_e32 v123, 0
	ds_load_b32 v123, v123 offset:136
	s_wait_dscnt 0x0
	v_mul_f32_e32 v122, v122, v123
	scratch_store_b32 off, v122, off offset:136
.LBB58_236:
	s_wait_xcnt 0x0
	s_or_b32 exec_lo, exec_lo, s2
	scratch_load_b32 v122, off, off offset:132
	v_cmp_lt_u32_e64 s1, 33, v0
	s_wait_loadcnt 0x0
	ds_store_b32 v1, v122
	s_wait_storecnt_dscnt 0x0
	s_barrier_signal -1
	s_barrier_wait -1
	s_wait_xcnt 0x0
	s_and_saveexec_b32 s2, s1
	s_cbranch_execz .LBB58_246
; %bb.237:
	s_and_not1_b32 vcc_lo, exec_lo, s3
	s_cbranch_vccnz .LBB58_239
; %bb.238:
	scratch_load_b32 v122, v7, off
	ds_load_b32 v123, v1
	s_wait_loadcnt_dscnt 0x0
	v_mul_f32_e32 v122, v122, v123
	s_cbranch_execz .LBB58_240
	s_branch .LBB58_241
.LBB58_239:
                                        ; implicit-def: $vgpr122
.LBB58_240:
	ds_load_b32 v122, v1
.LBB58_241:
	s_and_saveexec_b32 s14, s0
	s_cbranch_execz .LBB58_245
; %bb.242:
	v_subrev_nc_u32_e32 v123, 34, v0
	s_movk_i32 s0, 0x88
	s_movk_i32 s16, 0x178
	s_mov_b32 s15, 0
.LBB58_243:                             ; =>This Inner Loop Header: Depth=1
	scratch_load_b32 v124, off, s0
	v_dual_mov_b32 v125, s16 :: v_dual_add_nc_u32 v123, -1, v123
	s_add_co_i32 s16, s16, 4
	s_wait_xcnt 0x0
	s_add_co_i32 s0, s0, 4
	ds_load_b32 v125, v125
	v_cmp_eq_u32_e32 vcc_lo, 0, v123
	s_or_b32 s15, vcc_lo, s15
	s_wait_loadcnt_dscnt 0x0
	v_fmac_f32_e32 v122, v124, v125
	s_and_not1_b32 exec_lo, exec_lo, s15
	s_cbranch_execnz .LBB58_243
; %bb.244:
	s_or_b32 exec_lo, exec_lo, s15
.LBB58_245:
	s_delay_alu instid0(SALU_CYCLE_1)
	s_or_b32 exec_lo, exec_lo, s14
	v_mov_b32_e32 v123, 0
	ds_load_b32 v123, v123 offset:132
	s_wait_dscnt 0x0
	v_mul_f32_e32 v122, v122, v123
	scratch_store_b32 off, v122, off offset:132
.LBB58_246:
	s_wait_xcnt 0x0
	s_or_b32 exec_lo, exec_lo, s2
	scratch_load_b32 v122, off, off offset:128
	v_cmp_lt_u32_e64 s0, 32, v0
	s_wait_loadcnt 0x0
	ds_store_b32 v1, v122
	s_wait_storecnt_dscnt 0x0
	s_barrier_signal -1
	s_barrier_wait -1
	s_wait_xcnt 0x0
	s_and_saveexec_b32 s2, s0
	s_cbranch_execz .LBB58_256
; %bb.247:
	s_and_not1_b32 vcc_lo, exec_lo, s3
	s_cbranch_vccnz .LBB58_249
; %bb.248:
	scratch_load_b32 v122, v7, off
	ds_load_b32 v123, v1
	s_wait_loadcnt_dscnt 0x0
	v_mul_f32_e32 v122, v122, v123
	s_cbranch_execz .LBB58_250
	s_branch .LBB58_251
.LBB58_249:
                                        ; implicit-def: $vgpr122
.LBB58_250:
	ds_load_b32 v122, v1
.LBB58_251:
	s_and_saveexec_b32 s14, s1
	s_cbranch_execz .LBB58_255
; %bb.252:
	v_subrev_nc_u32_e32 v123, 33, v0
	s_movk_i32 s1, 0x84
	s_movk_i32 s16, 0x174
	s_mov_b32 s15, 0
.LBB58_253:                             ; =>This Inner Loop Header: Depth=1
	scratch_load_b32 v124, off, s1
	v_dual_mov_b32 v125, s16 :: v_dual_add_nc_u32 v123, -1, v123
	s_add_co_i32 s16, s16, 4
	s_wait_xcnt 0x0
	s_add_co_i32 s1, s1, 4
	ds_load_b32 v125, v125
	v_cmp_eq_u32_e32 vcc_lo, 0, v123
	s_or_b32 s15, vcc_lo, s15
	s_wait_loadcnt_dscnt 0x0
	v_fmac_f32_e32 v122, v124, v125
	s_and_not1_b32 exec_lo, exec_lo, s15
	s_cbranch_execnz .LBB58_253
; %bb.254:
	s_or_b32 exec_lo, exec_lo, s15
.LBB58_255:
	s_delay_alu instid0(SALU_CYCLE_1)
	s_or_b32 exec_lo, exec_lo, s14
	v_mov_b32_e32 v123, 0
	ds_load_b32 v123, v123 offset:128
	s_wait_dscnt 0x0
	v_mul_f32_e32 v122, v122, v123
	scratch_store_b32 off, v122, off offset:128
.LBB58_256:
	s_wait_xcnt 0x0
	s_or_b32 exec_lo, exec_lo, s2
	scratch_load_b32 v122, off, off offset:124
	v_cmp_lt_u32_e64 s1, 31, v0
	s_wait_loadcnt 0x0
	ds_store_b32 v1, v122
	s_wait_storecnt_dscnt 0x0
	s_barrier_signal -1
	s_barrier_wait -1
	s_wait_xcnt 0x0
	s_and_saveexec_b32 s2, s1
	s_cbranch_execz .LBB58_266
; %bb.257:
	s_and_not1_b32 vcc_lo, exec_lo, s3
	s_cbranch_vccnz .LBB58_259
; %bb.258:
	scratch_load_b32 v122, v7, off
	ds_load_b32 v123, v1
	s_wait_loadcnt_dscnt 0x0
	v_mul_f32_e32 v122, v122, v123
	s_cbranch_execz .LBB58_260
	s_branch .LBB58_261
.LBB58_259:
                                        ; implicit-def: $vgpr122
.LBB58_260:
	ds_load_b32 v122, v1
.LBB58_261:
	s_and_saveexec_b32 s14, s0
	s_cbranch_execz .LBB58_265
; %bb.262:
	v_subrev_nc_u32_e32 v123, 32, v0
	s_movk_i32 s15, 0x170
	s_mov_b32 s0, 0
.LBB58_263:                             ; =>This Inner Loop Header: Depth=1
	scratch_load_b32 v124, off, s13
	v_dual_mov_b32 v125, s15 :: v_dual_add_nc_u32 v123, -1, v123
	s_add_co_i32 s15, s15, 4
	s_wait_xcnt 0x0
	s_add_co_i32 s13, s13, 4
	ds_load_b32 v125, v125
	v_cmp_eq_u32_e32 vcc_lo, 0, v123
	s_or_b32 s0, vcc_lo, s0
	s_wait_loadcnt_dscnt 0x0
	v_fmac_f32_e32 v122, v124, v125
	s_and_not1_b32 exec_lo, exec_lo, s0
	s_cbranch_execnz .LBB58_263
; %bb.264:
	s_or_b32 exec_lo, exec_lo, s0
.LBB58_265:
	s_delay_alu instid0(SALU_CYCLE_1)
	s_or_b32 exec_lo, exec_lo, s14
	v_mov_b32_e32 v123, 0
	ds_load_b32 v123, v123 offset:124
	s_wait_dscnt 0x0
	v_mul_f32_e32 v122, v122, v123
	scratch_store_b32 off, v122, off offset:124
.LBB58_266:
	s_wait_xcnt 0x0
	s_or_b32 exec_lo, exec_lo, s2
	scratch_load_b32 v122, off, off offset:120
	v_cmp_lt_u32_e64 s0, 30, v0
	s_wait_loadcnt 0x0
	ds_store_b32 v1, v122
	s_wait_storecnt_dscnt 0x0
	s_barrier_signal -1
	s_barrier_wait -1
	s_wait_xcnt 0x0
	s_and_saveexec_b32 s2, s0
	s_cbranch_execz .LBB58_276
; %bb.267:
	s_and_not1_b32 vcc_lo, exec_lo, s3
	s_cbranch_vccnz .LBB58_269
; %bb.268:
	scratch_load_b32 v122, v7, off
	ds_load_b32 v123, v1
	s_wait_loadcnt_dscnt 0x0
	v_mul_f32_e32 v122, v122, v123
	s_cbranch_execz .LBB58_270
	s_branch .LBB58_271
.LBB58_269:
                                        ; implicit-def: $vgpr122
.LBB58_270:
	ds_load_b32 v122, v1
.LBB58_271:
	s_and_saveexec_b32 s13, s1
	s_cbranch_execz .LBB58_275
; %bb.272:
	v_subrev_nc_u32_e32 v123, 31, v0
	s_movk_i32 s1, 0x7c
	s_movk_i32 s15, 0x16c
	s_mov_b32 s14, 0
.LBB58_273:                             ; =>This Inner Loop Header: Depth=1
	scratch_load_b32 v124, off, s1
	v_dual_mov_b32 v125, s15 :: v_dual_add_nc_u32 v123, -1, v123
	s_add_co_i32 s15, s15, 4
	s_wait_xcnt 0x0
	s_add_co_i32 s1, s1, 4
	ds_load_b32 v125, v125
	v_cmp_eq_u32_e32 vcc_lo, 0, v123
	s_or_b32 s14, vcc_lo, s14
	s_wait_loadcnt_dscnt 0x0
	v_fmac_f32_e32 v122, v124, v125
	s_and_not1_b32 exec_lo, exec_lo, s14
	s_cbranch_execnz .LBB58_273
; %bb.274:
	s_or_b32 exec_lo, exec_lo, s14
.LBB58_275:
	s_delay_alu instid0(SALU_CYCLE_1)
	s_or_b32 exec_lo, exec_lo, s13
	v_mov_b32_e32 v123, 0
	ds_load_b32 v123, v123 offset:120
	s_wait_dscnt 0x0
	v_mul_f32_e32 v122, v122, v123
	scratch_store_b32 off, v122, off offset:120
.LBB58_276:
	s_wait_xcnt 0x0
	s_or_b32 exec_lo, exec_lo, s2
	scratch_load_b32 v122, off, off offset:116
	v_cmp_lt_u32_e64 s1, 29, v0
	s_wait_loadcnt 0x0
	ds_store_b32 v1, v122
	s_wait_storecnt_dscnt 0x0
	s_barrier_signal -1
	s_barrier_wait -1
	s_wait_xcnt 0x0
	s_and_saveexec_b32 s2, s1
	s_cbranch_execz .LBB58_286
; %bb.277:
	s_and_not1_b32 vcc_lo, exec_lo, s3
	s_cbranch_vccnz .LBB58_279
; %bb.278:
	scratch_load_b32 v122, v7, off
	ds_load_b32 v123, v1
	s_wait_loadcnt_dscnt 0x0
	v_mul_f32_e32 v122, v122, v123
	s_cbranch_execz .LBB58_280
	s_branch .LBB58_281
.LBB58_279:
                                        ; implicit-def: $vgpr122
.LBB58_280:
	ds_load_b32 v122, v1
.LBB58_281:
	s_and_saveexec_b32 s13, s0
	s_cbranch_execz .LBB58_285
; %bb.282:
	v_subrev_nc_u32_e32 v123, 30, v0
	s_movk_i32 s0, 0x78
	s_movk_i32 s15, 0x168
	s_mov_b32 s14, 0
.LBB58_283:                             ; =>This Inner Loop Header: Depth=1
	scratch_load_b32 v124, off, s0
	v_dual_mov_b32 v125, s15 :: v_dual_add_nc_u32 v123, -1, v123
	s_add_co_i32 s15, s15, 4
	s_wait_xcnt 0x0
	s_add_co_i32 s0, s0, 4
	ds_load_b32 v125, v125
	v_cmp_eq_u32_e32 vcc_lo, 0, v123
	s_or_b32 s14, vcc_lo, s14
	s_wait_loadcnt_dscnt 0x0
	v_fmac_f32_e32 v122, v124, v125
	s_and_not1_b32 exec_lo, exec_lo, s14
	s_cbranch_execnz .LBB58_283
; %bb.284:
	s_or_b32 exec_lo, exec_lo, s14
.LBB58_285:
	s_delay_alu instid0(SALU_CYCLE_1)
	s_or_b32 exec_lo, exec_lo, s13
	v_mov_b32_e32 v123, 0
	ds_load_b32 v123, v123 offset:116
	s_wait_dscnt 0x0
	v_mul_f32_e32 v122, v122, v123
	scratch_store_b32 off, v122, off offset:116
.LBB58_286:
	;; [unrolled: 58-line block ×3, first 2 shown]
	s_wait_xcnt 0x0
	s_or_b32 exec_lo, exec_lo, s2
	scratch_load_b32 v122, off, off offset:108
	v_cmp_lt_u32_e64 s1, 27, v0
	s_wait_loadcnt 0x0
	ds_store_b32 v1, v122
	s_wait_storecnt_dscnt 0x0
	s_barrier_signal -1
	s_barrier_wait -1
	s_wait_xcnt 0x0
	s_and_saveexec_b32 s2, s1
	s_cbranch_execz .LBB58_306
; %bb.297:
	s_and_not1_b32 vcc_lo, exec_lo, s3
	s_cbranch_vccnz .LBB58_299
; %bb.298:
	scratch_load_b32 v122, v7, off
	ds_load_b32 v123, v1
	s_wait_loadcnt_dscnt 0x0
	v_mul_f32_e32 v122, v122, v123
	s_cbranch_execz .LBB58_300
	s_branch .LBB58_301
.LBB58_299:
                                        ; implicit-def: $vgpr122
.LBB58_300:
	ds_load_b32 v122, v1
.LBB58_301:
	s_and_saveexec_b32 s13, s0
	s_cbranch_execz .LBB58_305
; %bb.302:
	v_subrev_nc_u32_e32 v123, 28, v0
	s_movk_i32 s14, 0x160
	s_mov_b32 s0, 0
.LBB58_303:                             ; =>This Inner Loop Header: Depth=1
	scratch_load_b32 v124, off, s12
	v_dual_mov_b32 v125, s14 :: v_dual_add_nc_u32 v123, -1, v123
	s_add_co_i32 s14, s14, 4
	s_wait_xcnt 0x0
	s_add_co_i32 s12, s12, 4
	ds_load_b32 v125, v125
	v_cmp_eq_u32_e32 vcc_lo, 0, v123
	s_or_b32 s0, vcc_lo, s0
	s_wait_loadcnt_dscnt 0x0
	v_fmac_f32_e32 v122, v124, v125
	s_and_not1_b32 exec_lo, exec_lo, s0
	s_cbranch_execnz .LBB58_303
; %bb.304:
	s_or_b32 exec_lo, exec_lo, s0
.LBB58_305:
	s_delay_alu instid0(SALU_CYCLE_1)
	s_or_b32 exec_lo, exec_lo, s13
	v_mov_b32_e32 v123, 0
	ds_load_b32 v123, v123 offset:108
	s_wait_dscnt 0x0
	v_mul_f32_e32 v122, v122, v123
	scratch_store_b32 off, v122, off offset:108
.LBB58_306:
	s_wait_xcnt 0x0
	s_or_b32 exec_lo, exec_lo, s2
	scratch_load_b32 v122, off, off offset:104
	v_cmp_lt_u32_e64 s0, 26, v0
	s_wait_loadcnt 0x0
	ds_store_b32 v1, v122
	s_wait_storecnt_dscnt 0x0
	s_barrier_signal -1
	s_barrier_wait -1
	s_wait_xcnt 0x0
	s_and_saveexec_b32 s2, s0
	s_cbranch_execz .LBB58_316
; %bb.307:
	s_and_not1_b32 vcc_lo, exec_lo, s3
	s_cbranch_vccnz .LBB58_309
; %bb.308:
	scratch_load_b32 v122, v7, off
	ds_load_b32 v123, v1
	s_wait_loadcnt_dscnt 0x0
	v_mul_f32_e32 v122, v122, v123
	s_cbranch_execz .LBB58_310
	s_branch .LBB58_311
.LBB58_309:
                                        ; implicit-def: $vgpr122
.LBB58_310:
	ds_load_b32 v122, v1
.LBB58_311:
	s_and_saveexec_b32 s12, s1
	s_cbranch_execz .LBB58_315
; %bb.312:
	v_subrev_nc_u32_e32 v123, 27, v0
	s_movk_i32 s1, 0x6c
	s_movk_i32 s14, 0x15c
	s_mov_b32 s13, 0
.LBB58_313:                             ; =>This Inner Loop Header: Depth=1
	scratch_load_b32 v124, off, s1
	v_dual_mov_b32 v125, s14 :: v_dual_add_nc_u32 v123, -1, v123
	s_add_co_i32 s14, s14, 4
	s_wait_xcnt 0x0
	s_add_co_i32 s1, s1, 4
	ds_load_b32 v125, v125
	v_cmp_eq_u32_e32 vcc_lo, 0, v123
	s_or_b32 s13, vcc_lo, s13
	s_wait_loadcnt_dscnt 0x0
	v_fmac_f32_e32 v122, v124, v125
	s_and_not1_b32 exec_lo, exec_lo, s13
	s_cbranch_execnz .LBB58_313
; %bb.314:
	s_or_b32 exec_lo, exec_lo, s13
.LBB58_315:
	s_delay_alu instid0(SALU_CYCLE_1)
	s_or_b32 exec_lo, exec_lo, s12
	v_mov_b32_e32 v123, 0
	ds_load_b32 v123, v123 offset:104
	s_wait_dscnt 0x0
	v_mul_f32_e32 v122, v122, v123
	scratch_store_b32 off, v122, off offset:104
.LBB58_316:
	s_wait_xcnt 0x0
	s_or_b32 exec_lo, exec_lo, s2
	scratch_load_b32 v122, off, off offset:100
	v_cmp_lt_u32_e64 s1, 25, v0
	s_wait_loadcnt 0x0
	ds_store_b32 v1, v122
	s_wait_storecnt_dscnt 0x0
	s_barrier_signal -1
	s_barrier_wait -1
	s_wait_xcnt 0x0
	s_and_saveexec_b32 s2, s1
	s_cbranch_execz .LBB58_326
; %bb.317:
	s_and_not1_b32 vcc_lo, exec_lo, s3
	s_cbranch_vccnz .LBB58_319
; %bb.318:
	scratch_load_b32 v122, v7, off
	ds_load_b32 v123, v1
	s_wait_loadcnt_dscnt 0x0
	v_mul_f32_e32 v122, v122, v123
	s_cbranch_execz .LBB58_320
	s_branch .LBB58_321
.LBB58_319:
                                        ; implicit-def: $vgpr122
.LBB58_320:
	ds_load_b32 v122, v1
.LBB58_321:
	s_and_saveexec_b32 s12, s0
	s_cbranch_execz .LBB58_325
; %bb.322:
	v_subrev_nc_u32_e32 v123, 26, v0
	s_movk_i32 s0, 0x68
	s_movk_i32 s14, 0x158
	s_mov_b32 s13, 0
.LBB58_323:                             ; =>This Inner Loop Header: Depth=1
	scratch_load_b32 v124, off, s0
	v_dual_mov_b32 v125, s14 :: v_dual_add_nc_u32 v123, -1, v123
	s_add_co_i32 s14, s14, 4
	s_wait_xcnt 0x0
	s_add_co_i32 s0, s0, 4
	ds_load_b32 v125, v125
	v_cmp_eq_u32_e32 vcc_lo, 0, v123
	s_or_b32 s13, vcc_lo, s13
	s_wait_loadcnt_dscnt 0x0
	v_fmac_f32_e32 v122, v124, v125
	s_and_not1_b32 exec_lo, exec_lo, s13
	s_cbranch_execnz .LBB58_323
; %bb.324:
	s_or_b32 exec_lo, exec_lo, s13
.LBB58_325:
	s_delay_alu instid0(SALU_CYCLE_1)
	s_or_b32 exec_lo, exec_lo, s12
	v_mov_b32_e32 v123, 0
	ds_load_b32 v123, v123 offset:100
	s_wait_dscnt 0x0
	v_mul_f32_e32 v122, v122, v123
	scratch_store_b32 off, v122, off offset:100
.LBB58_326:
	;; [unrolled: 58-line block ×3, first 2 shown]
	s_wait_xcnt 0x0
	s_or_b32 exec_lo, exec_lo, s2
	scratch_load_b32 v122, off, off offset:92
	v_cmp_lt_u32_e64 s1, 23, v0
	s_wait_loadcnt 0x0
	ds_store_b32 v1, v122
	s_wait_storecnt_dscnt 0x0
	s_barrier_signal -1
	s_barrier_wait -1
	s_wait_xcnt 0x0
	s_and_saveexec_b32 s2, s1
	s_cbranch_execz .LBB58_346
; %bb.337:
	s_and_not1_b32 vcc_lo, exec_lo, s3
	s_cbranch_vccnz .LBB58_339
; %bb.338:
	scratch_load_b32 v122, v7, off
	ds_load_b32 v123, v1
	s_wait_loadcnt_dscnt 0x0
	v_mul_f32_e32 v122, v122, v123
	s_cbranch_execz .LBB58_340
	s_branch .LBB58_341
.LBB58_339:
                                        ; implicit-def: $vgpr122
.LBB58_340:
	ds_load_b32 v122, v1
.LBB58_341:
	s_and_saveexec_b32 s12, s0
	s_cbranch_execz .LBB58_345
; %bb.342:
	v_subrev_nc_u32_e32 v123, 24, v0
	s_movk_i32 s13, 0x150
	s_mov_b32 s0, 0
.LBB58_343:                             ; =>This Inner Loop Header: Depth=1
	scratch_load_b32 v124, off, s11
	v_dual_mov_b32 v125, s13 :: v_dual_add_nc_u32 v123, -1, v123
	s_add_co_i32 s13, s13, 4
	s_wait_xcnt 0x0
	s_add_co_i32 s11, s11, 4
	ds_load_b32 v125, v125
	v_cmp_eq_u32_e32 vcc_lo, 0, v123
	s_or_b32 s0, vcc_lo, s0
	s_wait_loadcnt_dscnt 0x0
	v_fmac_f32_e32 v122, v124, v125
	s_and_not1_b32 exec_lo, exec_lo, s0
	s_cbranch_execnz .LBB58_343
; %bb.344:
	s_or_b32 exec_lo, exec_lo, s0
.LBB58_345:
	s_delay_alu instid0(SALU_CYCLE_1)
	s_or_b32 exec_lo, exec_lo, s12
	v_mov_b32_e32 v123, 0
	ds_load_b32 v123, v123 offset:92
	s_wait_dscnt 0x0
	v_mul_f32_e32 v122, v122, v123
	scratch_store_b32 off, v122, off offset:92
.LBB58_346:
	s_wait_xcnt 0x0
	s_or_b32 exec_lo, exec_lo, s2
	scratch_load_b32 v122, off, off offset:88
	v_cmp_lt_u32_e64 s0, 22, v0
	s_wait_loadcnt 0x0
	ds_store_b32 v1, v122
	s_wait_storecnt_dscnt 0x0
	s_barrier_signal -1
	s_barrier_wait -1
	s_wait_xcnt 0x0
	s_and_saveexec_b32 s2, s0
	s_cbranch_execz .LBB58_356
; %bb.347:
	s_and_not1_b32 vcc_lo, exec_lo, s3
	s_cbranch_vccnz .LBB58_349
; %bb.348:
	scratch_load_b32 v122, v7, off
	ds_load_b32 v123, v1
	s_wait_loadcnt_dscnt 0x0
	v_mul_f32_e32 v122, v122, v123
	s_cbranch_execz .LBB58_350
	s_branch .LBB58_351
.LBB58_349:
                                        ; implicit-def: $vgpr122
.LBB58_350:
	ds_load_b32 v122, v1
.LBB58_351:
	s_and_saveexec_b32 s11, s1
	s_cbranch_execz .LBB58_355
; %bb.352:
	v_subrev_nc_u32_e32 v123, 23, v0
	s_movk_i32 s1, 0x5c
	s_movk_i32 s13, 0x14c
	s_mov_b32 s12, 0
.LBB58_353:                             ; =>This Inner Loop Header: Depth=1
	scratch_load_b32 v124, off, s1
	v_dual_mov_b32 v125, s13 :: v_dual_add_nc_u32 v123, -1, v123
	s_add_co_i32 s13, s13, 4
	s_wait_xcnt 0x0
	s_add_co_i32 s1, s1, 4
	ds_load_b32 v125, v125
	v_cmp_eq_u32_e32 vcc_lo, 0, v123
	s_or_b32 s12, vcc_lo, s12
	s_wait_loadcnt_dscnt 0x0
	v_fmac_f32_e32 v122, v124, v125
	s_and_not1_b32 exec_lo, exec_lo, s12
	s_cbranch_execnz .LBB58_353
; %bb.354:
	s_or_b32 exec_lo, exec_lo, s12
.LBB58_355:
	s_delay_alu instid0(SALU_CYCLE_1)
	s_or_b32 exec_lo, exec_lo, s11
	v_mov_b32_e32 v123, 0
	ds_load_b32 v123, v123 offset:88
	s_wait_dscnt 0x0
	v_mul_f32_e32 v122, v122, v123
	scratch_store_b32 off, v122, off offset:88
.LBB58_356:
	s_wait_xcnt 0x0
	s_or_b32 exec_lo, exec_lo, s2
	scratch_load_b32 v122, off, off offset:84
	v_cmp_lt_u32_e64 s1, 21, v0
	s_wait_loadcnt 0x0
	ds_store_b32 v1, v122
	s_wait_storecnt_dscnt 0x0
	s_barrier_signal -1
	s_barrier_wait -1
	s_wait_xcnt 0x0
	s_and_saveexec_b32 s2, s1
	s_cbranch_execz .LBB58_366
; %bb.357:
	s_and_not1_b32 vcc_lo, exec_lo, s3
	s_cbranch_vccnz .LBB58_359
; %bb.358:
	scratch_load_b32 v122, v7, off
	ds_load_b32 v123, v1
	s_wait_loadcnt_dscnt 0x0
	v_mul_f32_e32 v122, v122, v123
	s_cbranch_execz .LBB58_360
	s_branch .LBB58_361
.LBB58_359:
                                        ; implicit-def: $vgpr122
.LBB58_360:
	ds_load_b32 v122, v1
.LBB58_361:
	s_and_saveexec_b32 s11, s0
	s_cbranch_execz .LBB58_365
; %bb.362:
	v_subrev_nc_u32_e32 v123, 22, v0
	s_movk_i32 s0, 0x58
	s_movk_i32 s13, 0x148
	s_mov_b32 s12, 0
.LBB58_363:                             ; =>This Inner Loop Header: Depth=1
	scratch_load_b32 v124, off, s0
	v_dual_mov_b32 v125, s13 :: v_dual_add_nc_u32 v123, -1, v123
	s_add_co_i32 s13, s13, 4
	s_wait_xcnt 0x0
	s_add_co_i32 s0, s0, 4
	ds_load_b32 v125, v125
	v_cmp_eq_u32_e32 vcc_lo, 0, v123
	s_or_b32 s12, vcc_lo, s12
	s_wait_loadcnt_dscnt 0x0
	v_fmac_f32_e32 v122, v124, v125
	s_and_not1_b32 exec_lo, exec_lo, s12
	s_cbranch_execnz .LBB58_363
; %bb.364:
	s_or_b32 exec_lo, exec_lo, s12
.LBB58_365:
	s_delay_alu instid0(SALU_CYCLE_1)
	s_or_b32 exec_lo, exec_lo, s11
	v_mov_b32_e32 v123, 0
	ds_load_b32 v123, v123 offset:84
	s_wait_dscnt 0x0
	v_mul_f32_e32 v122, v122, v123
	scratch_store_b32 off, v122, off offset:84
.LBB58_366:
	;; [unrolled: 58-line block ×3, first 2 shown]
	s_wait_xcnt 0x0
	s_or_b32 exec_lo, exec_lo, s2
	scratch_load_b32 v122, off, off offset:76
	v_cmp_lt_u32_e64 s1, 19, v0
	s_wait_loadcnt 0x0
	ds_store_b32 v1, v122
	s_wait_storecnt_dscnt 0x0
	s_barrier_signal -1
	s_barrier_wait -1
	s_wait_xcnt 0x0
	s_and_saveexec_b32 s2, s1
	s_cbranch_execz .LBB58_386
; %bb.377:
	s_and_not1_b32 vcc_lo, exec_lo, s3
	s_cbranch_vccnz .LBB58_379
; %bb.378:
	scratch_load_b32 v122, v7, off
	ds_load_b32 v123, v1
	s_wait_loadcnt_dscnt 0x0
	v_mul_f32_e32 v122, v122, v123
	s_cbranch_execz .LBB58_380
	s_branch .LBB58_381
.LBB58_379:
                                        ; implicit-def: $vgpr122
.LBB58_380:
	ds_load_b32 v122, v1
.LBB58_381:
	s_and_saveexec_b32 s11, s0
	s_cbranch_execz .LBB58_385
; %bb.382:
	v_subrev_nc_u32_e32 v123, 20, v0
	s_movk_i32 s12, 0x140
	s_mov_b32 s0, 0
.LBB58_383:                             ; =>This Inner Loop Header: Depth=1
	scratch_load_b32 v124, off, s10
	v_dual_mov_b32 v125, s12 :: v_dual_add_nc_u32 v123, -1, v123
	s_add_co_i32 s12, s12, 4
	s_wait_xcnt 0x0
	s_add_co_i32 s10, s10, 4
	ds_load_b32 v125, v125
	v_cmp_eq_u32_e32 vcc_lo, 0, v123
	s_or_b32 s0, vcc_lo, s0
	s_wait_loadcnt_dscnt 0x0
	v_fmac_f32_e32 v122, v124, v125
	s_and_not1_b32 exec_lo, exec_lo, s0
	s_cbranch_execnz .LBB58_383
; %bb.384:
	s_or_b32 exec_lo, exec_lo, s0
.LBB58_385:
	s_delay_alu instid0(SALU_CYCLE_1)
	s_or_b32 exec_lo, exec_lo, s11
	v_mov_b32_e32 v123, 0
	ds_load_b32 v123, v123 offset:76
	s_wait_dscnt 0x0
	v_mul_f32_e32 v122, v122, v123
	scratch_store_b32 off, v122, off offset:76
.LBB58_386:
	s_wait_xcnt 0x0
	s_or_b32 exec_lo, exec_lo, s2
	scratch_load_b32 v122, off, off offset:72
	v_cmp_lt_u32_e64 s0, 18, v0
	s_wait_loadcnt 0x0
	ds_store_b32 v1, v122
	s_wait_storecnt_dscnt 0x0
	s_barrier_signal -1
	s_barrier_wait -1
	s_wait_xcnt 0x0
	s_and_saveexec_b32 s2, s0
	s_cbranch_execz .LBB58_396
; %bb.387:
	s_and_not1_b32 vcc_lo, exec_lo, s3
	s_cbranch_vccnz .LBB58_389
; %bb.388:
	scratch_load_b32 v122, v7, off
	ds_load_b32 v123, v1
	s_wait_loadcnt_dscnt 0x0
	v_mul_f32_e32 v122, v122, v123
	s_cbranch_execz .LBB58_390
	s_branch .LBB58_391
.LBB58_389:
                                        ; implicit-def: $vgpr122
.LBB58_390:
	ds_load_b32 v122, v1
.LBB58_391:
	s_and_saveexec_b32 s10, s1
	s_cbranch_execz .LBB58_395
; %bb.392:
	v_subrev_nc_u32_e32 v123, 19, v0
	s_movk_i32 s1, 0x4c
	s_movk_i32 s12, 0x13c
	s_mov_b32 s11, 0
.LBB58_393:                             ; =>This Inner Loop Header: Depth=1
	scratch_load_b32 v124, off, s1
	v_dual_mov_b32 v125, s12 :: v_dual_add_nc_u32 v123, -1, v123
	s_add_co_i32 s12, s12, 4
	s_wait_xcnt 0x0
	s_add_co_i32 s1, s1, 4
	ds_load_b32 v125, v125
	v_cmp_eq_u32_e32 vcc_lo, 0, v123
	s_or_b32 s11, vcc_lo, s11
	s_wait_loadcnt_dscnt 0x0
	v_fmac_f32_e32 v122, v124, v125
	s_and_not1_b32 exec_lo, exec_lo, s11
	s_cbranch_execnz .LBB58_393
; %bb.394:
	s_or_b32 exec_lo, exec_lo, s11
.LBB58_395:
	s_delay_alu instid0(SALU_CYCLE_1)
	s_or_b32 exec_lo, exec_lo, s10
	v_mov_b32_e32 v123, 0
	ds_load_b32 v123, v123 offset:72
	s_wait_dscnt 0x0
	v_mul_f32_e32 v122, v122, v123
	scratch_store_b32 off, v122, off offset:72
.LBB58_396:
	s_wait_xcnt 0x0
	s_or_b32 exec_lo, exec_lo, s2
	scratch_load_b32 v122, off, off offset:68
	v_cmp_lt_u32_e64 s1, 17, v0
	s_wait_loadcnt 0x0
	ds_store_b32 v1, v122
	s_wait_storecnt_dscnt 0x0
	s_barrier_signal -1
	s_barrier_wait -1
	s_wait_xcnt 0x0
	s_and_saveexec_b32 s2, s1
	s_cbranch_execz .LBB58_406
; %bb.397:
	s_and_not1_b32 vcc_lo, exec_lo, s3
	s_cbranch_vccnz .LBB58_399
; %bb.398:
	scratch_load_b32 v122, v7, off
	ds_load_b32 v123, v1
	s_wait_loadcnt_dscnt 0x0
	v_mul_f32_e32 v122, v122, v123
	s_cbranch_execz .LBB58_400
	s_branch .LBB58_401
.LBB58_399:
                                        ; implicit-def: $vgpr122
.LBB58_400:
	ds_load_b32 v122, v1
.LBB58_401:
	s_and_saveexec_b32 s10, s0
	s_cbranch_execz .LBB58_405
; %bb.402:
	v_subrev_nc_u32_e32 v123, 18, v0
	s_movk_i32 s0, 0x48
	s_movk_i32 s12, 0x138
	s_mov_b32 s11, 0
.LBB58_403:                             ; =>This Inner Loop Header: Depth=1
	scratch_load_b32 v124, off, s0
	v_dual_mov_b32 v125, s12 :: v_dual_add_nc_u32 v123, -1, v123
	s_add_co_i32 s12, s12, 4
	s_wait_xcnt 0x0
	s_add_co_i32 s0, s0, 4
	ds_load_b32 v125, v125
	v_cmp_eq_u32_e32 vcc_lo, 0, v123
	s_or_b32 s11, vcc_lo, s11
	s_wait_loadcnt_dscnt 0x0
	v_fmac_f32_e32 v122, v124, v125
	s_and_not1_b32 exec_lo, exec_lo, s11
	s_cbranch_execnz .LBB58_403
; %bb.404:
	s_or_b32 exec_lo, exec_lo, s11
.LBB58_405:
	s_delay_alu instid0(SALU_CYCLE_1)
	s_or_b32 exec_lo, exec_lo, s10
	v_mov_b32_e32 v123, 0
	ds_load_b32 v123, v123 offset:68
	s_wait_dscnt 0x0
	v_mul_f32_e32 v122, v122, v123
	scratch_store_b32 off, v122, off offset:68
.LBB58_406:
	;; [unrolled: 58-line block ×3, first 2 shown]
	s_wait_xcnt 0x0
	s_or_b32 exec_lo, exec_lo, s2
	scratch_load_b32 v122, off, off offset:60
	v_cmp_lt_u32_e64 s1, 15, v0
	s_wait_loadcnt 0x0
	ds_store_b32 v1, v122
	s_wait_storecnt_dscnt 0x0
	s_barrier_signal -1
	s_barrier_wait -1
	s_wait_xcnt 0x0
	s_and_saveexec_b32 s2, s1
	s_cbranch_execz .LBB58_426
; %bb.417:
	s_and_not1_b32 vcc_lo, exec_lo, s3
	s_cbranch_vccnz .LBB58_419
; %bb.418:
	scratch_load_b32 v122, v7, off
	ds_load_b32 v123, v1
	s_wait_loadcnt_dscnt 0x0
	v_mul_f32_e32 v122, v122, v123
	s_cbranch_execz .LBB58_420
	s_branch .LBB58_421
.LBB58_419:
                                        ; implicit-def: $vgpr122
.LBB58_420:
	ds_load_b32 v122, v1
.LBB58_421:
	s_and_saveexec_b32 s10, s0
	s_cbranch_execz .LBB58_425
; %bb.422:
	v_add_nc_u32_e32 v123, -16, v0
	s_movk_i32 s11, 0x130
	s_mov_b32 s0, 0
.LBB58_423:                             ; =>This Inner Loop Header: Depth=1
	scratch_load_b32 v124, off, s9
	v_dual_mov_b32 v125, s11 :: v_dual_add_nc_u32 v123, -1, v123
	s_add_co_i32 s11, s11, 4
	s_wait_xcnt 0x0
	s_add_co_i32 s9, s9, 4
	ds_load_b32 v125, v125
	v_cmp_eq_u32_e32 vcc_lo, 0, v123
	s_or_b32 s0, vcc_lo, s0
	s_wait_loadcnt_dscnt 0x0
	v_fmac_f32_e32 v122, v124, v125
	s_and_not1_b32 exec_lo, exec_lo, s0
	s_cbranch_execnz .LBB58_423
; %bb.424:
	s_or_b32 exec_lo, exec_lo, s0
.LBB58_425:
	s_delay_alu instid0(SALU_CYCLE_1)
	s_or_b32 exec_lo, exec_lo, s10
	v_mov_b32_e32 v123, 0
	ds_load_b32 v123, v123 offset:60
	s_wait_dscnt 0x0
	v_mul_f32_e32 v122, v122, v123
	scratch_store_b32 off, v122, off offset:60
.LBB58_426:
	s_wait_xcnt 0x0
	s_or_b32 exec_lo, exec_lo, s2
	scratch_load_b32 v122, off, off offset:56
	v_cmp_lt_u32_e64 s0, 14, v0
	s_wait_loadcnt 0x0
	ds_store_b32 v1, v122
	s_wait_storecnt_dscnt 0x0
	s_barrier_signal -1
	s_barrier_wait -1
	s_wait_xcnt 0x0
	s_and_saveexec_b32 s2, s0
	s_cbranch_execz .LBB58_436
; %bb.427:
	s_and_not1_b32 vcc_lo, exec_lo, s3
	s_cbranch_vccnz .LBB58_429
; %bb.428:
	scratch_load_b32 v122, v7, off
	ds_load_b32 v123, v1
	s_wait_loadcnt_dscnt 0x0
	v_mul_f32_e32 v122, v122, v123
	s_cbranch_execz .LBB58_430
	s_branch .LBB58_431
.LBB58_429:
                                        ; implicit-def: $vgpr122
.LBB58_430:
	ds_load_b32 v122, v1
.LBB58_431:
	s_and_saveexec_b32 s9, s1
	s_cbranch_execz .LBB58_435
; %bb.432:
	v_add_nc_u32_e32 v123, -15, v0
	s_mov_b32 s1, 60
	s_movk_i32 s11, 0x12c
	s_mov_b32 s10, 0
.LBB58_433:                             ; =>This Inner Loop Header: Depth=1
	scratch_load_b32 v124, off, s1
	v_dual_mov_b32 v125, s11 :: v_dual_add_nc_u32 v123, -1, v123
	s_add_co_i32 s11, s11, 4
	s_wait_xcnt 0x0
	s_add_co_i32 s1, s1, 4
	ds_load_b32 v125, v125
	v_cmp_eq_u32_e32 vcc_lo, 0, v123
	s_or_b32 s10, vcc_lo, s10
	s_wait_loadcnt_dscnt 0x0
	v_fmac_f32_e32 v122, v124, v125
	s_and_not1_b32 exec_lo, exec_lo, s10
	s_cbranch_execnz .LBB58_433
; %bb.434:
	s_or_b32 exec_lo, exec_lo, s10
.LBB58_435:
	s_delay_alu instid0(SALU_CYCLE_1)
	s_or_b32 exec_lo, exec_lo, s9
	v_mov_b32_e32 v123, 0
	ds_load_b32 v123, v123 offset:56
	s_wait_dscnt 0x0
	v_mul_f32_e32 v122, v122, v123
	scratch_store_b32 off, v122, off offset:56
.LBB58_436:
	s_wait_xcnt 0x0
	s_or_b32 exec_lo, exec_lo, s2
	scratch_load_b32 v122, off, off offset:52
	v_cmp_lt_u32_e64 s1, 13, v0
	s_wait_loadcnt 0x0
	ds_store_b32 v1, v122
	s_wait_storecnt_dscnt 0x0
	s_barrier_signal -1
	s_barrier_wait -1
	s_wait_xcnt 0x0
	s_and_saveexec_b32 s2, s1
	s_cbranch_execz .LBB58_446
; %bb.437:
	s_and_not1_b32 vcc_lo, exec_lo, s3
	s_cbranch_vccnz .LBB58_439
; %bb.438:
	scratch_load_b32 v122, v7, off
	ds_load_b32 v123, v1
	s_wait_loadcnt_dscnt 0x0
	v_mul_f32_e32 v122, v122, v123
	s_cbranch_execz .LBB58_440
	s_branch .LBB58_441
.LBB58_439:
                                        ; implicit-def: $vgpr122
.LBB58_440:
	ds_load_b32 v122, v1
.LBB58_441:
	s_and_saveexec_b32 s9, s0
	s_cbranch_execz .LBB58_445
; %bb.442:
	v_add_nc_u32_e32 v123, -14, v0
	s_mov_b32 s0, 56
	s_movk_i32 s11, 0x128
	s_mov_b32 s10, 0
.LBB58_443:                             ; =>This Inner Loop Header: Depth=1
	scratch_load_b32 v124, off, s0
	v_dual_mov_b32 v125, s11 :: v_dual_add_nc_u32 v123, -1, v123
	s_add_co_i32 s11, s11, 4
	s_wait_xcnt 0x0
	s_add_co_i32 s0, s0, 4
	ds_load_b32 v125, v125
	v_cmp_eq_u32_e32 vcc_lo, 0, v123
	s_or_b32 s10, vcc_lo, s10
	s_wait_loadcnt_dscnt 0x0
	v_fmac_f32_e32 v122, v124, v125
	s_and_not1_b32 exec_lo, exec_lo, s10
	s_cbranch_execnz .LBB58_443
; %bb.444:
	s_or_b32 exec_lo, exec_lo, s10
.LBB58_445:
	s_delay_alu instid0(SALU_CYCLE_1)
	s_or_b32 exec_lo, exec_lo, s9
	v_mov_b32_e32 v123, 0
	ds_load_b32 v123, v123 offset:52
	s_wait_dscnt 0x0
	v_mul_f32_e32 v122, v122, v123
	scratch_store_b32 off, v122, off offset:52
.LBB58_446:
	;; [unrolled: 58-line block ×3, first 2 shown]
	s_wait_xcnt 0x0
	s_or_b32 exec_lo, exec_lo, s2
	scratch_load_b32 v122, off, off offset:44
	v_cmp_lt_u32_e64 s1, 11, v0
	s_wait_loadcnt 0x0
	ds_store_b32 v1, v122
	s_wait_storecnt_dscnt 0x0
	s_barrier_signal -1
	s_barrier_wait -1
	s_wait_xcnt 0x0
	s_and_saveexec_b32 s2, s1
	s_cbranch_execz .LBB58_466
; %bb.457:
	s_and_not1_b32 vcc_lo, exec_lo, s3
	s_cbranch_vccnz .LBB58_459
; %bb.458:
	scratch_load_b32 v122, v7, off
	ds_load_b32 v123, v1
	s_wait_loadcnt_dscnt 0x0
	v_mul_f32_e32 v122, v122, v123
	s_cbranch_execz .LBB58_460
	s_branch .LBB58_461
.LBB58_459:
                                        ; implicit-def: $vgpr122
.LBB58_460:
	ds_load_b32 v122, v1
.LBB58_461:
	s_and_saveexec_b32 s9, s0
	s_cbranch_execz .LBB58_465
; %bb.462:
	v_add_nc_u32_e32 v123, -12, v0
	s_movk_i32 s10, 0x120
	s_mov_b32 s0, 0
.LBB58_463:                             ; =>This Inner Loop Header: Depth=1
	scratch_load_b32 v124, off, s8
	v_dual_mov_b32 v125, s10 :: v_dual_add_nc_u32 v123, -1, v123
	s_add_co_i32 s10, s10, 4
	s_wait_xcnt 0x0
	s_add_co_i32 s8, s8, 4
	ds_load_b32 v125, v125
	v_cmp_eq_u32_e32 vcc_lo, 0, v123
	s_or_b32 s0, vcc_lo, s0
	s_wait_loadcnt_dscnt 0x0
	v_fmac_f32_e32 v122, v124, v125
	s_and_not1_b32 exec_lo, exec_lo, s0
	s_cbranch_execnz .LBB58_463
; %bb.464:
	s_or_b32 exec_lo, exec_lo, s0
.LBB58_465:
	s_delay_alu instid0(SALU_CYCLE_1)
	s_or_b32 exec_lo, exec_lo, s9
	v_mov_b32_e32 v123, 0
	ds_load_b32 v123, v123 offset:44
	s_wait_dscnt 0x0
	v_mul_f32_e32 v122, v122, v123
	scratch_store_b32 off, v122, off offset:44
.LBB58_466:
	s_wait_xcnt 0x0
	s_or_b32 exec_lo, exec_lo, s2
	scratch_load_b32 v122, off, off offset:40
	v_cmp_lt_u32_e64 s0, 10, v0
	s_wait_loadcnt 0x0
	ds_store_b32 v1, v122
	s_wait_storecnt_dscnt 0x0
	s_barrier_signal -1
	s_barrier_wait -1
	s_wait_xcnt 0x0
	s_and_saveexec_b32 s2, s0
	s_cbranch_execz .LBB58_476
; %bb.467:
	s_and_not1_b32 vcc_lo, exec_lo, s3
	s_cbranch_vccnz .LBB58_469
; %bb.468:
	scratch_load_b32 v122, v7, off
	ds_load_b32 v123, v1
	s_wait_loadcnt_dscnt 0x0
	v_mul_f32_e32 v122, v122, v123
	s_cbranch_execz .LBB58_470
	s_branch .LBB58_471
.LBB58_469:
                                        ; implicit-def: $vgpr122
.LBB58_470:
	ds_load_b32 v122, v1
.LBB58_471:
	s_and_saveexec_b32 s8, s1
	s_cbranch_execz .LBB58_475
; %bb.472:
	v_add_nc_u32_e32 v123, -11, v0
	s_mov_b32 s1, 44
	s_movk_i32 s10, 0x11c
	s_mov_b32 s9, 0
.LBB58_473:                             ; =>This Inner Loop Header: Depth=1
	scratch_load_b32 v124, off, s1
	v_dual_mov_b32 v125, s10 :: v_dual_add_nc_u32 v123, -1, v123
	s_add_co_i32 s10, s10, 4
	s_wait_xcnt 0x0
	s_add_co_i32 s1, s1, 4
	ds_load_b32 v125, v125
	v_cmp_eq_u32_e32 vcc_lo, 0, v123
	s_or_b32 s9, vcc_lo, s9
	s_wait_loadcnt_dscnt 0x0
	v_fmac_f32_e32 v122, v124, v125
	s_and_not1_b32 exec_lo, exec_lo, s9
	s_cbranch_execnz .LBB58_473
; %bb.474:
	s_or_b32 exec_lo, exec_lo, s9
.LBB58_475:
	s_delay_alu instid0(SALU_CYCLE_1)
	s_or_b32 exec_lo, exec_lo, s8
	v_mov_b32_e32 v123, 0
	ds_load_b32 v123, v123 offset:40
	s_wait_dscnt 0x0
	v_mul_f32_e32 v122, v122, v123
	scratch_store_b32 off, v122, off offset:40
.LBB58_476:
	s_wait_xcnt 0x0
	s_or_b32 exec_lo, exec_lo, s2
	scratch_load_b32 v122, off, off offset:36
	v_cmp_lt_u32_e64 s1, 9, v0
	s_wait_loadcnt 0x0
	ds_store_b32 v1, v122
	s_wait_storecnt_dscnt 0x0
	s_barrier_signal -1
	s_barrier_wait -1
	s_wait_xcnt 0x0
	s_and_saveexec_b32 s2, s1
	s_cbranch_execz .LBB58_486
; %bb.477:
	s_and_not1_b32 vcc_lo, exec_lo, s3
	s_cbranch_vccnz .LBB58_479
; %bb.478:
	scratch_load_b32 v122, v7, off
	ds_load_b32 v123, v1
	s_wait_loadcnt_dscnt 0x0
	v_mul_f32_e32 v122, v122, v123
	s_cbranch_execz .LBB58_480
	s_branch .LBB58_481
.LBB58_479:
                                        ; implicit-def: $vgpr122
.LBB58_480:
	ds_load_b32 v122, v1
.LBB58_481:
	s_and_saveexec_b32 s8, s0
	s_cbranch_execz .LBB58_485
; %bb.482:
	v_add_nc_u32_e32 v123, -10, v0
	s_mov_b32 s0, 40
	s_movk_i32 s10, 0x118
	s_mov_b32 s9, 0
.LBB58_483:                             ; =>This Inner Loop Header: Depth=1
	scratch_load_b32 v124, off, s0
	v_dual_mov_b32 v125, s10 :: v_dual_add_nc_u32 v123, -1, v123
	s_add_co_i32 s10, s10, 4
	s_wait_xcnt 0x0
	s_add_co_i32 s0, s0, 4
	ds_load_b32 v125, v125
	v_cmp_eq_u32_e32 vcc_lo, 0, v123
	s_or_b32 s9, vcc_lo, s9
	s_wait_loadcnt_dscnt 0x0
	v_fmac_f32_e32 v122, v124, v125
	s_and_not1_b32 exec_lo, exec_lo, s9
	s_cbranch_execnz .LBB58_483
; %bb.484:
	s_or_b32 exec_lo, exec_lo, s9
.LBB58_485:
	s_delay_alu instid0(SALU_CYCLE_1)
	s_or_b32 exec_lo, exec_lo, s8
	v_mov_b32_e32 v123, 0
	ds_load_b32 v123, v123 offset:36
	s_wait_dscnt 0x0
	v_mul_f32_e32 v122, v122, v123
	scratch_store_b32 off, v122, off offset:36
.LBB58_486:
	s_wait_xcnt 0x0
	s_or_b32 exec_lo, exec_lo, s2
	scratch_load_b32 v122, off, off offset:32
	v_cmp_lt_u32_e64 s0, 8, v0
	s_wait_loadcnt 0x0
	ds_store_b32 v1, v122
	s_wait_storecnt_dscnt 0x0
	s_barrier_signal -1
	s_barrier_wait -1
	s_wait_xcnt 0x0
	s_and_saveexec_b32 s2, s0
	s_cbranch_execz .LBB58_496
; %bb.487:
	s_and_not1_b32 vcc_lo, exec_lo, s3
	s_cbranch_vccnz .LBB58_489
; %bb.488:
	scratch_load_b32 v122, v7, off
	ds_load_b32 v123, v1
	s_wait_loadcnt_dscnt 0x0
	v_mul_f32_e32 v122, v122, v123
	s_cbranch_execz .LBB58_490
	s_branch .LBB58_491
.LBB58_489:
                                        ; implicit-def: $vgpr122
.LBB58_490:
	ds_load_b32 v122, v1
.LBB58_491:
	s_and_saveexec_b32 s8, s1
	s_cbranch_execz .LBB58_495
; %bb.492:
	v_add_nc_u32_e32 v123, -9, v0
	s_mov_b32 s1, 36
	s_movk_i32 s10, 0x114
	s_mov_b32 s9, 0
.LBB58_493:                             ; =>This Inner Loop Header: Depth=1
	scratch_load_b32 v124, off, s1
	v_dual_mov_b32 v125, s10 :: v_dual_add_nc_u32 v123, -1, v123
	s_add_co_i32 s10, s10, 4
	s_wait_xcnt 0x0
	s_add_co_i32 s1, s1, 4
	ds_load_b32 v125, v125
	v_cmp_eq_u32_e32 vcc_lo, 0, v123
	s_or_b32 s9, vcc_lo, s9
	s_wait_loadcnt_dscnt 0x0
	v_fmac_f32_e32 v122, v124, v125
	s_and_not1_b32 exec_lo, exec_lo, s9
	s_cbranch_execnz .LBB58_493
; %bb.494:
	s_or_b32 exec_lo, exec_lo, s9
.LBB58_495:
	s_delay_alu instid0(SALU_CYCLE_1)
	s_or_b32 exec_lo, exec_lo, s8
	v_mov_b32_e32 v123, 0
	ds_load_b32 v123, v123 offset:32
	s_wait_dscnt 0x0
	v_mul_f32_e32 v122, v122, v123
	scratch_store_b32 off, v122, off offset:32
.LBB58_496:
	s_wait_xcnt 0x0
	s_or_b32 exec_lo, exec_lo, s2
	scratch_load_b32 v122, off, off offset:28
	v_cmp_lt_u32_e64 s1, 7, v0
	s_wait_loadcnt 0x0
	ds_store_b32 v1, v122
	s_wait_storecnt_dscnt 0x0
	s_barrier_signal -1
	s_barrier_wait -1
	s_wait_xcnt 0x0
	s_and_saveexec_b32 s2, s1
	s_cbranch_execz .LBB58_506
; %bb.497:
	s_and_not1_b32 vcc_lo, exec_lo, s3
	s_cbranch_vccnz .LBB58_499
; %bb.498:
	scratch_load_b32 v122, v7, off
	ds_load_b32 v123, v1
	s_wait_loadcnt_dscnt 0x0
	v_mul_f32_e32 v122, v122, v123
	s_cbranch_execz .LBB58_500
	s_branch .LBB58_501
.LBB58_499:
                                        ; implicit-def: $vgpr122
.LBB58_500:
	ds_load_b32 v122, v1
.LBB58_501:
	s_and_saveexec_b32 s8, s0
	s_cbranch_execz .LBB58_505
; %bb.502:
	v_add_nc_u32_e32 v123, -8, v0
	s_movk_i32 s9, 0x110
	s_mov_b32 s0, 0
.LBB58_503:                             ; =>This Inner Loop Header: Depth=1
	scratch_load_b32 v124, off, s5
	v_dual_mov_b32 v125, s9 :: v_dual_add_nc_u32 v123, -1, v123
	s_add_co_i32 s9, s9, 4
	s_wait_xcnt 0x0
	s_add_co_i32 s5, s5, 4
	ds_load_b32 v125, v125
	v_cmp_eq_u32_e32 vcc_lo, 0, v123
	s_or_b32 s0, vcc_lo, s0
	s_wait_loadcnt_dscnt 0x0
	v_fmac_f32_e32 v122, v124, v125
	s_and_not1_b32 exec_lo, exec_lo, s0
	s_cbranch_execnz .LBB58_503
; %bb.504:
	s_or_b32 exec_lo, exec_lo, s0
.LBB58_505:
	s_delay_alu instid0(SALU_CYCLE_1)
	s_or_b32 exec_lo, exec_lo, s8
	v_mov_b32_e32 v123, 0
	ds_load_b32 v123, v123 offset:28
	s_wait_dscnt 0x0
	v_mul_f32_e32 v122, v122, v123
	scratch_store_b32 off, v122, off offset:28
.LBB58_506:
	s_wait_xcnt 0x0
	s_or_b32 exec_lo, exec_lo, s2
	scratch_load_b32 v122, off, off offset:24
	v_cmp_lt_u32_e64 s0, 6, v0
	s_wait_loadcnt 0x0
	ds_store_b32 v1, v122
	s_wait_storecnt_dscnt 0x0
	s_barrier_signal -1
	s_barrier_wait -1
	s_wait_xcnt 0x0
	s_and_saveexec_b32 s2, s0
	s_cbranch_execz .LBB58_516
; %bb.507:
	s_and_not1_b32 vcc_lo, exec_lo, s3
	s_cbranch_vccnz .LBB58_509
; %bb.508:
	scratch_load_b32 v122, v7, off
	ds_load_b32 v123, v1
	s_wait_loadcnt_dscnt 0x0
	v_mul_f32_e32 v122, v122, v123
	s_cbranch_execz .LBB58_510
	s_branch .LBB58_511
.LBB58_509:
                                        ; implicit-def: $vgpr122
.LBB58_510:
	ds_load_b32 v122, v1
.LBB58_511:
	s_and_saveexec_b32 s5, s1
	s_cbranch_execz .LBB58_515
; %bb.512:
	v_add_nc_u32_e32 v123, -7, v0
	s_mov_b32 s1, 28
	s_movk_i32 s9, 0x10c
	s_mov_b32 s8, 0
.LBB58_513:                             ; =>This Inner Loop Header: Depth=1
	scratch_load_b32 v124, off, s1
	v_dual_mov_b32 v125, s9 :: v_dual_add_nc_u32 v123, -1, v123
	s_add_co_i32 s9, s9, 4
	s_wait_xcnt 0x0
	s_add_co_i32 s1, s1, 4
	ds_load_b32 v125, v125
	v_cmp_eq_u32_e32 vcc_lo, 0, v123
	s_or_b32 s8, vcc_lo, s8
	s_wait_loadcnt_dscnt 0x0
	v_fmac_f32_e32 v122, v124, v125
	s_and_not1_b32 exec_lo, exec_lo, s8
	s_cbranch_execnz .LBB58_513
; %bb.514:
	s_or_b32 exec_lo, exec_lo, s8
.LBB58_515:
	s_delay_alu instid0(SALU_CYCLE_1)
	s_or_b32 exec_lo, exec_lo, s5
	v_mov_b32_e32 v123, 0
	ds_load_b32 v123, v123 offset:24
	s_wait_dscnt 0x0
	v_mul_f32_e32 v122, v122, v123
	scratch_store_b32 off, v122, off offset:24
.LBB58_516:
	s_wait_xcnt 0x0
	s_or_b32 exec_lo, exec_lo, s2
	scratch_load_b32 v122, off, off offset:20
	v_cmp_lt_u32_e64 s1, 5, v0
	s_wait_loadcnt 0x0
	ds_store_b32 v1, v122
	s_wait_storecnt_dscnt 0x0
	s_barrier_signal -1
	s_barrier_wait -1
	s_wait_xcnt 0x0
	s_and_saveexec_b32 s2, s1
	s_cbranch_execz .LBB58_526
; %bb.517:
	s_and_not1_b32 vcc_lo, exec_lo, s3
	s_cbranch_vccnz .LBB58_519
; %bb.518:
	scratch_load_b32 v122, v7, off
	ds_load_b32 v123, v1
	s_wait_loadcnt_dscnt 0x0
	v_mul_f32_e32 v122, v122, v123
	s_cbranch_execz .LBB58_520
	s_branch .LBB58_521
.LBB58_519:
                                        ; implicit-def: $vgpr122
.LBB58_520:
	ds_load_b32 v122, v1
.LBB58_521:
	s_and_saveexec_b32 s5, s0
	s_cbranch_execz .LBB58_525
; %bb.522:
	v_add_nc_u32_e32 v123, -6, v0
	s_mov_b32 s0, 24
	s_movk_i32 s9, 0x108
	s_mov_b32 s8, 0
.LBB58_523:                             ; =>This Inner Loop Header: Depth=1
	scratch_load_b32 v124, off, s0
	v_dual_mov_b32 v125, s9 :: v_dual_add_nc_u32 v123, -1, v123
	s_add_co_i32 s9, s9, 4
	s_wait_xcnt 0x0
	s_add_co_i32 s0, s0, 4
	ds_load_b32 v125, v125
	v_cmp_eq_u32_e32 vcc_lo, 0, v123
	s_or_b32 s8, vcc_lo, s8
	s_wait_loadcnt_dscnt 0x0
	v_fmac_f32_e32 v122, v124, v125
	s_and_not1_b32 exec_lo, exec_lo, s8
	s_cbranch_execnz .LBB58_523
; %bb.524:
	s_or_b32 exec_lo, exec_lo, s8
.LBB58_525:
	s_delay_alu instid0(SALU_CYCLE_1)
	s_or_b32 exec_lo, exec_lo, s5
	v_mov_b32_e32 v123, 0
	ds_load_b32 v123, v123 offset:20
	s_wait_dscnt 0x0
	v_mul_f32_e32 v122, v122, v123
	scratch_store_b32 off, v122, off offset:20
.LBB58_526:
	;; [unrolled: 58-line block ×3, first 2 shown]
	s_wait_xcnt 0x0
	s_or_b32 exec_lo, exec_lo, s2
	scratch_load_b32 v122, off, off offset:12
	v_cmp_lt_u32_e64 s2, 3, v0
	s_wait_loadcnt 0x0
	ds_store_b32 v1, v122
	s_wait_storecnt_dscnt 0x0
	s_barrier_signal -1
	s_barrier_wait -1
	s_wait_xcnt 0x0
	s_and_saveexec_b32 s1, s2
	s_cbranch_execz .LBB58_546
; %bb.537:
	s_and_not1_b32 vcc_lo, exec_lo, s3
	s_cbranch_vccnz .LBB58_539
; %bb.538:
	scratch_load_b32 v122, v7, off
	ds_load_b32 v123, v1
	s_wait_loadcnt_dscnt 0x0
	v_mul_f32_e32 v122, v122, v123
	s_cbranch_execz .LBB58_540
	s_branch .LBB58_541
.LBB58_539:
                                        ; implicit-def: $vgpr122
.LBB58_540:
	ds_load_b32 v122, v1
.LBB58_541:
	s_and_saveexec_b32 s5, s0
	s_cbranch_execz .LBB58_545
; %bb.542:
	v_add_nc_u32_e32 v123, -4, v0
	s_movk_i32 s8, 0x100
	s_mov_b32 s0, 0
.LBB58_543:                             ; =>This Inner Loop Header: Depth=1
	scratch_load_b32 v124, off, s4
	v_dual_mov_b32 v125, s8 :: v_dual_add_nc_u32 v123, -1, v123
	s_add_co_i32 s8, s8, 4
	s_wait_xcnt 0x0
	s_add_co_i32 s4, s4, 4
	ds_load_b32 v125, v125
	v_cmp_eq_u32_e32 vcc_lo, 0, v123
	s_or_b32 s0, vcc_lo, s0
	s_wait_loadcnt_dscnt 0x0
	v_fmac_f32_e32 v122, v124, v125
	s_and_not1_b32 exec_lo, exec_lo, s0
	s_cbranch_execnz .LBB58_543
; %bb.544:
	s_or_b32 exec_lo, exec_lo, s0
.LBB58_545:
	s_delay_alu instid0(SALU_CYCLE_1)
	s_or_b32 exec_lo, exec_lo, s5
	v_mov_b32_e32 v123, 0
	ds_load_b32 v123, v123 offset:12
	s_wait_dscnt 0x0
	v_mul_f32_e32 v122, v122, v123
	scratch_store_b32 off, v122, off offset:12
.LBB58_546:
	s_wait_xcnt 0x0
	s_or_b32 exec_lo, exec_lo, s1
	scratch_load_b32 v122, off, off offset:8
	v_cmp_lt_u32_e64 s1, 2, v0
	s_wait_loadcnt 0x0
	ds_store_b32 v1, v122
	s_wait_storecnt_dscnt 0x0
	s_barrier_signal -1
	s_barrier_wait -1
	s_wait_xcnt 0x0
	s_and_saveexec_b32 s0, s1
	s_cbranch_execz .LBB58_556
; %bb.547:
	s_and_not1_b32 vcc_lo, exec_lo, s3
	s_cbranch_vccnz .LBB58_549
; %bb.548:
	scratch_load_b32 v122, v7, off
	ds_load_b32 v123, v1
	s_wait_loadcnt_dscnt 0x0
	v_mul_f32_e32 v122, v122, v123
	s_cbranch_execz .LBB58_550
	s_branch .LBB58_551
.LBB58_549:
                                        ; implicit-def: $vgpr122
.LBB58_550:
	ds_load_b32 v122, v1
.LBB58_551:
	s_and_saveexec_b32 s4, s2
	s_cbranch_execz .LBB58_555
; %bb.552:
	v_add_nc_u32_e32 v123, -3, v0
	s_or_b32 s2, 0, 12
	s_movk_i32 s8, 0xfc
	s_mov_b32 s5, 0
.LBB58_553:                             ; =>This Inner Loop Header: Depth=1
	scratch_load_b32 v124, off, s2
	v_dual_mov_b32 v125, s8 :: v_dual_add_nc_u32 v123, -1, v123
	s_add_co_i32 s8, s8, 4
	s_wait_xcnt 0x0
	s_add_co_i32 s2, s2, 4
	ds_load_b32 v125, v125
	v_cmp_eq_u32_e32 vcc_lo, 0, v123
	s_or_b32 s5, vcc_lo, s5
	s_wait_loadcnt_dscnt 0x0
	v_fmac_f32_e32 v122, v124, v125
	s_and_not1_b32 exec_lo, exec_lo, s5
	s_cbranch_execnz .LBB58_553
; %bb.554:
	s_or_b32 exec_lo, exec_lo, s5
.LBB58_555:
	s_delay_alu instid0(SALU_CYCLE_1)
	s_or_b32 exec_lo, exec_lo, s4
	v_mov_b32_e32 v123, 0
	ds_load_b32 v123, v123 offset:8
	s_wait_dscnt 0x0
	v_mul_f32_e32 v122, v122, v123
	scratch_store_b32 off, v122, off offset:8
.LBB58_556:
	s_wait_xcnt 0x0
	s_or_b32 exec_lo, exec_lo, s0
	scratch_load_b32 v122, off, off offset:4
	v_cmp_lt_u32_e64 s0, 1, v0
	s_wait_loadcnt 0x0
	ds_store_b32 v1, v122
	s_wait_storecnt_dscnt 0x0
	s_barrier_signal -1
	s_barrier_wait -1
	s_wait_xcnt 0x0
	s_and_saveexec_b32 s2, s0
	s_cbranch_execz .LBB58_566
; %bb.557:
	s_and_not1_b32 vcc_lo, exec_lo, s3
	s_cbranch_vccnz .LBB58_559
; %bb.558:
	scratch_load_b32 v122, v7, off
	ds_load_b32 v123, v1
	s_wait_loadcnt_dscnt 0x0
	v_mul_f32_e32 v122, v122, v123
	s_cbranch_execz .LBB58_560
	s_branch .LBB58_561
.LBB58_559:
                                        ; implicit-def: $vgpr122
.LBB58_560:
	ds_load_b32 v122, v1
.LBB58_561:
	s_and_saveexec_b32 s4, s1
	s_cbranch_execz .LBB58_565
; %bb.562:
	v_add_nc_u32_e32 v123, -2, v0
	s_or_b32 s1, 0, 8
	s_movk_i32 s8, 0xf8
	s_mov_b32 s5, 0
.LBB58_563:                             ; =>This Inner Loop Header: Depth=1
	scratch_load_b32 v124, off, s1
	v_dual_mov_b32 v125, s8 :: v_dual_add_nc_u32 v123, -1, v123
	s_add_co_i32 s8, s8, 4
	s_wait_xcnt 0x0
	s_add_co_i32 s1, s1, 4
	ds_load_b32 v125, v125
	v_cmp_eq_u32_e32 vcc_lo, 0, v123
	s_or_b32 s5, vcc_lo, s5
	s_wait_loadcnt_dscnt 0x0
	v_fmac_f32_e32 v122, v124, v125
	s_and_not1_b32 exec_lo, exec_lo, s5
	s_cbranch_execnz .LBB58_563
; %bb.564:
	s_or_b32 exec_lo, exec_lo, s5
.LBB58_565:
	s_delay_alu instid0(SALU_CYCLE_1)
	s_or_b32 exec_lo, exec_lo, s4
	v_mov_b32_e32 v123, 0
	ds_load_b32 v123, v123 offset:4
	s_wait_dscnt 0x0
	v_mul_f32_e32 v122, v122, v123
	scratch_store_b32 off, v122, off offset:4
.LBB58_566:
	s_wait_xcnt 0x0
	s_or_b32 exec_lo, exec_lo, s2
	scratch_load_b32 v122, off, off
	s_mov_b32 s1, 0
	s_mov_b32 s2, exec_lo
	s_wait_loadcnt 0x0
	ds_store_b32 v1, v122
	s_wait_storecnt_dscnt 0x0
	s_barrier_signal -1
	s_barrier_wait -1
	s_wait_xcnt 0x0
	v_cmpx_ne_u32_e32 0, v0
	s_cbranch_execz .LBB58_576
; %bb.567:
	s_and_not1_b32 vcc_lo, exec_lo, s3
	s_cbranch_vccnz .LBB58_569
; %bb.568:
	scratch_load_b32 v122, v7, off
	ds_load_b32 v123, v1
	s_wait_loadcnt_dscnt 0x0
	v_mul_f32_e32 v122, v122, v123
	s_cbranch_execz .LBB58_570
	s_branch .LBB58_571
.LBB58_569:
                                        ; implicit-def: $vgpr122
.LBB58_570:
	ds_load_b32 v122, v1
.LBB58_571:
	s_and_saveexec_b32 s4, s0
	s_cbranch_execz .LBB58_575
; %bb.572:
	v_add_nc_u32_e32 v123, -1, v0
	s_or_b32 s0, 0, 4
	s_movk_i32 s8, 0xf4
	s_mov_b32 s5, 0
.LBB58_573:                             ; =>This Inner Loop Header: Depth=1
	scratch_load_b32 v124, off, s0
	v_dual_mov_b32 v125, s8 :: v_dual_add_nc_u32 v123, -1, v123
	s_add_co_i32 s8, s8, 4
	s_wait_xcnt 0x0
	s_add_co_i32 s0, s0, 4
	ds_load_b32 v125, v125
	v_cmp_eq_u32_e32 vcc_lo, 0, v123
	s_or_b32 s5, vcc_lo, s5
	s_wait_loadcnt_dscnt 0x0
	v_fmac_f32_e32 v122, v124, v125
	s_and_not1_b32 exec_lo, exec_lo, s5
	s_cbranch_execnz .LBB58_573
; %bb.574:
	s_or_b32 exec_lo, exec_lo, s5
.LBB58_575:
	s_delay_alu instid0(SALU_CYCLE_1)
	s_or_b32 exec_lo, exec_lo, s4
	v_mov_b32_e32 v123, 0
	ds_load_b32 v123, v123
	s_wait_dscnt 0x0
	v_mul_f32_e32 v122, v122, v123
	scratch_store_b32 off, v122, off
.LBB58_576:
	s_wait_xcnt 0x0
	s_or_b32 exec_lo, exec_lo, s2
.LBB58_577:
	v_lshl_add_u64 v[142:143], v[8:9], 2, s[6:7]
	v_lshl_add_u64 v[140:141], v[10:11], 2, s[6:7]
	;; [unrolled: 1-line block ×57, first 2 shown]
	s_and_b32 vcc_lo, exec_lo, s1
	s_cbranch_vccz .LBB58_1149
; %bb.578:
	scratch_load_b32 v100, off, off offset:4
	v_cmp_eq_u32_e64 s0, 0, v0
	s_wait_loadcnt 0x0
	ds_store_b32 v1, v100
	s_wait_storecnt_dscnt 0x0
	s_barrier_signal -1
	s_barrier_wait -1
	s_wait_xcnt 0x0
	s_and_saveexec_b32 s1, s0
	s_cbranch_execz .LBB58_584
; %bb.579:
	s_and_b32 vcc_lo, exec_lo, s3
	s_cbranch_vccz .LBB58_581
; %bb.580:
	scratch_load_b32 v100, v7, off
	ds_load_b32 v101, v1
	s_wait_loadcnt_dscnt 0x0
	v_mul_f32_e32 v100, v100, v101
	s_cbranch_execz .LBB58_582
	s_branch .LBB58_583
.LBB58_581:
                                        ; implicit-def: $vgpr100
.LBB58_582:
	ds_load_b32 v100, v1
.LBB58_583:
	v_mov_b32_e32 v101, 0
	ds_load_b32 v101, v101 offset:4
	s_wait_dscnt 0x0
	v_mul_f32_e32 v100, v100, v101
	scratch_store_b32 off, v100, off offset:4
.LBB58_584:
	s_wait_xcnt 0x0
	s_or_b32 exec_lo, exec_lo, s1
	scratch_load_b32 v101, off, off offset:8
	v_cndmask_b32_e64 v100, 0, 1, s3
	s_mov_b32 s1, exec_lo
	s_wait_loadcnt 0x0
	ds_store_b32 v1, v101
	s_wait_storecnt_dscnt 0x0
	s_barrier_signal -1
	s_barrier_wait -1
	s_wait_xcnt 0x0
	v_cmpx_gt_u32_e32 2, v0
	s_cbranch_execz .LBB58_590
; %bb.585:
	s_and_not1_b32 vcc_lo, exec_lo, s3
	s_cbranch_vccnz .LBB58_587
; %bb.586:
	scratch_load_b32 v101, v7, off
	ds_load_b32 v102, v1
	s_wait_loadcnt_dscnt 0x0
	v_mul_f32_e32 v101, v101, v102
	s_cbranch_execz .LBB58_588
	s_branch .LBB58_589
.LBB58_587:
                                        ; implicit-def: $vgpr101
.LBB58_588:
	ds_load_b32 v101, v1
.LBB58_589:
	scratch_load_b32 v104, off, off offset:4
	v_mov_b32_e32 v102, 0
	ds_load_2addr_b32 v[102:103], v102 offset0:2 offset1:61
	s_wait_loadcnt_dscnt 0x0
	v_fma_f32 v103, v104, v103, v101
	s_delay_alu instid0(VALU_DEP_1) | instskip(NEXT) | instid1(VALU_DEP_1)
	v_cndmask_b32_e64 v101, v101, v103, s0
	v_mul_f32_e32 v101, v101, v102
	scratch_store_b32 off, v101, off offset:8
.LBB58_590:
	s_wait_xcnt 0x0
	s_or_b32 exec_lo, exec_lo, s1
	scratch_load_b32 v101, off, off offset:12
	s_mov_b32 s1, exec_lo
	s_wait_loadcnt 0x0
	ds_store_b32 v1, v101
	s_wait_storecnt_dscnt 0x0
	s_barrier_signal -1
	s_barrier_wait -1
	s_wait_xcnt 0x0
	v_cmpx_gt_u32_e32 3, v0
	s_cbranch_execz .LBB58_598
; %bb.591:
	v_cmp_ne_u32_e32 vcc_lo, 1, v100
	s_cbranch_vccnz .LBB58_593
; %bb.592:
	scratch_load_b32 v101, v7, off
	ds_load_b32 v102, v1
	s_wait_loadcnt_dscnt 0x0
	v_mul_f32_e32 v101, v101, v102
	s_cbranch_execz .LBB58_594
	s_branch .LBB58_595
.LBB58_593:
                                        ; implicit-def: $vgpr101
.LBB58_594:
	ds_load_b32 v101, v1
.LBB58_595:
	s_mov_b32 s2, exec_lo
	v_cmpx_ne_u32_e32 2, v0
	s_cbranch_execz .LBB58_597
; %bb.596:
	scratch_load_b32 v102, v7, off offset:4
	ds_load_b32 v103, v1 offset:4
	s_wait_loadcnt_dscnt 0x0
	v_dual_fmac_f32 v101, v102, v103 :: v_dual_mov_b32 v103, 0
	scratch_load_b32 v102, off, off offset:8
	ds_load_b32 v103, v103 offset:248
	s_wait_loadcnt_dscnt 0x0
	v_fma_f32 v102, v102, v103, v101
	s_delay_alu instid0(VALU_DEP_1)
	v_cndmask_b32_e64 v101, v101, v102, s0
.LBB58_597:
	s_or_b32 exec_lo, exec_lo, s2
	v_mov_b32_e32 v102, 0
	ds_load_b32 v102, v102 offset:12
	s_wait_dscnt 0x0
	v_mul_f32_e32 v101, v101, v102
	scratch_store_b32 off, v101, off offset:12
.LBB58_598:
	s_wait_xcnt 0x0
	s_or_b32 exec_lo, exec_lo, s1
	scratch_load_b32 v101, off, off offset:16
	s_mov_b32 s0, exec_lo
	s_wait_loadcnt 0x0
	ds_store_b32 v1, v101
	s_wait_storecnt_dscnt 0x0
	s_barrier_signal -1
	s_barrier_wait -1
	s_wait_xcnt 0x0
	v_cmpx_gt_u32_e32 4, v0
	s_cbranch_execz .LBB58_608
; %bb.599:
	v_cmp_ne_u32_e32 vcc_lo, 1, v100
	s_cbranch_vccnz .LBB58_601
; %bb.600:
	scratch_load_b32 v101, v7, off
	ds_load_b32 v102, v1
	s_wait_loadcnt_dscnt 0x0
	v_mul_f32_e32 v101, v101, v102
	s_cbranch_execz .LBB58_602
	s_branch .LBB58_603
.LBB58_601:
                                        ; implicit-def: $vgpr101
.LBB58_602:
	ds_load_b32 v101, v1
.LBB58_603:
	s_mov_b32 s1, exec_lo
	v_cmpx_ne_u32_e32 3, v0
	s_cbranch_execz .LBB58_607
; %bb.604:
	v_add_nc_u32_e32 v102, 0xf4, v6
	v_add3_u32 v103, 0, v6, 4
	v_mov_b32_e32 v104, v0
	s_mov_b32 s2, 0
.LBB58_605:                             ; =>This Inner Loop Header: Depth=1
	scratch_load_b32 v105, v103, off
	ds_load_b32 v106, v102
	v_dual_add_nc_u32 v104, 1, v104 :: v_dual_add_nc_u32 v102, 4, v102
	s_wait_xcnt 0x0
	v_add_nc_u32_e32 v103, 4, v103
	s_delay_alu instid0(VALU_DEP_2)
	v_cmp_lt_u32_e32 vcc_lo, 2, v104
	s_or_b32 s2, vcc_lo, s2
	s_wait_loadcnt_dscnt 0x0
	v_fmac_f32_e32 v101, v105, v106
	s_and_not1_b32 exec_lo, exec_lo, s2
	s_cbranch_execnz .LBB58_605
; %bb.606:
	s_or_b32 exec_lo, exec_lo, s2
.LBB58_607:
	s_delay_alu instid0(SALU_CYCLE_1)
	s_or_b32 exec_lo, exec_lo, s1
	v_mov_b32_e32 v102, 0
	ds_load_b32 v102, v102 offset:16
	s_wait_dscnt 0x0
	v_mul_f32_e32 v101, v101, v102
	scratch_store_b32 off, v101, off offset:16
.LBB58_608:
	s_wait_xcnt 0x0
	s_or_b32 exec_lo, exec_lo, s0
	scratch_load_b32 v101, off, off offset:20
	s_mov_b32 s0, exec_lo
	s_wait_loadcnt 0x0
	ds_store_b32 v1, v101
	s_wait_storecnt_dscnt 0x0
	s_barrier_signal -1
	s_barrier_wait -1
	s_wait_xcnt 0x0
	v_cmpx_gt_u32_e32 5, v0
	s_cbranch_execz .LBB58_618
; %bb.609:
	v_cmp_ne_u32_e32 vcc_lo, 1, v100
	s_cbranch_vccnz .LBB58_611
; %bb.610:
	scratch_load_b32 v101, v7, off
	ds_load_b32 v102, v1
	s_wait_loadcnt_dscnt 0x0
	v_mul_f32_e32 v101, v101, v102
	s_cbranch_execz .LBB58_612
	s_branch .LBB58_613
.LBB58_611:
                                        ; implicit-def: $vgpr101
.LBB58_612:
	ds_load_b32 v101, v1
.LBB58_613:
	s_mov_b32 s1, exec_lo
	v_cmpx_ne_u32_e32 4, v0
	s_cbranch_execz .LBB58_617
; %bb.614:
	v_add_nc_u32_e32 v102, 0xf4, v6
	v_add3_u32 v103, 0, v6, 4
	v_mov_b32_e32 v104, v0
	s_mov_b32 s2, 0
.LBB58_615:                             ; =>This Inner Loop Header: Depth=1
	scratch_load_b32 v105, v103, off
	ds_load_b32 v106, v102
	v_dual_add_nc_u32 v104, 1, v104 :: v_dual_add_nc_u32 v102, 4, v102
	s_wait_xcnt 0x0
	v_add_nc_u32_e32 v103, 4, v103
	s_delay_alu instid0(VALU_DEP_2)
	v_cmp_lt_u32_e32 vcc_lo, 3, v104
	s_or_b32 s2, vcc_lo, s2
	s_wait_loadcnt_dscnt 0x0
	v_fmac_f32_e32 v101, v105, v106
	s_and_not1_b32 exec_lo, exec_lo, s2
	s_cbranch_execnz .LBB58_615
; %bb.616:
	s_or_b32 exec_lo, exec_lo, s2
.LBB58_617:
	s_delay_alu instid0(SALU_CYCLE_1)
	s_or_b32 exec_lo, exec_lo, s1
	v_mov_b32_e32 v102, 0
	ds_load_b32 v102, v102 offset:20
	s_wait_dscnt 0x0
	v_mul_f32_e32 v101, v101, v102
	scratch_store_b32 off, v101, off offset:20
.LBB58_618:
	;; [unrolled: 59-line block ×40, first 2 shown]
	s_wait_xcnt 0x0
	s_or_b32 exec_lo, exec_lo, s0
	scratch_load_b32 v101, off, off offset:176
	s_mov_b32 s0, exec_lo
	s_wait_loadcnt 0x0
	ds_store_b32 v1, v101
	s_wait_storecnt_dscnt 0x0
	s_barrier_signal -1
	s_barrier_wait -1
	s_wait_xcnt 0x0
	v_cmpx_gt_u32_e32 44, v0
	s_cbranch_execz .LBB58_1008
; %bb.999:
	v_cmp_ne_u32_e32 vcc_lo, 1, v100
	s_cbranch_vccnz .LBB58_1001
; %bb.1000:
	scratch_load_b32 v101, v7, off
	ds_load_b32 v102, v1
	s_wait_loadcnt_dscnt 0x0
	v_mul_f32_e32 v101, v101, v102
	s_cbranch_execz .LBB58_1002
	s_branch .LBB58_1003
.LBB58_1001:
                                        ; implicit-def: $vgpr101
.LBB58_1002:
	ds_load_b32 v101, v1
.LBB58_1003:
	s_mov_b32 s1, exec_lo
	v_cmpx_ne_u32_e32 43, v0
	s_cbranch_execz .LBB58_1007
; %bb.1004:
	v_add_nc_u32_e32 v102, 0xf4, v6
	v_add3_u32 v103, 0, v6, 4
	v_mov_b32_e32 v104, v0
	s_mov_b32 s2, 0
.LBB58_1005:                            ; =>This Inner Loop Header: Depth=1
	scratch_load_b32 v105, v103, off
	ds_load_b32 v106, v102
	v_dual_add_nc_u32 v104, 1, v104 :: v_dual_add_nc_u32 v102, 4, v102
	s_wait_xcnt 0x0
	v_add_nc_u32_e32 v103, 4, v103
	s_delay_alu instid0(VALU_DEP_2)
	v_cmp_lt_u32_e32 vcc_lo, 42, v104
	s_or_b32 s2, vcc_lo, s2
	s_wait_loadcnt_dscnt 0x0
	v_fmac_f32_e32 v101, v105, v106
	s_and_not1_b32 exec_lo, exec_lo, s2
	s_cbranch_execnz .LBB58_1005
; %bb.1006:
	s_or_b32 exec_lo, exec_lo, s2
.LBB58_1007:
	s_delay_alu instid0(SALU_CYCLE_1)
	s_or_b32 exec_lo, exec_lo, s1
	v_mov_b32_e32 v102, 0
	ds_load_b32 v102, v102 offset:176
	s_wait_dscnt 0x0
	v_mul_f32_e32 v101, v101, v102
	scratch_store_b32 off, v101, off offset:176
.LBB58_1008:
	s_wait_xcnt 0x0
	s_or_b32 exec_lo, exec_lo, s0
	scratch_load_b32 v101, off, off offset:180
	s_mov_b32 s0, exec_lo
	s_wait_loadcnt 0x0
	ds_store_b32 v1, v101
	s_wait_storecnt_dscnt 0x0
	s_barrier_signal -1
	s_barrier_wait -1
	s_wait_xcnt 0x0
	v_cmpx_gt_u32_e32 45, v0
	s_cbranch_execz .LBB58_1018
; %bb.1009:
	v_cmp_ne_u32_e32 vcc_lo, 1, v100
	s_cbranch_vccnz .LBB58_1011
; %bb.1010:
	scratch_load_b32 v101, v7, off
	ds_load_b32 v102, v1
	s_wait_loadcnt_dscnt 0x0
	v_mul_f32_e32 v101, v101, v102
	s_cbranch_execz .LBB58_1012
	s_branch .LBB58_1013
.LBB58_1011:
                                        ; implicit-def: $vgpr101
.LBB58_1012:
	ds_load_b32 v101, v1
.LBB58_1013:
	s_mov_b32 s1, exec_lo
	v_cmpx_ne_u32_e32 44, v0
	s_cbranch_execz .LBB58_1017
; %bb.1014:
	v_add_nc_u32_e32 v102, 0xf4, v6
	v_add3_u32 v103, 0, v6, 4
	v_mov_b32_e32 v104, v0
	s_mov_b32 s2, 0
.LBB58_1015:                            ; =>This Inner Loop Header: Depth=1
	scratch_load_b32 v105, v103, off
	ds_load_b32 v106, v102
	v_dual_add_nc_u32 v104, 1, v104 :: v_dual_add_nc_u32 v102, 4, v102
	s_wait_xcnt 0x0
	v_add_nc_u32_e32 v103, 4, v103
	s_delay_alu instid0(VALU_DEP_2)
	v_cmp_lt_u32_e32 vcc_lo, 43, v104
	s_or_b32 s2, vcc_lo, s2
	s_wait_loadcnt_dscnt 0x0
	v_fmac_f32_e32 v101, v105, v106
	s_and_not1_b32 exec_lo, exec_lo, s2
	s_cbranch_execnz .LBB58_1015
; %bb.1016:
	s_or_b32 exec_lo, exec_lo, s2
.LBB58_1017:
	s_delay_alu instid0(SALU_CYCLE_1)
	s_or_b32 exec_lo, exec_lo, s1
	v_mov_b32_e32 v102, 0
	ds_load_b32 v102, v102 offset:180
	s_wait_dscnt 0x0
	v_mul_f32_e32 v101, v101, v102
	scratch_store_b32 off, v101, off offset:180
.LBB58_1018:
	;; [unrolled: 59-line block ×13, first 2 shown]
	s_wait_xcnt 0x0
	s_or_b32 exec_lo, exec_lo, s0
	scratch_load_b32 v101, off, off offset:228
	v_cmp_gt_u32_e64 s0, 57, v0
	s_wait_loadcnt 0x0
	ds_store_b32 v1, v101
	s_wait_storecnt_dscnt 0x0
	s_barrier_signal -1
	s_barrier_wait -1
	s_wait_xcnt 0x0
	s_and_saveexec_b32 s1, s0
	s_cbranch_execz .LBB58_1138
; %bb.1129:
	v_cmp_ne_u32_e32 vcc_lo, 1, v100
	s_cbranch_vccnz .LBB58_1131
; %bb.1130:
	scratch_load_b32 v101, v7, off
	ds_load_b32 v102, v1
	s_wait_loadcnt_dscnt 0x0
	v_mul_f32_e32 v101, v101, v102
	s_cbranch_execz .LBB58_1132
	s_branch .LBB58_1133
.LBB58_1131:
                                        ; implicit-def: $vgpr101
.LBB58_1132:
	ds_load_b32 v101, v1
.LBB58_1133:
	s_mov_b32 s2, exec_lo
	v_cmpx_ne_u32_e32 56, v0
	s_cbranch_execz .LBB58_1137
; %bb.1134:
	v_add_nc_u32_e32 v102, 0xf4, v6
	v_add3_u32 v103, 0, v6, 4
	v_mov_b32_e32 v104, v0
	s_mov_b32 s3, 0
.LBB58_1135:                            ; =>This Inner Loop Header: Depth=1
	scratch_load_b32 v105, v103, off
	ds_load_b32 v106, v102
	v_dual_add_nc_u32 v104, 1, v104 :: v_dual_add_nc_u32 v102, 4, v102
	s_wait_xcnt 0x0
	v_add_nc_u32_e32 v103, 4, v103
	s_delay_alu instid0(VALU_DEP_2)
	v_cmp_lt_u32_e32 vcc_lo, 55, v104
	s_or_b32 s3, vcc_lo, s3
	s_wait_loadcnt_dscnt 0x0
	v_fmac_f32_e32 v101, v105, v106
	s_and_not1_b32 exec_lo, exec_lo, s3
	s_cbranch_execnz .LBB58_1135
; %bb.1136:
	s_or_b32 exec_lo, exec_lo, s3
.LBB58_1137:
	s_delay_alu instid0(SALU_CYCLE_1)
	s_or_b32 exec_lo, exec_lo, s2
	v_mov_b32_e32 v102, 0
	ds_load_b32 v102, v102 offset:228
	s_wait_dscnt 0x0
	v_mul_f32_e32 v101, v101, v102
	scratch_store_b32 off, v101, off offset:228
.LBB58_1138:
	s_wait_xcnt 0x0
	s_or_b32 exec_lo, exec_lo, s1
	scratch_load_b32 v101, off, off offset:232
	s_mov_b32 s1, exec_lo
	s_wait_loadcnt 0x0
	ds_store_b32 v1, v101
	s_wait_storecnt_dscnt 0x0
	s_barrier_signal -1
	s_barrier_wait -1
	s_wait_xcnt 0x0
	v_cmpx_ne_u32_e32 58, v0
	s_cbranch_execz .LBB58_1148
; %bb.1139:
	v_cmp_ne_u32_e32 vcc_lo, 1, v100
	s_cbranch_vccnz .LBB58_1141
; %bb.1140:
	scratch_load_b32 v7, v7, off
	ds_load_b32 v100, v1
	s_wait_loadcnt_dscnt 0x0
	v_mul_f32_e32 v7, v7, v100
	s_cbranch_execz .LBB58_1142
	s_branch .LBB58_1143
.LBB58_1141:
                                        ; implicit-def: $vgpr7
.LBB58_1142:
	ds_load_b32 v7, v1
.LBB58_1143:
	s_and_saveexec_b32 s2, s0
	s_cbranch_execz .LBB58_1147
; %bb.1144:
	v_add_nc_u32_e32 v1, 0xf4, v6
	v_add3_u32 v6, 0, v6, 4
	s_mov_b32 s0, 0
.LBB58_1145:                            ; =>This Inner Loop Header: Depth=1
	scratch_load_b32 v100, v6, off
	ds_load_b32 v101, v1
	v_dual_add_nc_u32 v0, 1, v0 :: v_dual_add_nc_u32 v1, 4, v1
	s_wait_xcnt 0x0
	v_add_nc_u32_e32 v6, 4, v6
	s_delay_alu instid0(VALU_DEP_2)
	v_cmp_lt_u32_e32 vcc_lo, 56, v0
	s_or_b32 s0, vcc_lo, s0
	s_wait_loadcnt_dscnt 0x0
	v_fmac_f32_e32 v7, v100, v101
	s_and_not1_b32 exec_lo, exec_lo, s0
	s_cbranch_execnz .LBB58_1145
; %bb.1146:
	s_or_b32 exec_lo, exec_lo, s0
.LBB58_1147:
	s_delay_alu instid0(SALU_CYCLE_1)
	s_or_b32 exec_lo, exec_lo, s2
	v_mov_b32_e32 v0, 0
	ds_load_b32 v0, v0 offset:232
	s_wait_dscnt 0x0
	v_mul_f32_e32 v0, v7, v0
	scratch_store_b32 off, v0, off offset:232
.LBB58_1148:
	s_wait_xcnt 0x0
	s_or_b32 exec_lo, exec_lo, s1
.LBB58_1149:
	s_clause 0x4
	scratch_load_b128 v[100:103], off, off
	scratch_load_b128 v[104:107], off, off offset:16
	scratch_load_b128 v[108:111], off, off offset:32
	;; [unrolled: 1-line block ×4, first 2 shown]
	s_wait_loadcnt 0x4
	global_store_b32 v[2:3], v100, off
	scratch_load_b128 v[0:3], off, off offset:80
	s_clause 0x1
	global_store_b32 v[4:5], v101, off
	global_store_b32 v[142:143], v102, off
	scratch_load_b128 v[4:7], off, off offset:96
	global_store_b32 v[140:141], v103, off
	scratch_load_b128 v[100:103], off, off offset:112
	s_wait_loadcnt 0x6
	global_store_b32 v[138:139], v104, off
	scratch_load_b128 v[138:141], off, off offset:128
	s_clause 0x1
	global_store_b32 v[134:135], v105, off
	global_store_b32 v[136:137], v106, off
	scratch_load_b128 v[134:137], off, off offset:144
	global_store_b32 v[132:133], v107, off
	scratch_load_b128 v[104:107], off, off offset:160
	;; [unrolled: 9-line block ×3, first 2 shown]
	s_wait_loadcnt 0xa
	global_store_b32 v[122:123], v112, off
	scratch_load_b96 v[120:122], off, off offset:224
	s_clause 0x2
	global_store_b32 v[8:9], v113, off
	global_store_b32 v[10:11], v114, off
	global_store_b32 v[12:13], v115, off
	s_wait_loadcnt 0xa
	s_clause 0x3
	global_store_b32 v[14:15], v116, off
	global_store_b32 v[16:17], v117, off
	global_store_b32 v[18:19], v118, off
	global_store_b32 v[20:21], v119, off
	s_wait_loadcnt 0x9
	s_clause 0x3
	global_store_b32 v[22:23], v0, off
	;; [unrolled: 6-line block ×11, first 2 shown]
	global_store_b32 v[96:97], v121, off
	global_store_b32 v[98:99], v122, off
.LBB58_1150:
	s_sendmsg sendmsg(MSG_DEALLOC_VGPRS)
	s_endpgm
	.section	.rodata,"a",@progbits
	.p2align	6, 0x0
	.amdhsa_kernel _ZN9rocsolver6v33100L18trti2_kernel_smallILi59EfPfEEv13rocblas_fill_17rocblas_diagonal_T1_iil
		.amdhsa_group_segment_fixed_size 476
		.amdhsa_private_segment_fixed_size 240
		.amdhsa_kernarg_size 32
		.amdhsa_user_sgpr_count 2
		.amdhsa_user_sgpr_dispatch_ptr 0
		.amdhsa_user_sgpr_queue_ptr 0
		.amdhsa_user_sgpr_kernarg_segment_ptr 1
		.amdhsa_user_sgpr_dispatch_id 0
		.amdhsa_user_sgpr_kernarg_preload_length 0
		.amdhsa_user_sgpr_kernarg_preload_offset 0
		.amdhsa_user_sgpr_private_segment_size 0
		.amdhsa_wavefront_size32 1
		.amdhsa_uses_dynamic_stack 0
		.amdhsa_enable_private_segment 1
		.amdhsa_system_sgpr_workgroup_id_x 1
		.amdhsa_system_sgpr_workgroup_id_y 0
		.amdhsa_system_sgpr_workgroup_id_z 0
		.amdhsa_system_sgpr_workgroup_info 0
		.amdhsa_system_vgpr_workitem_id 0
		.amdhsa_next_free_vgpr 148
		.amdhsa_next_free_sgpr 22
		.amdhsa_named_barrier_count 0
		.amdhsa_reserve_vcc 1
		.amdhsa_float_round_mode_32 0
		.amdhsa_float_round_mode_16_64 0
		.amdhsa_float_denorm_mode_32 3
		.amdhsa_float_denorm_mode_16_64 3
		.amdhsa_fp16_overflow 0
		.amdhsa_memory_ordered 1
		.amdhsa_forward_progress 1
		.amdhsa_inst_pref_size 255
		.amdhsa_round_robin_scheduling 0
		.amdhsa_exception_fp_ieee_invalid_op 0
		.amdhsa_exception_fp_denorm_src 0
		.amdhsa_exception_fp_ieee_div_zero 0
		.amdhsa_exception_fp_ieee_overflow 0
		.amdhsa_exception_fp_ieee_underflow 0
		.amdhsa_exception_fp_ieee_inexact 0
		.amdhsa_exception_int_div_zero 0
	.end_amdhsa_kernel
	.section	.text._ZN9rocsolver6v33100L18trti2_kernel_smallILi59EfPfEEv13rocblas_fill_17rocblas_diagonal_T1_iil,"axG",@progbits,_ZN9rocsolver6v33100L18trti2_kernel_smallILi59EfPfEEv13rocblas_fill_17rocblas_diagonal_T1_iil,comdat
.Lfunc_end58:
	.size	_ZN9rocsolver6v33100L18trti2_kernel_smallILi59EfPfEEv13rocblas_fill_17rocblas_diagonal_T1_iil, .Lfunc_end58-_ZN9rocsolver6v33100L18trti2_kernel_smallILi59EfPfEEv13rocblas_fill_17rocblas_diagonal_T1_iil
                                        ; -- End function
	.set _ZN9rocsolver6v33100L18trti2_kernel_smallILi59EfPfEEv13rocblas_fill_17rocblas_diagonal_T1_iil.num_vgpr, 148
	.set _ZN9rocsolver6v33100L18trti2_kernel_smallILi59EfPfEEv13rocblas_fill_17rocblas_diagonal_T1_iil.num_agpr, 0
	.set _ZN9rocsolver6v33100L18trti2_kernel_smallILi59EfPfEEv13rocblas_fill_17rocblas_diagonal_T1_iil.numbered_sgpr, 22
	.set _ZN9rocsolver6v33100L18trti2_kernel_smallILi59EfPfEEv13rocblas_fill_17rocblas_diagonal_T1_iil.num_named_barrier, 0
	.set _ZN9rocsolver6v33100L18trti2_kernel_smallILi59EfPfEEv13rocblas_fill_17rocblas_diagonal_T1_iil.private_seg_size, 240
	.set _ZN9rocsolver6v33100L18trti2_kernel_smallILi59EfPfEEv13rocblas_fill_17rocblas_diagonal_T1_iil.uses_vcc, 1
	.set _ZN9rocsolver6v33100L18trti2_kernel_smallILi59EfPfEEv13rocblas_fill_17rocblas_diagonal_T1_iil.uses_flat_scratch, 1
	.set _ZN9rocsolver6v33100L18trti2_kernel_smallILi59EfPfEEv13rocblas_fill_17rocblas_diagonal_T1_iil.has_dyn_sized_stack, 0
	.set _ZN9rocsolver6v33100L18trti2_kernel_smallILi59EfPfEEv13rocblas_fill_17rocblas_diagonal_T1_iil.has_recursion, 0
	.set _ZN9rocsolver6v33100L18trti2_kernel_smallILi59EfPfEEv13rocblas_fill_17rocblas_diagonal_T1_iil.has_indirect_call, 0
	.section	.AMDGPU.csdata,"",@progbits
; Kernel info:
; codeLenInByte = 32852
; TotalNumSgprs: 24
; NumVgprs: 148
; ScratchSize: 240
; MemoryBound: 0
; FloatMode: 240
; IeeeMode: 1
; LDSByteSize: 476 bytes/workgroup (compile time only)
; SGPRBlocks: 0
; VGPRBlocks: 9
; NumSGPRsForWavesPerEU: 24
; NumVGPRsForWavesPerEU: 148
; NamedBarCnt: 0
; Occupancy: 6
; WaveLimiterHint : 0
; COMPUTE_PGM_RSRC2:SCRATCH_EN: 1
; COMPUTE_PGM_RSRC2:USER_SGPR: 2
; COMPUTE_PGM_RSRC2:TRAP_HANDLER: 0
; COMPUTE_PGM_RSRC2:TGID_X_EN: 1
; COMPUTE_PGM_RSRC2:TGID_Y_EN: 0
; COMPUTE_PGM_RSRC2:TGID_Z_EN: 0
; COMPUTE_PGM_RSRC2:TIDIG_COMP_CNT: 0
	.section	.text._ZN9rocsolver6v33100L18trti2_kernel_smallILi60EfPfEEv13rocblas_fill_17rocblas_diagonal_T1_iil,"axG",@progbits,_ZN9rocsolver6v33100L18trti2_kernel_smallILi60EfPfEEv13rocblas_fill_17rocblas_diagonal_T1_iil,comdat
	.globl	_ZN9rocsolver6v33100L18trti2_kernel_smallILi60EfPfEEv13rocblas_fill_17rocblas_diagonal_T1_iil ; -- Begin function _ZN9rocsolver6v33100L18trti2_kernel_smallILi60EfPfEEv13rocblas_fill_17rocblas_diagonal_T1_iil
	.p2align	8
	.type	_ZN9rocsolver6v33100L18trti2_kernel_smallILi60EfPfEEv13rocblas_fill_17rocblas_diagonal_T1_iil,@function
_ZN9rocsolver6v33100L18trti2_kernel_smallILi60EfPfEEv13rocblas_fill_17rocblas_diagonal_T1_iil: ; @_ZN9rocsolver6v33100L18trti2_kernel_smallILi60EfPfEEv13rocblas_fill_17rocblas_diagonal_T1_iil
; %bb.0:
	s_mov_b32 s2, exec_lo
	v_cmpx_gt_u32_e32 60, v0
	s_cbranch_execz .LBB59_1170
; %bb.1:
	s_load_b256 s[4:11], s[0:1], 0x0
	s_wait_xcnt 0x0
	s_bfe_u32 s0, ttmp6, 0x4000c
	s_and_b32 s1, ttmp6, 15
	s_add_co_i32 s0, s0, 1
	s_getreg_b32 s2, hwreg(HW_REG_IB_STS2, 6, 4)
	s_mul_i32 s0, ttmp9, s0
	v_dual_mov_b32 v7, 0 :: v_dual_lshlrev_b32 v6, 2, v0
	s_add_co_i32 s0, s1, s0
	s_wait_kmcnt 0x0
	v_add3_u32 v8, s9, s9, v0
	s_ashr_i32 s1, s8, 31
	s_cmp_eq_u32 s2, 0
	s_cselect_b32 s2, ttmp9, s0
	s_delay_alu instid0(VALU_DEP_1)
	v_add_nc_u32_e32 v10, s9, v8
	s_ashr_i32 s3, s2, 31
	s_mov_b32 s0, s8
	s_mul_u64 s[2:3], s[10:11], s[2:3]
	s_lshl_b64 s[0:1], s[0:1], 2
	v_add_nc_u32_e32 v12, s9, v10
	s_lshl_b64 s[2:3], s[2:3], 2
	v_ashrrev_i32_e32 v9, 31, v8
	s_add_nc_u64 s[2:3], s[6:7], s[2:3]
	s_delay_alu instid0(VALU_DEP_2)
	v_add_nc_u32_e32 v14, s9, v12
	s_add_nc_u64 s[6:7], s[2:3], s[0:1]
	s_mov_b32 s0, s9
	v_add_nc_u64_e32 v[2:3], s[6:7], v[6:7]
	s_ashr_i32 s1, s9, 31
	v_add_nc_u32_e32 v16, s9, v14
	v_ashrrev_i32_e32 v11, 31, v10
	s_cmp_lg_u32 s5, 0x84
	s_cselect_b32 s3, -1, 0
	s_delay_alu instid0(VALU_DEP_2)
	v_add_nc_u32_e32 v18, s9, v16
	v_lshl_add_u64 v[4:5], s[0:1], 2, v[2:3]
	s_clause 0x3
	global_load_b32 v96, v0, s[6:7] scale_offset
	global_load_b32 v97, v[4:5], off
	global_load_b32 v98, v8, s[6:7] scale_offset
	global_load_b32 v99, v10, s[6:7] scale_offset
	v_add_nc_u32_e32 v20, s9, v18
	s_clause 0x3
	global_load_b32 v100, v12, s[6:7] scale_offset
	global_load_b32 v101, v14, s[6:7] scale_offset
	;; [unrolled: 1-line block ×4, first 2 shown]
	v_dual_ashrrev_i32 v13, 31, v12 :: v_dual_ashrrev_i32 v19, 31, v18
	s_cmp_eq_u32 s5, 0x84
	v_dual_add_nc_u32 v22, s9, v20 :: v_dual_ashrrev_i32 v15, 31, v14
	s_delay_alu instid0(VALU_DEP_1) | instskip(NEXT) | instid1(VALU_DEP_1)
	v_add_nc_u32_e32 v24, s9, v22
	v_add_nc_u32_e32 v26, s9, v24
	s_delay_alu instid0(VALU_DEP_1) | instskip(NEXT) | instid1(VALU_DEP_1)
	v_dual_add_nc_u32 v28, s9, v26 :: v_dual_ashrrev_i32 v17, 31, v16
	v_dual_ashrrev_i32 v23, 31, v22 :: v_dual_add_nc_u32 v30, s9, v28
	s_delay_alu instid0(VALU_DEP_1)
	v_dual_ashrrev_i32 v25, 31, v24 :: v_dual_ashrrev_i32 v31, 31, v30
	v_add_nc_u32_e32 v32, s9, v30
	s_clause 0x3
	global_load_b32 v104, v20, s[6:7] scale_offset
	global_load_b32 v105, v22, s[6:7] scale_offset
	;; [unrolled: 1-line block ×4, first 2 shown]
	v_dual_ashrrev_i32 v21, 31, v20 :: v_dual_ashrrev_i32 v27, 31, v26
	v_add_nc_u32_e32 v34, s9, v32
	s_delay_alu instid0(VALU_DEP_1) | instskip(NEXT) | instid1(VALU_DEP_1)
	v_add_nc_u32_e32 v36, s9, v34
	v_add_nc_u32_e32 v38, s9, v36
	s_delay_alu instid0(VALU_DEP_1)
	v_add_nc_u32_e32 v40, s9, v38
	s_clause 0x3
	global_load_b32 v108, v28, s[6:7] scale_offset
	global_load_b32 v109, v30, s[6:7] scale_offset
	;; [unrolled: 1-line block ×4, first 2 shown]
	v_dual_ashrrev_i32 v29, 31, v28 :: v_dual_ashrrev_i32 v35, 31, v34
	v_add_nc_u32_e32 v42, s9, v40
	s_delay_alu instid0(VALU_DEP_1)
	v_dual_ashrrev_i32 v37, 31, v36 :: v_dual_ashrrev_i32 v43, 31, v42
	v_add_nc_u32_e32 v44, s9, v42
	s_clause 0x3
	global_load_b32 v112, v36, s[6:7] scale_offset
	global_load_b32 v113, v38, s[6:7] scale_offset
	global_load_b32 v114, v40, s[6:7] scale_offset
	global_load_b32 v115, v42, s[6:7] scale_offset
	v_dual_ashrrev_i32 v33, 31, v32 :: v_dual_ashrrev_i32 v39, 31, v38
	v_add_nc_u32_e32 v46, s9, v44
	s_delay_alu instid0(VALU_DEP_1) | instskip(NEXT) | instid1(VALU_DEP_1)
	v_add_nc_u32_e32 v48, s9, v46
	v_add_nc_u32_e32 v50, s9, v48
	s_delay_alu instid0(VALU_DEP_1) | instskip(NEXT) | instid1(VALU_DEP_1)
	v_dual_add_nc_u32 v52, s9, v50 :: v_dual_ashrrev_i32 v41, 31, v40
	v_dual_ashrrev_i32 v47, 31, v46 :: v_dual_add_nc_u32 v54, s9, v52
	s_delay_alu instid0(VALU_DEP_1)
	v_dual_ashrrev_i32 v49, 31, v48 :: v_dual_ashrrev_i32 v55, 31, v54
	v_add_nc_u32_e32 v56, s9, v54
	s_clause 0x3
	global_load_b32 v116, v44, s[6:7] scale_offset
	global_load_b32 v117, v46, s[6:7] scale_offset
	;; [unrolled: 1-line block ×4, first 2 shown]
	v_dual_ashrrev_i32 v45, 31, v44 :: v_dual_ashrrev_i32 v51, 31, v50
	v_add_nc_u32_e32 v58, s9, v56
	s_delay_alu instid0(VALU_DEP_1) | instskip(NEXT) | instid1(VALU_DEP_1)
	v_add_nc_u32_e32 v60, s9, v58
	v_add_nc_u32_e32 v62, s9, v60
	s_delay_alu instid0(VALU_DEP_1) | instskip(NEXT) | instid1(VALU_DEP_1)
	v_dual_add_nc_u32 v64, s9, v62 :: v_dual_ashrrev_i32 v53, 31, v52
	v_dual_ashrrev_i32 v59, 31, v58 :: v_dual_add_nc_u32 v66, s9, v64
	s_delay_alu instid0(VALU_DEP_1)
	v_dual_ashrrev_i32 v61, 31, v60 :: v_dual_ashrrev_i32 v67, 31, v66
	v_add_nc_u32_e32 v68, s9, v66
	s_clause 0x7
	global_load_b32 v120, v52, s[6:7] scale_offset
	global_load_b32 v121, v54, s[6:7] scale_offset
	;; [unrolled: 1-line block ×8, first 2 shown]
	v_dual_ashrrev_i32 v57, 31, v56 :: v_dual_ashrrev_i32 v63, 31, v62
	v_add_nc_u32_e32 v70, s9, v68
	s_delay_alu instid0(VALU_DEP_1) | instskip(NEXT) | instid1(VALU_DEP_1)
	v_add_nc_u32_e32 v72, s9, v70
	v_add_nc_u32_e32 v74, s9, v72
	s_delay_alu instid0(VALU_DEP_1) | instskip(NEXT) | instid1(VALU_DEP_1)
	v_dual_add_nc_u32 v76, s9, v74 :: v_dual_ashrrev_i32 v65, 31, v64
	v_dual_ashrrev_i32 v71, 31, v70 :: v_dual_add_nc_u32 v78, s9, v76
	s_delay_alu instid0(VALU_DEP_1) | instskip(SKIP_1) | instid1(VALU_DEP_1)
	v_dual_ashrrev_i32 v73, 31, v72 :: v_dual_ashrrev_i32 v79, 31, v78
	v_dual_add_nc_u32 v80, s9, v78 :: v_dual_ashrrev_i32 v69, 31, v68
	v_dual_ashrrev_i32 v75, 31, v74 :: v_dual_add_nc_u32 v82, s9, v80
	s_delay_alu instid0(VALU_DEP_1) | instskip(NEXT) | instid1(VALU_DEP_1)
	v_add_nc_u32_e32 v84, s9, v82
	v_add_nc_u32_e32 v86, s9, v84
	s_delay_alu instid0(VALU_DEP_1)
	v_add_nc_u32_e32 v88, s9, v86
	s_clause 0x7
	global_load_b32 v128, v68, s[6:7] scale_offset
	global_load_b32 v129, v70, s[6:7] scale_offset
	;; [unrolled: 1-line block ×8, first 2 shown]
	v_dual_ashrrev_i32 v77, 31, v76 :: v_dual_ashrrev_i32 v83, 31, v82
	v_add_nc_u32_e32 v90, s9, v88
	s_delay_alu instid0(VALU_DEP_1)
	v_dual_ashrrev_i32 v85, 31, v84 :: v_dual_ashrrev_i32 v91, 31, v90
	v_add_nc_u32_e32 v92, s9, v90
	s_clause 0x3
	global_load_b32 v136, v84, s[6:7] scale_offset
	global_load_b32 v137, v86, s[6:7] scale_offset
	;; [unrolled: 1-line block ×4, first 2 shown]
	v_dual_ashrrev_i32 v81, 31, v80 :: v_dual_ashrrev_i32 v87, 31, v86
	v_add_nc_u32_e32 v94, s9, v92
	s_wait_loadcnt 0x28
	scratch_store_b128 off, v[96:99], off
	s_wait_xcnt 0x0
	v_add_nc_u32_e32 v96, s9, v94
	s_wait_loadcnt 0x24
	scratch_store_b128 off, v[100:103], off offset:16
	v_add_nc_u32_e32 v98, s9, v96
	s_wait_xcnt 0x0
	s_delay_alu instid0(VALU_DEP_1) | instskip(NEXT) | instid1(VALU_DEP_1)
	v_dual_add_nc_u32 v100, s9, v98 :: v_dual_ashrrev_i32 v89, 31, v88
	v_dual_ashrrev_i32 v95, 31, v94 :: v_dual_add_nc_u32 v102, s9, v100
	s_delay_alu instid0(VALU_DEP_1)
	v_dual_ashrrev_i32 v97, 31, v96 :: v_dual_ashrrev_i32 v103, 31, v102
	s_wait_loadcnt 0x20
	scratch_store_b128 off, v[104:107], off offset:32
	s_wait_xcnt 0x0
	v_add_nc_u32_e32 v104, s9, v102
	s_clause 0x3
	global_load_b32 v140, v92, s[6:7] scale_offset
	global_load_b32 v141, v94, s[6:7] scale_offset
	;; [unrolled: 1-line block ×4, first 2 shown]
	v_dual_ashrrev_i32 v93, 31, v92 :: v_dual_ashrrev_i32 v99, 31, v98
	v_add_nc_u32_e32 v106, s9, v104
	s_wait_loadcnt 0x20
	scratch_store_b128 off, v[108:111], off offset:48
	s_wait_xcnt 0x0
	v_add_nc_u32_e32 v108, s9, v106
	s_delay_alu instid0(VALU_DEP_1) | instskip(SKIP_4) | instid1(VALU_DEP_1)
	v_add_nc_u32_e32 v110, s9, v108
	s_wait_loadcnt 0x1c
	scratch_store_b128 off, v[112:115], off offset:64
	s_wait_xcnt 0x0
	v_dual_add_nc_u32 v112, s9, v110 :: v_dual_ashrrev_i32 v101, 31, v100
	v_dual_ashrrev_i32 v107, 31, v106 :: v_dual_add_nc_u32 v114, s9, v112
	s_delay_alu instid0(VALU_DEP_1) | instskip(SKIP_4) | instid1(VALU_DEP_1)
	v_dual_ashrrev_i32 v109, 31, v108 :: v_dual_ashrrev_i32 v115, 31, v114
	s_wait_loadcnt 0x18
	scratch_store_b128 off, v[116:119], off offset:80
	s_wait_xcnt 0x0
	v_dual_add_nc_u32 v116, s9, v114 :: v_dual_ashrrev_i32 v105, 31, v104
	v_dual_ashrrev_i32 v111, 31, v110 :: v_dual_add_nc_u32 v118, s9, v116
	s_delay_alu instid0(VALU_DEP_1)
	v_dual_ashrrev_i32 v113, 31, v112 :: v_dual_ashrrev_i32 v119, 31, v118
	s_wait_loadcnt 0x14
	scratch_store_b128 off, v[120:123], off offset:96
	s_wait_xcnt 0x0
	v_add_nc_u32_e32 v120, s9, v118
	s_wait_loadcnt 0x10
	scratch_store_b128 off, v[124:127], off offset:112
	s_wait_xcnt 0x0
	v_dual_mov_b32 v124, -1.0 :: v_dual_ashrrev_i32 v121, 31, v120
	v_add_nc_u32_e32 v122, s9, v120
	v_ashrrev_i32_e32 v117, 31, v116
	s_wait_loadcnt 0xc
	scratch_store_b128 off, v[128:131], off offset:128
	s_wait_loadcnt 0x8
	scratch_store_b128 off, v[132:135], off offset:144
	s_clause 0x7
	global_load_b32 v126, v100, s[6:7] scale_offset
	global_load_b32 v127, v102, s[6:7] scale_offset
	;; [unrolled: 1-line block ×8, first 2 shown]
	v_ashrrev_i32_e32 v123, 31, v122
	s_wait_loadcnt 0xc
	scratch_store_b128 off, v[136:139], off offset:160
	s_clause 0x3
	global_load_b32 v134, v116, s[6:7] scale_offset
	global_load_b32 v135, v118, s[6:7] scale_offset
	;; [unrolled: 1-line block ×4, first 2 shown]
	s_wait_loadcnt 0xc
	scratch_store_b128 off, v[140:143], off offset:176
	s_wait_loadcnt 0x8
	scratch_store_b128 off, v[126:129], off offset:192
	s_wait_loadcnt 0x4
	scratch_store_b128 off, v[130:133], off offset:208
	s_wait_loadcnt 0x0
	scratch_store_b128 off, v[134:137], off offset:224
	s_cbranch_scc1 .LBB59_3
; %bb.2:
	scratch_load_b32 v1, v0, off scale_offset
	s_wait_loadcnt 0x0
	v_div_scale_f32 v7, null, v1, v1, 1.0
	s_delay_alu instid0(VALU_DEP_1) | instskip(SKIP_1) | instid1(TRANS32_DEP_1)
	v_rcp_f32_e32 v124, v7
	v_nop
	v_fma_f32 v125, -v7, v124, 1.0
	s_delay_alu instid0(VALU_DEP_1) | instskip(SKIP_2) | instid1(VALU_DEP_1)
	v_fmac_f32_e32 v124, v125, v124
	v_div_scale_f32 v125, vcc_lo, 1.0, v1, 1.0
	s_wait_xcnt 0x3
	v_mul_f32_e32 v126, v125, v124
	s_delay_alu instid0(VALU_DEP_1) | instskip(NEXT) | instid1(VALU_DEP_1)
	v_fma_f32 v127, -v7, v126, v125
	v_fmac_f32_e32 v126, v127, v124
	s_delay_alu instid0(VALU_DEP_1) | instskip(NEXT) | instid1(VALU_DEP_1)
	v_fma_f32 v7, -v7, v126, v125
	v_div_fmas_f32 v7, v7, v124, v126
	s_delay_alu instid0(VALU_DEP_1) | instskip(NEXT) | instid1(VALU_DEP_1)
	v_div_fixup_f32 v1, v7, v1, 1.0
	v_xor_b32_e32 v124, 0x80000000, v1
	scratch_store_b32 v0, v1, off scale_offset
.LBB59_3:
	s_wait_xcnt 0x0
	v_add_nc_u32_e32 v1, 0xf0, v6
	v_mov_b32_e32 v7, v6
	s_cmp_eq_u32 s4, 0x79
	s_mov_b32 s1, -1
	ds_store_b32 v6, v124
	s_cbranch_scc1 .LBB59_587
; %bb.4:
	scratch_load_b32 v124, off, off offset:232
	v_cmp_eq_u32_e64 s0, 59, v0
	s_movk_i32 s1, 0x50
	s_movk_i32 s10, 0x60
	;; [unrolled: 1-line block ×10, first 2 shown]
	s_wait_loadcnt 0x0
	ds_store_b32 v1, v124
	s_wait_storecnt_dscnt 0x0
	s_barrier_signal -1
	s_barrier_wait -1
	s_wait_xcnt 0x0
	s_and_saveexec_b32 s2, s0
	s_cbranch_execz .LBB59_10
; %bb.5:
	s_and_b32 vcc_lo, exec_lo, s3
	s_cbranch_vccz .LBB59_7
; %bb.6:
	scratch_load_b32 v124, v7, off
	ds_load_b32 v125, v1
	s_wait_loadcnt_dscnt 0x0
	v_mul_f32_e32 v124, v124, v125
	s_cbranch_execz .LBB59_8
	s_branch .LBB59_9
.LBB59_7:
                                        ; implicit-def: $vgpr124
.LBB59_8:
	ds_load_b32 v124, v1
.LBB59_9:
	v_mov_b32_e32 v125, 0
	ds_load_b32 v125, v125 offset:232
	s_wait_dscnt 0x0
	v_mul_f32_e32 v124, v124, v125
	scratch_store_b32 off, v124, off offset:232
.LBB59_10:
	s_wait_xcnt 0x0
	s_or_b32 exec_lo, exec_lo, s2
	scratch_load_b32 v124, off, off offset:228
	s_mov_b32 s9, s1
	v_cmp_lt_u32_e64 s1, 57, v0
	s_mov_b32 s4, 16
	s_mov_b32 s2, 32
	;; [unrolled: 1-line block ×4, first 2 shown]
	s_wait_loadcnt 0x0
	ds_store_b32 v1, v124
	s_wait_storecnt_dscnt 0x0
	s_barrier_signal -1
	s_barrier_wait -1
	s_wait_xcnt 0x0
	s_and_saveexec_b32 s19, s1
	s_cbranch_execz .LBB59_16
; %bb.11:
	s_and_not1_b32 vcc_lo, exec_lo, s3
	s_cbranch_vccnz .LBB59_13
; %bb.12:
	scratch_load_b32 v124, v7, off
	ds_load_b32 v125, v1
	s_wait_loadcnt_dscnt 0x0
	v_mul_f32_e32 v124, v124, v125
	s_cbranch_execz .LBB59_14
	s_branch .LBB59_15
.LBB59_13:
                                        ; implicit-def: $vgpr124
.LBB59_14:
	ds_load_b32 v124, v1
.LBB59_15:
	scratch_load_b32 v125, off, off offset:232
	v_mov_b32_e32 v126, 0
	ds_load_2addr_b32 v[126:127], v126 offset0:57 offset1:118
	s_wait_loadcnt_dscnt 0x0
	v_fma_f32 v125, v125, v127, v124
	s_delay_alu instid0(VALU_DEP_1) | instskip(NEXT) | instid1(VALU_DEP_1)
	v_cndmask_b32_e64 v124, v124, v125, s0
	v_mul_f32_e32 v124, v124, v126
	scratch_store_b32 off, v124, off offset:228
.LBB59_16:
	s_wait_xcnt 0x0
	s_or_b32 exec_lo, exec_lo, s19
	scratch_load_b32 v124, off, off offset:224
	v_cmp_lt_u32_e64 s0, 56, v0
	s_wait_loadcnt 0x0
	ds_store_b32 v1, v124
	s_wait_storecnt_dscnt 0x0
	s_barrier_signal -1
	s_barrier_wait -1
	s_wait_xcnt 0x0
	s_and_saveexec_b32 s19, s0
	s_cbranch_execz .LBB59_26
; %bb.17:
	s_and_not1_b32 vcc_lo, exec_lo, s3
	s_cbranch_vccnz .LBB59_19
; %bb.18:
	scratch_load_b32 v124, v7, off
	ds_load_b32 v125, v1
	s_wait_loadcnt_dscnt 0x0
	v_mul_f32_e32 v124, v124, v125
	s_cbranch_execz .LBB59_20
	s_branch .LBB59_21
.LBB59_19:
                                        ; implicit-def: $vgpr124
.LBB59_20:
	ds_load_b32 v124, v1
.LBB59_21:
	s_and_saveexec_b32 s20, s1
	s_cbranch_execz .LBB59_25
; %bb.22:
	v_subrev_nc_u32_e32 v125, 57, v0
	s_movk_i32 s1, 0xe4
	s_movk_i32 s22, 0x1d4
	s_mov_b32 s21, 0
.LBB59_23:                              ; =>This Inner Loop Header: Depth=1
	scratch_load_b32 v126, off, s1
	v_dual_mov_b32 v127, s22 :: v_dual_add_nc_u32 v125, -1, v125
	s_add_co_i32 s22, s22, 4
	s_wait_xcnt 0x0
	s_add_co_i32 s1, s1, 4
	ds_load_b32 v127, v127
	v_cmp_eq_u32_e32 vcc_lo, 0, v125
	s_or_b32 s21, vcc_lo, s21
	s_wait_loadcnt_dscnt 0x0
	v_fmac_f32_e32 v124, v126, v127
	s_and_not1_b32 exec_lo, exec_lo, s21
	s_cbranch_execnz .LBB59_23
; %bb.24:
	s_or_b32 exec_lo, exec_lo, s21
.LBB59_25:
	s_delay_alu instid0(SALU_CYCLE_1)
	s_or_b32 exec_lo, exec_lo, s20
	v_mov_b32_e32 v125, 0
	ds_load_b32 v125, v125 offset:224
	s_wait_dscnt 0x0
	v_mul_f32_e32 v124, v124, v125
	scratch_store_b32 off, v124, off offset:224
.LBB59_26:
	s_wait_xcnt 0x0
	s_or_b32 exec_lo, exec_lo, s19
	scratch_load_b32 v124, off, off offset:220
	v_cmp_lt_u32_e64 s1, 55, v0
	s_wait_loadcnt 0x0
	ds_store_b32 v1, v124
	s_wait_storecnt_dscnt 0x0
	s_barrier_signal -1
	s_barrier_wait -1
	s_wait_xcnt 0x0
	s_and_saveexec_b32 s19, s1
	s_cbranch_execz .LBB59_36
; %bb.27:
	s_and_not1_b32 vcc_lo, exec_lo, s3
	s_cbranch_vccnz .LBB59_29
; %bb.28:
	scratch_load_b32 v124, v7, off
	ds_load_b32 v125, v1
	s_wait_loadcnt_dscnt 0x0
	v_mul_f32_e32 v124, v124, v125
	s_cbranch_execz .LBB59_30
	s_branch .LBB59_31
.LBB59_29:
                                        ; implicit-def: $vgpr124
.LBB59_30:
	ds_load_b32 v124, v1
.LBB59_31:
	s_and_saveexec_b32 s20, s0
	s_cbranch_execz .LBB59_35
; %bb.32:
	v_subrev_nc_u32_e32 v125, 56, v0
	s_movk_i32 s21, 0x1d0
	s_mov_b32 s0, 0
.LBB59_33:                              ; =>This Inner Loop Header: Depth=1
	scratch_load_b32 v126, off, s18
	v_dual_mov_b32 v127, s21 :: v_dual_add_nc_u32 v125, -1, v125
	s_add_co_i32 s21, s21, 4
	s_wait_xcnt 0x0
	s_add_co_i32 s18, s18, 4
	ds_load_b32 v127, v127
	v_cmp_eq_u32_e32 vcc_lo, 0, v125
	s_or_b32 s0, vcc_lo, s0
	s_wait_loadcnt_dscnt 0x0
	v_fmac_f32_e32 v124, v126, v127
	s_and_not1_b32 exec_lo, exec_lo, s0
	s_cbranch_execnz .LBB59_33
; %bb.34:
	s_or_b32 exec_lo, exec_lo, s0
.LBB59_35:
	s_delay_alu instid0(SALU_CYCLE_1)
	s_or_b32 exec_lo, exec_lo, s20
	v_mov_b32_e32 v125, 0
	ds_load_b32 v125, v125 offset:220
	s_wait_dscnt 0x0
	v_mul_f32_e32 v124, v124, v125
	scratch_store_b32 off, v124, off offset:220
.LBB59_36:
	s_wait_xcnt 0x0
	s_or_b32 exec_lo, exec_lo, s19
	scratch_load_b32 v124, off, off offset:216
	v_cmp_lt_u32_e64 s0, 54, v0
	s_wait_loadcnt 0x0
	ds_store_b32 v1, v124
	s_wait_storecnt_dscnt 0x0
	s_barrier_signal -1
	s_barrier_wait -1
	s_wait_xcnt 0x0
	s_and_saveexec_b32 s18, s0
	s_cbranch_execz .LBB59_46
; %bb.37:
	s_and_not1_b32 vcc_lo, exec_lo, s3
	s_cbranch_vccnz .LBB59_39
; %bb.38:
	scratch_load_b32 v124, v7, off
	ds_load_b32 v125, v1
	s_wait_loadcnt_dscnt 0x0
	v_mul_f32_e32 v124, v124, v125
	s_cbranch_execz .LBB59_40
	s_branch .LBB59_41
.LBB59_39:
                                        ; implicit-def: $vgpr124
.LBB59_40:
	ds_load_b32 v124, v1
.LBB59_41:
	s_and_saveexec_b32 s19, s1
	s_cbranch_execz .LBB59_45
; %bb.42:
	v_subrev_nc_u32_e32 v125, 55, v0
	s_movk_i32 s1, 0xdc
	s_movk_i32 s21, 0x1cc
	s_mov_b32 s20, 0
.LBB59_43:                              ; =>This Inner Loop Header: Depth=1
	scratch_load_b32 v126, off, s1
	v_dual_mov_b32 v127, s21 :: v_dual_add_nc_u32 v125, -1, v125
	s_add_co_i32 s21, s21, 4
	s_wait_xcnt 0x0
	s_add_co_i32 s1, s1, 4
	ds_load_b32 v127, v127
	v_cmp_eq_u32_e32 vcc_lo, 0, v125
	s_or_b32 s20, vcc_lo, s20
	s_wait_loadcnt_dscnt 0x0
	v_fmac_f32_e32 v124, v126, v127
	s_and_not1_b32 exec_lo, exec_lo, s20
	s_cbranch_execnz .LBB59_43
; %bb.44:
	s_or_b32 exec_lo, exec_lo, s20
.LBB59_45:
	s_delay_alu instid0(SALU_CYCLE_1)
	s_or_b32 exec_lo, exec_lo, s19
	v_mov_b32_e32 v125, 0
	ds_load_b32 v125, v125 offset:216
	s_wait_dscnt 0x0
	v_mul_f32_e32 v124, v124, v125
	scratch_store_b32 off, v124, off offset:216
.LBB59_46:
	s_wait_xcnt 0x0
	s_or_b32 exec_lo, exec_lo, s18
	scratch_load_b32 v124, off, off offset:212
	v_cmp_lt_u32_e64 s1, 53, v0
	s_wait_loadcnt 0x0
	ds_store_b32 v1, v124
	s_wait_storecnt_dscnt 0x0
	s_barrier_signal -1
	s_barrier_wait -1
	s_wait_xcnt 0x0
	s_and_saveexec_b32 s18, s1
	s_cbranch_execz .LBB59_56
; %bb.47:
	s_and_not1_b32 vcc_lo, exec_lo, s3
	s_cbranch_vccnz .LBB59_49
; %bb.48:
	scratch_load_b32 v124, v7, off
	ds_load_b32 v125, v1
	s_wait_loadcnt_dscnt 0x0
	v_mul_f32_e32 v124, v124, v125
	s_cbranch_execz .LBB59_50
	s_branch .LBB59_51
.LBB59_49:
                                        ; implicit-def: $vgpr124
.LBB59_50:
	ds_load_b32 v124, v1
.LBB59_51:
	s_and_saveexec_b32 s19, s0
	s_cbranch_execz .LBB59_55
; %bb.52:
	v_subrev_nc_u32_e32 v125, 54, v0
	s_movk_i32 s0, 0xd8
	s_movk_i32 s21, 0x1c8
	s_mov_b32 s20, 0
.LBB59_53:                              ; =>This Inner Loop Header: Depth=1
	scratch_load_b32 v126, off, s0
	v_dual_mov_b32 v127, s21 :: v_dual_add_nc_u32 v125, -1, v125
	s_add_co_i32 s21, s21, 4
	s_wait_xcnt 0x0
	s_add_co_i32 s0, s0, 4
	ds_load_b32 v127, v127
	v_cmp_eq_u32_e32 vcc_lo, 0, v125
	s_or_b32 s20, vcc_lo, s20
	s_wait_loadcnt_dscnt 0x0
	v_fmac_f32_e32 v124, v126, v127
	s_and_not1_b32 exec_lo, exec_lo, s20
	s_cbranch_execnz .LBB59_53
; %bb.54:
	s_or_b32 exec_lo, exec_lo, s20
.LBB59_55:
	s_delay_alu instid0(SALU_CYCLE_1)
	s_or_b32 exec_lo, exec_lo, s19
	v_mov_b32_e32 v125, 0
	ds_load_b32 v125, v125 offset:212
	s_wait_dscnt 0x0
	v_mul_f32_e32 v124, v124, v125
	scratch_store_b32 off, v124, off offset:212
.LBB59_56:
	;; [unrolled: 58-line block ×3, first 2 shown]
	s_wait_xcnt 0x0
	s_or_b32 exec_lo, exec_lo, s18
	scratch_load_b32 v124, off, off offset:204
	v_cmp_lt_u32_e64 s1, 51, v0
	s_wait_loadcnt 0x0
	ds_store_b32 v1, v124
	s_wait_storecnt_dscnt 0x0
	s_barrier_signal -1
	s_barrier_wait -1
	s_wait_xcnt 0x0
	s_and_saveexec_b32 s18, s1
	s_cbranch_execz .LBB59_76
; %bb.67:
	s_and_not1_b32 vcc_lo, exec_lo, s3
	s_cbranch_vccnz .LBB59_69
; %bb.68:
	scratch_load_b32 v124, v7, off
	ds_load_b32 v125, v1
	s_wait_loadcnt_dscnt 0x0
	v_mul_f32_e32 v124, v124, v125
	s_cbranch_execz .LBB59_70
	s_branch .LBB59_71
.LBB59_69:
                                        ; implicit-def: $vgpr124
.LBB59_70:
	ds_load_b32 v124, v1
.LBB59_71:
	s_and_saveexec_b32 s19, s0
	s_cbranch_execz .LBB59_75
; %bb.72:
	v_subrev_nc_u32_e32 v125, 52, v0
	s_movk_i32 s20, 0x1c0
	s_mov_b32 s0, 0
.LBB59_73:                              ; =>This Inner Loop Header: Depth=1
	scratch_load_b32 v126, off, s17
	v_dual_mov_b32 v127, s20 :: v_dual_add_nc_u32 v125, -1, v125
	s_add_co_i32 s20, s20, 4
	s_wait_xcnt 0x0
	s_add_co_i32 s17, s17, 4
	ds_load_b32 v127, v127
	v_cmp_eq_u32_e32 vcc_lo, 0, v125
	s_or_b32 s0, vcc_lo, s0
	s_wait_loadcnt_dscnt 0x0
	v_fmac_f32_e32 v124, v126, v127
	s_and_not1_b32 exec_lo, exec_lo, s0
	s_cbranch_execnz .LBB59_73
; %bb.74:
	s_or_b32 exec_lo, exec_lo, s0
.LBB59_75:
	s_delay_alu instid0(SALU_CYCLE_1)
	s_or_b32 exec_lo, exec_lo, s19
	v_mov_b32_e32 v125, 0
	ds_load_b32 v125, v125 offset:204
	s_wait_dscnt 0x0
	v_mul_f32_e32 v124, v124, v125
	scratch_store_b32 off, v124, off offset:204
.LBB59_76:
	s_wait_xcnt 0x0
	s_or_b32 exec_lo, exec_lo, s18
	scratch_load_b32 v124, off, off offset:200
	v_cmp_lt_u32_e64 s0, 50, v0
	s_wait_loadcnt 0x0
	ds_store_b32 v1, v124
	s_wait_storecnt_dscnt 0x0
	s_barrier_signal -1
	s_barrier_wait -1
	s_wait_xcnt 0x0
	s_and_saveexec_b32 s17, s0
	s_cbranch_execz .LBB59_86
; %bb.77:
	s_and_not1_b32 vcc_lo, exec_lo, s3
	s_cbranch_vccnz .LBB59_79
; %bb.78:
	scratch_load_b32 v124, v7, off
	ds_load_b32 v125, v1
	s_wait_loadcnt_dscnt 0x0
	v_mul_f32_e32 v124, v124, v125
	s_cbranch_execz .LBB59_80
	s_branch .LBB59_81
.LBB59_79:
                                        ; implicit-def: $vgpr124
.LBB59_80:
	ds_load_b32 v124, v1
.LBB59_81:
	s_and_saveexec_b32 s18, s1
	s_cbranch_execz .LBB59_85
; %bb.82:
	v_subrev_nc_u32_e32 v125, 51, v0
	s_movk_i32 s1, 0xcc
	s_movk_i32 s20, 0x1bc
	s_mov_b32 s19, 0
.LBB59_83:                              ; =>This Inner Loop Header: Depth=1
	scratch_load_b32 v126, off, s1
	v_dual_mov_b32 v127, s20 :: v_dual_add_nc_u32 v125, -1, v125
	s_add_co_i32 s20, s20, 4
	s_wait_xcnt 0x0
	s_add_co_i32 s1, s1, 4
	ds_load_b32 v127, v127
	v_cmp_eq_u32_e32 vcc_lo, 0, v125
	s_or_b32 s19, vcc_lo, s19
	s_wait_loadcnt_dscnt 0x0
	v_fmac_f32_e32 v124, v126, v127
	s_and_not1_b32 exec_lo, exec_lo, s19
	s_cbranch_execnz .LBB59_83
; %bb.84:
	s_or_b32 exec_lo, exec_lo, s19
.LBB59_85:
	s_delay_alu instid0(SALU_CYCLE_1)
	s_or_b32 exec_lo, exec_lo, s18
	v_mov_b32_e32 v125, 0
	ds_load_b32 v125, v125 offset:200
	s_wait_dscnt 0x0
	v_mul_f32_e32 v124, v124, v125
	scratch_store_b32 off, v124, off offset:200
.LBB59_86:
	s_wait_xcnt 0x0
	s_or_b32 exec_lo, exec_lo, s17
	scratch_load_b32 v124, off, off offset:196
	v_cmp_lt_u32_e64 s1, 49, v0
	s_wait_loadcnt 0x0
	ds_store_b32 v1, v124
	s_wait_storecnt_dscnt 0x0
	s_barrier_signal -1
	s_barrier_wait -1
	s_wait_xcnt 0x0
	s_and_saveexec_b32 s17, s1
	s_cbranch_execz .LBB59_96
; %bb.87:
	s_and_not1_b32 vcc_lo, exec_lo, s3
	s_cbranch_vccnz .LBB59_89
; %bb.88:
	scratch_load_b32 v124, v7, off
	ds_load_b32 v125, v1
	s_wait_loadcnt_dscnt 0x0
	v_mul_f32_e32 v124, v124, v125
	s_cbranch_execz .LBB59_90
	s_branch .LBB59_91
.LBB59_89:
                                        ; implicit-def: $vgpr124
.LBB59_90:
	ds_load_b32 v124, v1
.LBB59_91:
	s_and_saveexec_b32 s18, s0
	s_cbranch_execz .LBB59_95
; %bb.92:
	v_subrev_nc_u32_e32 v125, 50, v0
	s_movk_i32 s0, 0xc8
	s_movk_i32 s20, 0x1b8
	s_mov_b32 s19, 0
.LBB59_93:                              ; =>This Inner Loop Header: Depth=1
	scratch_load_b32 v126, off, s0
	v_dual_mov_b32 v127, s20 :: v_dual_add_nc_u32 v125, -1, v125
	s_add_co_i32 s20, s20, 4
	s_wait_xcnt 0x0
	s_add_co_i32 s0, s0, 4
	ds_load_b32 v127, v127
	v_cmp_eq_u32_e32 vcc_lo, 0, v125
	s_or_b32 s19, vcc_lo, s19
	s_wait_loadcnt_dscnt 0x0
	v_fmac_f32_e32 v124, v126, v127
	s_and_not1_b32 exec_lo, exec_lo, s19
	s_cbranch_execnz .LBB59_93
; %bb.94:
	s_or_b32 exec_lo, exec_lo, s19
.LBB59_95:
	s_delay_alu instid0(SALU_CYCLE_1)
	s_or_b32 exec_lo, exec_lo, s18
	v_mov_b32_e32 v125, 0
	ds_load_b32 v125, v125 offset:196
	s_wait_dscnt 0x0
	v_mul_f32_e32 v124, v124, v125
	scratch_store_b32 off, v124, off offset:196
.LBB59_96:
	s_wait_xcnt 0x0
	s_or_b32 exec_lo, exec_lo, s17
	scratch_load_b32 v124, off, off offset:192
	v_cmp_lt_u32_e64 s0, 48, v0
	s_wait_loadcnt 0x0
	ds_store_b32 v1, v124
	s_wait_storecnt_dscnt 0x0
	s_barrier_signal -1
	s_barrier_wait -1
	s_wait_xcnt 0x0
	s_and_saveexec_b32 s17, s0
	s_cbranch_execz .LBB59_106
; %bb.97:
	s_and_not1_b32 vcc_lo, exec_lo, s3
	s_cbranch_vccnz .LBB59_99
; %bb.98:
	scratch_load_b32 v124, v7, off
	ds_load_b32 v125, v1
	s_wait_loadcnt_dscnt 0x0
	v_mul_f32_e32 v124, v124, v125
	s_cbranch_execz .LBB59_100
	s_branch .LBB59_101
.LBB59_99:
                                        ; implicit-def: $vgpr124
.LBB59_100:
	ds_load_b32 v124, v1
.LBB59_101:
	s_and_saveexec_b32 s18, s1
	s_cbranch_execz .LBB59_105
; %bb.102:
	v_subrev_nc_u32_e32 v125, 49, v0
	s_movk_i32 s1, 0xc4
	s_movk_i32 s20, 0x1b4
	s_mov_b32 s19, 0
.LBB59_103:                             ; =>This Inner Loop Header: Depth=1
	scratch_load_b32 v126, off, s1
	v_dual_mov_b32 v127, s20 :: v_dual_add_nc_u32 v125, -1, v125
	s_add_co_i32 s20, s20, 4
	s_wait_xcnt 0x0
	s_add_co_i32 s1, s1, 4
	ds_load_b32 v127, v127
	v_cmp_eq_u32_e32 vcc_lo, 0, v125
	s_or_b32 s19, vcc_lo, s19
	s_wait_loadcnt_dscnt 0x0
	v_fmac_f32_e32 v124, v126, v127
	s_and_not1_b32 exec_lo, exec_lo, s19
	s_cbranch_execnz .LBB59_103
; %bb.104:
	s_or_b32 exec_lo, exec_lo, s19
.LBB59_105:
	s_delay_alu instid0(SALU_CYCLE_1)
	s_or_b32 exec_lo, exec_lo, s18
	v_mov_b32_e32 v125, 0
	ds_load_b32 v125, v125 offset:192
	s_wait_dscnt 0x0
	v_mul_f32_e32 v124, v124, v125
	scratch_store_b32 off, v124, off offset:192
.LBB59_106:
	s_wait_xcnt 0x0
	s_or_b32 exec_lo, exec_lo, s17
	scratch_load_b32 v124, off, off offset:188
	v_cmp_lt_u32_e64 s1, 47, v0
	s_wait_loadcnt 0x0
	ds_store_b32 v1, v124
	s_wait_storecnt_dscnt 0x0
	s_barrier_signal -1
	s_barrier_wait -1
	s_wait_xcnt 0x0
	s_and_saveexec_b32 s17, s1
	s_cbranch_execz .LBB59_116
; %bb.107:
	s_and_not1_b32 vcc_lo, exec_lo, s3
	s_cbranch_vccnz .LBB59_109
; %bb.108:
	scratch_load_b32 v124, v7, off
	ds_load_b32 v125, v1
	s_wait_loadcnt_dscnt 0x0
	v_mul_f32_e32 v124, v124, v125
	s_cbranch_execz .LBB59_110
	s_branch .LBB59_111
.LBB59_109:
                                        ; implicit-def: $vgpr124
.LBB59_110:
	ds_load_b32 v124, v1
.LBB59_111:
	s_and_saveexec_b32 s18, s0
	s_cbranch_execz .LBB59_115
; %bb.112:
	v_subrev_nc_u32_e32 v125, 48, v0
	s_movk_i32 s19, 0x1b0
	s_mov_b32 s0, 0
.LBB59_113:                             ; =>This Inner Loop Header: Depth=1
	scratch_load_b32 v126, off, s16
	v_dual_mov_b32 v127, s19 :: v_dual_add_nc_u32 v125, -1, v125
	s_add_co_i32 s19, s19, 4
	s_wait_xcnt 0x0
	s_add_co_i32 s16, s16, 4
	ds_load_b32 v127, v127
	v_cmp_eq_u32_e32 vcc_lo, 0, v125
	s_or_b32 s0, vcc_lo, s0
	s_wait_loadcnt_dscnt 0x0
	v_fmac_f32_e32 v124, v126, v127
	s_and_not1_b32 exec_lo, exec_lo, s0
	s_cbranch_execnz .LBB59_113
; %bb.114:
	s_or_b32 exec_lo, exec_lo, s0
.LBB59_115:
	s_delay_alu instid0(SALU_CYCLE_1)
	s_or_b32 exec_lo, exec_lo, s18
	v_mov_b32_e32 v125, 0
	ds_load_b32 v125, v125 offset:188
	s_wait_dscnt 0x0
	v_mul_f32_e32 v124, v124, v125
	scratch_store_b32 off, v124, off offset:188
.LBB59_116:
	s_wait_xcnt 0x0
	s_or_b32 exec_lo, exec_lo, s17
	scratch_load_b32 v124, off, off offset:184
	v_cmp_lt_u32_e64 s0, 46, v0
	s_wait_loadcnt 0x0
	ds_store_b32 v1, v124
	s_wait_storecnt_dscnt 0x0
	s_barrier_signal -1
	s_barrier_wait -1
	s_wait_xcnt 0x0
	s_and_saveexec_b32 s16, s0
	s_cbranch_execz .LBB59_126
; %bb.117:
	s_and_not1_b32 vcc_lo, exec_lo, s3
	s_cbranch_vccnz .LBB59_119
; %bb.118:
	scratch_load_b32 v124, v7, off
	ds_load_b32 v125, v1
	s_wait_loadcnt_dscnt 0x0
	v_mul_f32_e32 v124, v124, v125
	s_cbranch_execz .LBB59_120
	s_branch .LBB59_121
.LBB59_119:
                                        ; implicit-def: $vgpr124
.LBB59_120:
	ds_load_b32 v124, v1
.LBB59_121:
	s_and_saveexec_b32 s17, s1
	s_cbranch_execz .LBB59_125
; %bb.122:
	v_subrev_nc_u32_e32 v125, 47, v0
	s_movk_i32 s1, 0xbc
	s_movk_i32 s19, 0x1ac
	s_mov_b32 s18, 0
.LBB59_123:                             ; =>This Inner Loop Header: Depth=1
	scratch_load_b32 v126, off, s1
	v_dual_mov_b32 v127, s19 :: v_dual_add_nc_u32 v125, -1, v125
	s_add_co_i32 s19, s19, 4
	s_wait_xcnt 0x0
	s_add_co_i32 s1, s1, 4
	ds_load_b32 v127, v127
	v_cmp_eq_u32_e32 vcc_lo, 0, v125
	s_or_b32 s18, vcc_lo, s18
	s_wait_loadcnt_dscnt 0x0
	v_fmac_f32_e32 v124, v126, v127
	s_and_not1_b32 exec_lo, exec_lo, s18
	s_cbranch_execnz .LBB59_123
; %bb.124:
	s_or_b32 exec_lo, exec_lo, s18
.LBB59_125:
	s_delay_alu instid0(SALU_CYCLE_1)
	s_or_b32 exec_lo, exec_lo, s17
	v_mov_b32_e32 v125, 0
	ds_load_b32 v125, v125 offset:184
	s_wait_dscnt 0x0
	v_mul_f32_e32 v124, v124, v125
	scratch_store_b32 off, v124, off offset:184
.LBB59_126:
	s_wait_xcnt 0x0
	s_or_b32 exec_lo, exec_lo, s16
	scratch_load_b32 v124, off, off offset:180
	v_cmp_lt_u32_e64 s1, 45, v0
	s_wait_loadcnt 0x0
	ds_store_b32 v1, v124
	s_wait_storecnt_dscnt 0x0
	s_barrier_signal -1
	s_barrier_wait -1
	s_wait_xcnt 0x0
	s_and_saveexec_b32 s16, s1
	s_cbranch_execz .LBB59_136
; %bb.127:
	s_and_not1_b32 vcc_lo, exec_lo, s3
	s_cbranch_vccnz .LBB59_129
; %bb.128:
	scratch_load_b32 v124, v7, off
	ds_load_b32 v125, v1
	s_wait_loadcnt_dscnt 0x0
	v_mul_f32_e32 v124, v124, v125
	s_cbranch_execz .LBB59_130
	s_branch .LBB59_131
.LBB59_129:
                                        ; implicit-def: $vgpr124
.LBB59_130:
	ds_load_b32 v124, v1
.LBB59_131:
	s_and_saveexec_b32 s17, s0
	s_cbranch_execz .LBB59_135
; %bb.132:
	v_subrev_nc_u32_e32 v125, 46, v0
	s_movk_i32 s0, 0xb8
	s_movk_i32 s19, 0x1a8
	s_mov_b32 s18, 0
.LBB59_133:                             ; =>This Inner Loop Header: Depth=1
	scratch_load_b32 v126, off, s0
	v_dual_mov_b32 v127, s19 :: v_dual_add_nc_u32 v125, -1, v125
	s_add_co_i32 s19, s19, 4
	s_wait_xcnt 0x0
	s_add_co_i32 s0, s0, 4
	ds_load_b32 v127, v127
	v_cmp_eq_u32_e32 vcc_lo, 0, v125
	s_or_b32 s18, vcc_lo, s18
	s_wait_loadcnt_dscnt 0x0
	v_fmac_f32_e32 v124, v126, v127
	s_and_not1_b32 exec_lo, exec_lo, s18
	s_cbranch_execnz .LBB59_133
; %bb.134:
	s_or_b32 exec_lo, exec_lo, s18
.LBB59_135:
	s_delay_alu instid0(SALU_CYCLE_1)
	s_or_b32 exec_lo, exec_lo, s17
	v_mov_b32_e32 v125, 0
	ds_load_b32 v125, v125 offset:180
	s_wait_dscnt 0x0
	v_mul_f32_e32 v124, v124, v125
	scratch_store_b32 off, v124, off offset:180
.LBB59_136:
	;; [unrolled: 58-line block ×3, first 2 shown]
	s_wait_xcnt 0x0
	s_or_b32 exec_lo, exec_lo, s16
	scratch_load_b32 v124, off, off offset:172
	v_cmp_lt_u32_e64 s1, 43, v0
	s_wait_loadcnt 0x0
	ds_store_b32 v1, v124
	s_wait_storecnt_dscnt 0x0
	s_barrier_signal -1
	s_barrier_wait -1
	s_wait_xcnt 0x0
	s_and_saveexec_b32 s16, s1
	s_cbranch_execz .LBB59_156
; %bb.147:
	s_and_not1_b32 vcc_lo, exec_lo, s3
	s_cbranch_vccnz .LBB59_149
; %bb.148:
	scratch_load_b32 v124, v7, off
	ds_load_b32 v125, v1
	s_wait_loadcnt_dscnt 0x0
	v_mul_f32_e32 v124, v124, v125
	s_cbranch_execz .LBB59_150
	s_branch .LBB59_151
.LBB59_149:
                                        ; implicit-def: $vgpr124
.LBB59_150:
	ds_load_b32 v124, v1
.LBB59_151:
	s_and_saveexec_b32 s17, s0
	s_cbranch_execz .LBB59_155
; %bb.152:
	v_subrev_nc_u32_e32 v125, 44, v0
	s_movk_i32 s18, 0x1a0
	s_mov_b32 s0, 0
.LBB59_153:                             ; =>This Inner Loop Header: Depth=1
	scratch_load_b32 v126, off, s15
	v_dual_mov_b32 v127, s18 :: v_dual_add_nc_u32 v125, -1, v125
	s_add_co_i32 s18, s18, 4
	s_wait_xcnt 0x0
	s_add_co_i32 s15, s15, 4
	ds_load_b32 v127, v127
	v_cmp_eq_u32_e32 vcc_lo, 0, v125
	s_or_b32 s0, vcc_lo, s0
	s_wait_loadcnt_dscnt 0x0
	v_fmac_f32_e32 v124, v126, v127
	s_and_not1_b32 exec_lo, exec_lo, s0
	s_cbranch_execnz .LBB59_153
; %bb.154:
	s_or_b32 exec_lo, exec_lo, s0
.LBB59_155:
	s_delay_alu instid0(SALU_CYCLE_1)
	s_or_b32 exec_lo, exec_lo, s17
	v_mov_b32_e32 v125, 0
	ds_load_b32 v125, v125 offset:172
	s_wait_dscnt 0x0
	v_mul_f32_e32 v124, v124, v125
	scratch_store_b32 off, v124, off offset:172
.LBB59_156:
	s_wait_xcnt 0x0
	s_or_b32 exec_lo, exec_lo, s16
	scratch_load_b32 v124, off, off offset:168
	v_cmp_lt_u32_e64 s0, 42, v0
	s_wait_loadcnt 0x0
	ds_store_b32 v1, v124
	s_wait_storecnt_dscnt 0x0
	s_barrier_signal -1
	s_barrier_wait -1
	s_wait_xcnt 0x0
	s_and_saveexec_b32 s15, s0
	s_cbranch_execz .LBB59_166
; %bb.157:
	s_and_not1_b32 vcc_lo, exec_lo, s3
	s_cbranch_vccnz .LBB59_159
; %bb.158:
	scratch_load_b32 v124, v7, off
	ds_load_b32 v125, v1
	s_wait_loadcnt_dscnt 0x0
	v_mul_f32_e32 v124, v124, v125
	s_cbranch_execz .LBB59_160
	s_branch .LBB59_161
.LBB59_159:
                                        ; implicit-def: $vgpr124
.LBB59_160:
	ds_load_b32 v124, v1
.LBB59_161:
	s_and_saveexec_b32 s16, s1
	s_cbranch_execz .LBB59_165
; %bb.162:
	v_subrev_nc_u32_e32 v125, 43, v0
	s_movk_i32 s1, 0xac
	s_movk_i32 s18, 0x19c
	s_mov_b32 s17, 0
.LBB59_163:                             ; =>This Inner Loop Header: Depth=1
	scratch_load_b32 v126, off, s1
	v_dual_mov_b32 v127, s18 :: v_dual_add_nc_u32 v125, -1, v125
	s_add_co_i32 s18, s18, 4
	s_wait_xcnt 0x0
	s_add_co_i32 s1, s1, 4
	ds_load_b32 v127, v127
	v_cmp_eq_u32_e32 vcc_lo, 0, v125
	s_or_b32 s17, vcc_lo, s17
	s_wait_loadcnt_dscnt 0x0
	v_fmac_f32_e32 v124, v126, v127
	s_and_not1_b32 exec_lo, exec_lo, s17
	s_cbranch_execnz .LBB59_163
; %bb.164:
	s_or_b32 exec_lo, exec_lo, s17
.LBB59_165:
	s_delay_alu instid0(SALU_CYCLE_1)
	s_or_b32 exec_lo, exec_lo, s16
	v_mov_b32_e32 v125, 0
	ds_load_b32 v125, v125 offset:168
	s_wait_dscnt 0x0
	v_mul_f32_e32 v124, v124, v125
	scratch_store_b32 off, v124, off offset:168
.LBB59_166:
	s_wait_xcnt 0x0
	s_or_b32 exec_lo, exec_lo, s15
	scratch_load_b32 v124, off, off offset:164
	v_cmp_lt_u32_e64 s1, 41, v0
	s_wait_loadcnt 0x0
	ds_store_b32 v1, v124
	s_wait_storecnt_dscnt 0x0
	s_barrier_signal -1
	s_barrier_wait -1
	s_wait_xcnt 0x0
	s_and_saveexec_b32 s15, s1
	s_cbranch_execz .LBB59_176
; %bb.167:
	s_and_not1_b32 vcc_lo, exec_lo, s3
	s_cbranch_vccnz .LBB59_169
; %bb.168:
	scratch_load_b32 v124, v7, off
	ds_load_b32 v125, v1
	s_wait_loadcnt_dscnt 0x0
	v_mul_f32_e32 v124, v124, v125
	s_cbranch_execz .LBB59_170
	s_branch .LBB59_171
.LBB59_169:
                                        ; implicit-def: $vgpr124
.LBB59_170:
	ds_load_b32 v124, v1
.LBB59_171:
	s_and_saveexec_b32 s16, s0
	s_cbranch_execz .LBB59_175
; %bb.172:
	v_subrev_nc_u32_e32 v125, 42, v0
	s_movk_i32 s0, 0xa8
	s_movk_i32 s18, 0x198
	s_mov_b32 s17, 0
.LBB59_173:                             ; =>This Inner Loop Header: Depth=1
	scratch_load_b32 v126, off, s0
	v_dual_mov_b32 v127, s18 :: v_dual_add_nc_u32 v125, -1, v125
	s_add_co_i32 s18, s18, 4
	s_wait_xcnt 0x0
	s_add_co_i32 s0, s0, 4
	ds_load_b32 v127, v127
	v_cmp_eq_u32_e32 vcc_lo, 0, v125
	s_or_b32 s17, vcc_lo, s17
	s_wait_loadcnt_dscnt 0x0
	v_fmac_f32_e32 v124, v126, v127
	s_and_not1_b32 exec_lo, exec_lo, s17
	s_cbranch_execnz .LBB59_173
; %bb.174:
	s_or_b32 exec_lo, exec_lo, s17
.LBB59_175:
	s_delay_alu instid0(SALU_CYCLE_1)
	s_or_b32 exec_lo, exec_lo, s16
	v_mov_b32_e32 v125, 0
	ds_load_b32 v125, v125 offset:164
	s_wait_dscnt 0x0
	v_mul_f32_e32 v124, v124, v125
	scratch_store_b32 off, v124, off offset:164
.LBB59_176:
	;; [unrolled: 58-line block ×3, first 2 shown]
	s_wait_xcnt 0x0
	s_or_b32 exec_lo, exec_lo, s15
	scratch_load_b32 v124, off, off offset:156
	v_cmp_lt_u32_e64 s1, 39, v0
	s_wait_loadcnt 0x0
	ds_store_b32 v1, v124
	s_wait_storecnt_dscnt 0x0
	s_barrier_signal -1
	s_barrier_wait -1
	s_wait_xcnt 0x0
	s_and_saveexec_b32 s15, s1
	s_cbranch_execz .LBB59_196
; %bb.187:
	s_and_not1_b32 vcc_lo, exec_lo, s3
	s_cbranch_vccnz .LBB59_189
; %bb.188:
	scratch_load_b32 v124, v7, off
	ds_load_b32 v125, v1
	s_wait_loadcnt_dscnt 0x0
	v_mul_f32_e32 v124, v124, v125
	s_cbranch_execz .LBB59_190
	s_branch .LBB59_191
.LBB59_189:
                                        ; implicit-def: $vgpr124
.LBB59_190:
	ds_load_b32 v124, v1
.LBB59_191:
	s_and_saveexec_b32 s16, s0
	s_cbranch_execz .LBB59_195
; %bb.192:
	v_subrev_nc_u32_e32 v125, 40, v0
	s_movk_i32 s17, 0x190
	s_mov_b32 s0, 0
.LBB59_193:                             ; =>This Inner Loop Header: Depth=1
	scratch_load_b32 v126, off, s14
	v_dual_mov_b32 v127, s17 :: v_dual_add_nc_u32 v125, -1, v125
	s_add_co_i32 s17, s17, 4
	s_wait_xcnt 0x0
	s_add_co_i32 s14, s14, 4
	ds_load_b32 v127, v127
	v_cmp_eq_u32_e32 vcc_lo, 0, v125
	s_or_b32 s0, vcc_lo, s0
	s_wait_loadcnt_dscnt 0x0
	v_fmac_f32_e32 v124, v126, v127
	s_and_not1_b32 exec_lo, exec_lo, s0
	s_cbranch_execnz .LBB59_193
; %bb.194:
	s_or_b32 exec_lo, exec_lo, s0
.LBB59_195:
	s_delay_alu instid0(SALU_CYCLE_1)
	s_or_b32 exec_lo, exec_lo, s16
	v_mov_b32_e32 v125, 0
	ds_load_b32 v125, v125 offset:156
	s_wait_dscnt 0x0
	v_mul_f32_e32 v124, v124, v125
	scratch_store_b32 off, v124, off offset:156
.LBB59_196:
	s_wait_xcnt 0x0
	s_or_b32 exec_lo, exec_lo, s15
	scratch_load_b32 v124, off, off offset:152
	v_cmp_lt_u32_e64 s0, 38, v0
	s_wait_loadcnt 0x0
	ds_store_b32 v1, v124
	s_wait_storecnt_dscnt 0x0
	s_barrier_signal -1
	s_barrier_wait -1
	s_wait_xcnt 0x0
	s_and_saveexec_b32 s14, s0
	s_cbranch_execz .LBB59_206
; %bb.197:
	s_and_not1_b32 vcc_lo, exec_lo, s3
	s_cbranch_vccnz .LBB59_199
; %bb.198:
	scratch_load_b32 v124, v7, off
	ds_load_b32 v125, v1
	s_wait_loadcnt_dscnt 0x0
	v_mul_f32_e32 v124, v124, v125
	s_cbranch_execz .LBB59_200
	s_branch .LBB59_201
.LBB59_199:
                                        ; implicit-def: $vgpr124
.LBB59_200:
	ds_load_b32 v124, v1
.LBB59_201:
	s_and_saveexec_b32 s15, s1
	s_cbranch_execz .LBB59_205
; %bb.202:
	v_subrev_nc_u32_e32 v125, 39, v0
	s_movk_i32 s1, 0x9c
	s_movk_i32 s17, 0x18c
	s_mov_b32 s16, 0
.LBB59_203:                             ; =>This Inner Loop Header: Depth=1
	scratch_load_b32 v126, off, s1
	v_dual_mov_b32 v127, s17 :: v_dual_add_nc_u32 v125, -1, v125
	s_add_co_i32 s17, s17, 4
	s_wait_xcnt 0x0
	s_add_co_i32 s1, s1, 4
	ds_load_b32 v127, v127
	v_cmp_eq_u32_e32 vcc_lo, 0, v125
	s_or_b32 s16, vcc_lo, s16
	s_wait_loadcnt_dscnt 0x0
	v_fmac_f32_e32 v124, v126, v127
	s_and_not1_b32 exec_lo, exec_lo, s16
	s_cbranch_execnz .LBB59_203
; %bb.204:
	s_or_b32 exec_lo, exec_lo, s16
.LBB59_205:
	s_delay_alu instid0(SALU_CYCLE_1)
	s_or_b32 exec_lo, exec_lo, s15
	v_mov_b32_e32 v125, 0
	ds_load_b32 v125, v125 offset:152
	s_wait_dscnt 0x0
	v_mul_f32_e32 v124, v124, v125
	scratch_store_b32 off, v124, off offset:152
.LBB59_206:
	s_wait_xcnt 0x0
	s_or_b32 exec_lo, exec_lo, s14
	scratch_load_b32 v124, off, off offset:148
	v_cmp_lt_u32_e64 s1, 37, v0
	s_wait_loadcnt 0x0
	ds_store_b32 v1, v124
	s_wait_storecnt_dscnt 0x0
	s_barrier_signal -1
	s_barrier_wait -1
	s_wait_xcnt 0x0
	s_and_saveexec_b32 s14, s1
	s_cbranch_execz .LBB59_216
; %bb.207:
	s_and_not1_b32 vcc_lo, exec_lo, s3
	s_cbranch_vccnz .LBB59_209
; %bb.208:
	scratch_load_b32 v124, v7, off
	ds_load_b32 v125, v1
	s_wait_loadcnt_dscnt 0x0
	v_mul_f32_e32 v124, v124, v125
	s_cbranch_execz .LBB59_210
	s_branch .LBB59_211
.LBB59_209:
                                        ; implicit-def: $vgpr124
.LBB59_210:
	ds_load_b32 v124, v1
.LBB59_211:
	s_and_saveexec_b32 s15, s0
	s_cbranch_execz .LBB59_215
; %bb.212:
	v_subrev_nc_u32_e32 v125, 38, v0
	s_movk_i32 s0, 0x98
	s_movk_i32 s17, 0x188
	s_mov_b32 s16, 0
.LBB59_213:                             ; =>This Inner Loop Header: Depth=1
	scratch_load_b32 v126, off, s0
	v_dual_mov_b32 v127, s17 :: v_dual_add_nc_u32 v125, -1, v125
	s_add_co_i32 s17, s17, 4
	s_wait_xcnt 0x0
	s_add_co_i32 s0, s0, 4
	ds_load_b32 v127, v127
	v_cmp_eq_u32_e32 vcc_lo, 0, v125
	s_or_b32 s16, vcc_lo, s16
	s_wait_loadcnt_dscnt 0x0
	v_fmac_f32_e32 v124, v126, v127
	s_and_not1_b32 exec_lo, exec_lo, s16
	s_cbranch_execnz .LBB59_213
; %bb.214:
	s_or_b32 exec_lo, exec_lo, s16
.LBB59_215:
	s_delay_alu instid0(SALU_CYCLE_1)
	s_or_b32 exec_lo, exec_lo, s15
	v_mov_b32_e32 v125, 0
	ds_load_b32 v125, v125 offset:148
	s_wait_dscnt 0x0
	v_mul_f32_e32 v124, v124, v125
	scratch_store_b32 off, v124, off offset:148
.LBB59_216:
	;; [unrolled: 58-line block ×3, first 2 shown]
	s_wait_xcnt 0x0
	s_or_b32 exec_lo, exec_lo, s14
	scratch_load_b32 v124, off, off offset:140
	v_cmp_lt_u32_e64 s1, 35, v0
	s_wait_loadcnt 0x0
	ds_store_b32 v1, v124
	s_wait_storecnt_dscnt 0x0
	s_barrier_signal -1
	s_barrier_wait -1
	s_wait_xcnt 0x0
	s_and_saveexec_b32 s14, s1
	s_cbranch_execz .LBB59_236
; %bb.227:
	s_and_not1_b32 vcc_lo, exec_lo, s3
	s_cbranch_vccnz .LBB59_229
; %bb.228:
	scratch_load_b32 v124, v7, off
	ds_load_b32 v125, v1
	s_wait_loadcnt_dscnt 0x0
	v_mul_f32_e32 v124, v124, v125
	s_cbranch_execz .LBB59_230
	s_branch .LBB59_231
.LBB59_229:
                                        ; implicit-def: $vgpr124
.LBB59_230:
	ds_load_b32 v124, v1
.LBB59_231:
	s_and_saveexec_b32 s15, s0
	s_cbranch_execz .LBB59_235
; %bb.232:
	v_subrev_nc_u32_e32 v125, 36, v0
	s_movk_i32 s16, 0x180
	s_mov_b32 s0, 0
.LBB59_233:                             ; =>This Inner Loop Header: Depth=1
	scratch_load_b32 v126, off, s13
	v_dual_mov_b32 v127, s16 :: v_dual_add_nc_u32 v125, -1, v125
	s_add_co_i32 s16, s16, 4
	s_wait_xcnt 0x0
	s_add_co_i32 s13, s13, 4
	ds_load_b32 v127, v127
	v_cmp_eq_u32_e32 vcc_lo, 0, v125
	s_or_b32 s0, vcc_lo, s0
	s_wait_loadcnt_dscnt 0x0
	v_fmac_f32_e32 v124, v126, v127
	s_and_not1_b32 exec_lo, exec_lo, s0
	s_cbranch_execnz .LBB59_233
; %bb.234:
	s_or_b32 exec_lo, exec_lo, s0
.LBB59_235:
	s_delay_alu instid0(SALU_CYCLE_1)
	s_or_b32 exec_lo, exec_lo, s15
	v_mov_b32_e32 v125, 0
	ds_load_b32 v125, v125 offset:140
	s_wait_dscnt 0x0
	v_mul_f32_e32 v124, v124, v125
	scratch_store_b32 off, v124, off offset:140
.LBB59_236:
	s_wait_xcnt 0x0
	s_or_b32 exec_lo, exec_lo, s14
	scratch_load_b32 v124, off, off offset:136
	v_cmp_lt_u32_e64 s0, 34, v0
	s_wait_loadcnt 0x0
	ds_store_b32 v1, v124
	s_wait_storecnt_dscnt 0x0
	s_barrier_signal -1
	s_barrier_wait -1
	s_wait_xcnt 0x0
	s_and_saveexec_b32 s13, s0
	s_cbranch_execz .LBB59_246
; %bb.237:
	s_and_not1_b32 vcc_lo, exec_lo, s3
	s_cbranch_vccnz .LBB59_239
; %bb.238:
	scratch_load_b32 v124, v7, off
	ds_load_b32 v125, v1
	s_wait_loadcnt_dscnt 0x0
	v_mul_f32_e32 v124, v124, v125
	s_cbranch_execz .LBB59_240
	s_branch .LBB59_241
.LBB59_239:
                                        ; implicit-def: $vgpr124
.LBB59_240:
	ds_load_b32 v124, v1
.LBB59_241:
	s_and_saveexec_b32 s14, s1
	s_cbranch_execz .LBB59_245
; %bb.242:
	v_subrev_nc_u32_e32 v125, 35, v0
	s_movk_i32 s1, 0x8c
	s_movk_i32 s16, 0x17c
	s_mov_b32 s15, 0
.LBB59_243:                             ; =>This Inner Loop Header: Depth=1
	scratch_load_b32 v126, off, s1
	v_dual_mov_b32 v127, s16 :: v_dual_add_nc_u32 v125, -1, v125
	s_add_co_i32 s16, s16, 4
	s_wait_xcnt 0x0
	s_add_co_i32 s1, s1, 4
	ds_load_b32 v127, v127
	v_cmp_eq_u32_e32 vcc_lo, 0, v125
	s_or_b32 s15, vcc_lo, s15
	s_wait_loadcnt_dscnt 0x0
	v_fmac_f32_e32 v124, v126, v127
	s_and_not1_b32 exec_lo, exec_lo, s15
	s_cbranch_execnz .LBB59_243
; %bb.244:
	s_or_b32 exec_lo, exec_lo, s15
.LBB59_245:
	s_delay_alu instid0(SALU_CYCLE_1)
	s_or_b32 exec_lo, exec_lo, s14
	v_mov_b32_e32 v125, 0
	ds_load_b32 v125, v125 offset:136
	s_wait_dscnt 0x0
	v_mul_f32_e32 v124, v124, v125
	scratch_store_b32 off, v124, off offset:136
.LBB59_246:
	s_wait_xcnt 0x0
	s_or_b32 exec_lo, exec_lo, s13
	scratch_load_b32 v124, off, off offset:132
	v_cmp_lt_u32_e64 s1, 33, v0
	s_wait_loadcnt 0x0
	ds_store_b32 v1, v124
	s_wait_storecnt_dscnt 0x0
	s_barrier_signal -1
	s_barrier_wait -1
	s_wait_xcnt 0x0
	s_and_saveexec_b32 s13, s1
	s_cbranch_execz .LBB59_256
; %bb.247:
	s_and_not1_b32 vcc_lo, exec_lo, s3
	s_cbranch_vccnz .LBB59_249
; %bb.248:
	scratch_load_b32 v124, v7, off
	ds_load_b32 v125, v1
	s_wait_loadcnt_dscnt 0x0
	v_mul_f32_e32 v124, v124, v125
	s_cbranch_execz .LBB59_250
	s_branch .LBB59_251
.LBB59_249:
                                        ; implicit-def: $vgpr124
.LBB59_250:
	ds_load_b32 v124, v1
.LBB59_251:
	s_and_saveexec_b32 s14, s0
	s_cbranch_execz .LBB59_255
; %bb.252:
	v_subrev_nc_u32_e32 v125, 34, v0
	s_movk_i32 s0, 0x88
	s_movk_i32 s16, 0x178
	s_mov_b32 s15, 0
.LBB59_253:                             ; =>This Inner Loop Header: Depth=1
	scratch_load_b32 v126, off, s0
	v_dual_mov_b32 v127, s16 :: v_dual_add_nc_u32 v125, -1, v125
	s_add_co_i32 s16, s16, 4
	s_wait_xcnt 0x0
	s_add_co_i32 s0, s0, 4
	ds_load_b32 v127, v127
	v_cmp_eq_u32_e32 vcc_lo, 0, v125
	s_or_b32 s15, vcc_lo, s15
	s_wait_loadcnt_dscnt 0x0
	v_fmac_f32_e32 v124, v126, v127
	s_and_not1_b32 exec_lo, exec_lo, s15
	s_cbranch_execnz .LBB59_253
; %bb.254:
	s_or_b32 exec_lo, exec_lo, s15
.LBB59_255:
	s_delay_alu instid0(SALU_CYCLE_1)
	s_or_b32 exec_lo, exec_lo, s14
	v_mov_b32_e32 v125, 0
	ds_load_b32 v125, v125 offset:132
	s_wait_dscnt 0x0
	v_mul_f32_e32 v124, v124, v125
	scratch_store_b32 off, v124, off offset:132
.LBB59_256:
	;; [unrolled: 58-line block ×3, first 2 shown]
	s_wait_xcnt 0x0
	s_or_b32 exec_lo, exec_lo, s13
	scratch_load_b32 v124, off, off offset:124
	v_cmp_lt_u32_e64 s1, 31, v0
	s_wait_loadcnt 0x0
	ds_store_b32 v1, v124
	s_wait_storecnt_dscnt 0x0
	s_barrier_signal -1
	s_barrier_wait -1
	s_wait_xcnt 0x0
	s_and_saveexec_b32 s13, s1
	s_cbranch_execz .LBB59_276
; %bb.267:
	s_and_not1_b32 vcc_lo, exec_lo, s3
	s_cbranch_vccnz .LBB59_269
; %bb.268:
	scratch_load_b32 v124, v7, off
	ds_load_b32 v125, v1
	s_wait_loadcnt_dscnt 0x0
	v_mul_f32_e32 v124, v124, v125
	s_cbranch_execz .LBB59_270
	s_branch .LBB59_271
.LBB59_269:
                                        ; implicit-def: $vgpr124
.LBB59_270:
	ds_load_b32 v124, v1
.LBB59_271:
	s_and_saveexec_b32 s14, s0
	s_cbranch_execz .LBB59_275
; %bb.272:
	v_subrev_nc_u32_e32 v125, 32, v0
	s_movk_i32 s15, 0x170
	s_mov_b32 s0, 0
.LBB59_273:                             ; =>This Inner Loop Header: Depth=1
	scratch_load_b32 v126, off, s12
	v_dual_mov_b32 v127, s15 :: v_dual_add_nc_u32 v125, -1, v125
	s_add_co_i32 s15, s15, 4
	s_wait_xcnt 0x0
	s_add_co_i32 s12, s12, 4
	ds_load_b32 v127, v127
	v_cmp_eq_u32_e32 vcc_lo, 0, v125
	s_or_b32 s0, vcc_lo, s0
	s_wait_loadcnt_dscnt 0x0
	v_fmac_f32_e32 v124, v126, v127
	s_and_not1_b32 exec_lo, exec_lo, s0
	s_cbranch_execnz .LBB59_273
; %bb.274:
	s_or_b32 exec_lo, exec_lo, s0
.LBB59_275:
	s_delay_alu instid0(SALU_CYCLE_1)
	s_or_b32 exec_lo, exec_lo, s14
	v_mov_b32_e32 v125, 0
	ds_load_b32 v125, v125 offset:124
	s_wait_dscnt 0x0
	v_mul_f32_e32 v124, v124, v125
	scratch_store_b32 off, v124, off offset:124
.LBB59_276:
	s_wait_xcnt 0x0
	s_or_b32 exec_lo, exec_lo, s13
	scratch_load_b32 v124, off, off offset:120
	v_cmp_lt_u32_e64 s0, 30, v0
	s_wait_loadcnt 0x0
	ds_store_b32 v1, v124
	s_wait_storecnt_dscnt 0x0
	s_barrier_signal -1
	s_barrier_wait -1
	s_wait_xcnt 0x0
	s_and_saveexec_b32 s12, s0
	s_cbranch_execz .LBB59_286
; %bb.277:
	s_and_not1_b32 vcc_lo, exec_lo, s3
	s_cbranch_vccnz .LBB59_279
; %bb.278:
	scratch_load_b32 v124, v7, off
	ds_load_b32 v125, v1
	s_wait_loadcnt_dscnt 0x0
	v_mul_f32_e32 v124, v124, v125
	s_cbranch_execz .LBB59_280
	s_branch .LBB59_281
.LBB59_279:
                                        ; implicit-def: $vgpr124
.LBB59_280:
	ds_load_b32 v124, v1
.LBB59_281:
	s_and_saveexec_b32 s13, s1
	s_cbranch_execz .LBB59_285
; %bb.282:
	v_subrev_nc_u32_e32 v125, 31, v0
	s_movk_i32 s1, 0x7c
	s_movk_i32 s15, 0x16c
	s_mov_b32 s14, 0
.LBB59_283:                             ; =>This Inner Loop Header: Depth=1
	scratch_load_b32 v126, off, s1
	v_dual_mov_b32 v127, s15 :: v_dual_add_nc_u32 v125, -1, v125
	s_add_co_i32 s15, s15, 4
	s_wait_xcnt 0x0
	s_add_co_i32 s1, s1, 4
	ds_load_b32 v127, v127
	v_cmp_eq_u32_e32 vcc_lo, 0, v125
	s_or_b32 s14, vcc_lo, s14
	s_wait_loadcnt_dscnt 0x0
	v_fmac_f32_e32 v124, v126, v127
	s_and_not1_b32 exec_lo, exec_lo, s14
	s_cbranch_execnz .LBB59_283
; %bb.284:
	s_or_b32 exec_lo, exec_lo, s14
.LBB59_285:
	s_delay_alu instid0(SALU_CYCLE_1)
	s_or_b32 exec_lo, exec_lo, s13
	v_mov_b32_e32 v125, 0
	ds_load_b32 v125, v125 offset:120
	s_wait_dscnt 0x0
	v_mul_f32_e32 v124, v124, v125
	scratch_store_b32 off, v124, off offset:120
.LBB59_286:
	s_wait_xcnt 0x0
	s_or_b32 exec_lo, exec_lo, s12
	scratch_load_b32 v124, off, off offset:116
	v_cmp_lt_u32_e64 s1, 29, v0
	s_wait_loadcnt 0x0
	ds_store_b32 v1, v124
	s_wait_storecnt_dscnt 0x0
	s_barrier_signal -1
	s_barrier_wait -1
	s_wait_xcnt 0x0
	s_and_saveexec_b32 s12, s1
	s_cbranch_execz .LBB59_296
; %bb.287:
	s_and_not1_b32 vcc_lo, exec_lo, s3
	s_cbranch_vccnz .LBB59_289
; %bb.288:
	scratch_load_b32 v124, v7, off
	ds_load_b32 v125, v1
	s_wait_loadcnt_dscnt 0x0
	v_mul_f32_e32 v124, v124, v125
	s_cbranch_execz .LBB59_290
	s_branch .LBB59_291
.LBB59_289:
                                        ; implicit-def: $vgpr124
.LBB59_290:
	ds_load_b32 v124, v1
.LBB59_291:
	s_and_saveexec_b32 s13, s0
	s_cbranch_execz .LBB59_295
; %bb.292:
	v_subrev_nc_u32_e32 v125, 30, v0
	s_movk_i32 s0, 0x78
	s_movk_i32 s15, 0x168
	s_mov_b32 s14, 0
.LBB59_293:                             ; =>This Inner Loop Header: Depth=1
	scratch_load_b32 v126, off, s0
	v_dual_mov_b32 v127, s15 :: v_dual_add_nc_u32 v125, -1, v125
	s_add_co_i32 s15, s15, 4
	s_wait_xcnt 0x0
	s_add_co_i32 s0, s0, 4
	ds_load_b32 v127, v127
	v_cmp_eq_u32_e32 vcc_lo, 0, v125
	s_or_b32 s14, vcc_lo, s14
	s_wait_loadcnt_dscnt 0x0
	v_fmac_f32_e32 v124, v126, v127
	s_and_not1_b32 exec_lo, exec_lo, s14
	s_cbranch_execnz .LBB59_293
; %bb.294:
	s_or_b32 exec_lo, exec_lo, s14
.LBB59_295:
	s_delay_alu instid0(SALU_CYCLE_1)
	s_or_b32 exec_lo, exec_lo, s13
	v_mov_b32_e32 v125, 0
	ds_load_b32 v125, v125 offset:116
	s_wait_dscnt 0x0
	v_mul_f32_e32 v124, v124, v125
	scratch_store_b32 off, v124, off offset:116
.LBB59_296:
	;; [unrolled: 58-line block ×3, first 2 shown]
	s_wait_xcnt 0x0
	s_or_b32 exec_lo, exec_lo, s12
	scratch_load_b32 v124, off, off offset:108
	v_cmp_lt_u32_e64 s1, 27, v0
	s_wait_loadcnt 0x0
	ds_store_b32 v1, v124
	s_wait_storecnt_dscnt 0x0
	s_barrier_signal -1
	s_barrier_wait -1
	s_wait_xcnt 0x0
	s_and_saveexec_b32 s12, s1
	s_cbranch_execz .LBB59_316
; %bb.307:
	s_and_not1_b32 vcc_lo, exec_lo, s3
	s_cbranch_vccnz .LBB59_309
; %bb.308:
	scratch_load_b32 v124, v7, off
	ds_load_b32 v125, v1
	s_wait_loadcnt_dscnt 0x0
	v_mul_f32_e32 v124, v124, v125
	s_cbranch_execz .LBB59_310
	s_branch .LBB59_311
.LBB59_309:
                                        ; implicit-def: $vgpr124
.LBB59_310:
	ds_load_b32 v124, v1
.LBB59_311:
	s_and_saveexec_b32 s13, s0
	s_cbranch_execz .LBB59_315
; %bb.312:
	v_subrev_nc_u32_e32 v125, 28, v0
	s_movk_i32 s14, 0x160
	s_mov_b32 s0, 0
.LBB59_313:                             ; =>This Inner Loop Header: Depth=1
	scratch_load_b32 v126, off, s11
	v_dual_mov_b32 v127, s14 :: v_dual_add_nc_u32 v125, -1, v125
	s_add_co_i32 s14, s14, 4
	s_wait_xcnt 0x0
	s_add_co_i32 s11, s11, 4
	ds_load_b32 v127, v127
	v_cmp_eq_u32_e32 vcc_lo, 0, v125
	s_or_b32 s0, vcc_lo, s0
	s_wait_loadcnt_dscnt 0x0
	v_fmac_f32_e32 v124, v126, v127
	s_and_not1_b32 exec_lo, exec_lo, s0
	s_cbranch_execnz .LBB59_313
; %bb.314:
	s_or_b32 exec_lo, exec_lo, s0
.LBB59_315:
	s_delay_alu instid0(SALU_CYCLE_1)
	s_or_b32 exec_lo, exec_lo, s13
	v_mov_b32_e32 v125, 0
	ds_load_b32 v125, v125 offset:108
	s_wait_dscnt 0x0
	v_mul_f32_e32 v124, v124, v125
	scratch_store_b32 off, v124, off offset:108
.LBB59_316:
	s_wait_xcnt 0x0
	s_or_b32 exec_lo, exec_lo, s12
	scratch_load_b32 v124, off, off offset:104
	v_cmp_lt_u32_e64 s0, 26, v0
	s_wait_loadcnt 0x0
	ds_store_b32 v1, v124
	s_wait_storecnt_dscnt 0x0
	s_barrier_signal -1
	s_barrier_wait -1
	s_wait_xcnt 0x0
	s_and_saveexec_b32 s11, s0
	s_cbranch_execz .LBB59_326
; %bb.317:
	s_and_not1_b32 vcc_lo, exec_lo, s3
	s_cbranch_vccnz .LBB59_319
; %bb.318:
	scratch_load_b32 v124, v7, off
	ds_load_b32 v125, v1
	s_wait_loadcnt_dscnt 0x0
	v_mul_f32_e32 v124, v124, v125
	s_cbranch_execz .LBB59_320
	s_branch .LBB59_321
.LBB59_319:
                                        ; implicit-def: $vgpr124
.LBB59_320:
	ds_load_b32 v124, v1
.LBB59_321:
	s_and_saveexec_b32 s12, s1
	s_cbranch_execz .LBB59_325
; %bb.322:
	v_subrev_nc_u32_e32 v125, 27, v0
	s_movk_i32 s1, 0x6c
	s_movk_i32 s14, 0x15c
	s_mov_b32 s13, 0
.LBB59_323:                             ; =>This Inner Loop Header: Depth=1
	scratch_load_b32 v126, off, s1
	v_dual_mov_b32 v127, s14 :: v_dual_add_nc_u32 v125, -1, v125
	s_add_co_i32 s14, s14, 4
	s_wait_xcnt 0x0
	s_add_co_i32 s1, s1, 4
	ds_load_b32 v127, v127
	v_cmp_eq_u32_e32 vcc_lo, 0, v125
	s_or_b32 s13, vcc_lo, s13
	s_wait_loadcnt_dscnt 0x0
	v_fmac_f32_e32 v124, v126, v127
	s_and_not1_b32 exec_lo, exec_lo, s13
	s_cbranch_execnz .LBB59_323
; %bb.324:
	s_or_b32 exec_lo, exec_lo, s13
.LBB59_325:
	s_delay_alu instid0(SALU_CYCLE_1)
	s_or_b32 exec_lo, exec_lo, s12
	v_mov_b32_e32 v125, 0
	ds_load_b32 v125, v125 offset:104
	s_wait_dscnt 0x0
	v_mul_f32_e32 v124, v124, v125
	scratch_store_b32 off, v124, off offset:104
.LBB59_326:
	s_wait_xcnt 0x0
	s_or_b32 exec_lo, exec_lo, s11
	scratch_load_b32 v124, off, off offset:100
	v_cmp_lt_u32_e64 s1, 25, v0
	s_wait_loadcnt 0x0
	ds_store_b32 v1, v124
	s_wait_storecnt_dscnt 0x0
	s_barrier_signal -1
	s_barrier_wait -1
	s_wait_xcnt 0x0
	s_and_saveexec_b32 s11, s1
	s_cbranch_execz .LBB59_336
; %bb.327:
	s_and_not1_b32 vcc_lo, exec_lo, s3
	s_cbranch_vccnz .LBB59_329
; %bb.328:
	scratch_load_b32 v124, v7, off
	ds_load_b32 v125, v1
	s_wait_loadcnt_dscnt 0x0
	v_mul_f32_e32 v124, v124, v125
	s_cbranch_execz .LBB59_330
	s_branch .LBB59_331
.LBB59_329:
                                        ; implicit-def: $vgpr124
.LBB59_330:
	ds_load_b32 v124, v1
.LBB59_331:
	s_and_saveexec_b32 s12, s0
	s_cbranch_execz .LBB59_335
; %bb.332:
	v_subrev_nc_u32_e32 v125, 26, v0
	s_movk_i32 s0, 0x68
	s_movk_i32 s14, 0x158
	s_mov_b32 s13, 0
.LBB59_333:                             ; =>This Inner Loop Header: Depth=1
	scratch_load_b32 v126, off, s0
	v_dual_mov_b32 v127, s14 :: v_dual_add_nc_u32 v125, -1, v125
	s_add_co_i32 s14, s14, 4
	s_wait_xcnt 0x0
	s_add_co_i32 s0, s0, 4
	ds_load_b32 v127, v127
	v_cmp_eq_u32_e32 vcc_lo, 0, v125
	s_or_b32 s13, vcc_lo, s13
	s_wait_loadcnt_dscnt 0x0
	v_fmac_f32_e32 v124, v126, v127
	s_and_not1_b32 exec_lo, exec_lo, s13
	s_cbranch_execnz .LBB59_333
; %bb.334:
	s_or_b32 exec_lo, exec_lo, s13
.LBB59_335:
	s_delay_alu instid0(SALU_CYCLE_1)
	s_or_b32 exec_lo, exec_lo, s12
	v_mov_b32_e32 v125, 0
	ds_load_b32 v125, v125 offset:100
	s_wait_dscnt 0x0
	v_mul_f32_e32 v124, v124, v125
	scratch_store_b32 off, v124, off offset:100
.LBB59_336:
	s_wait_xcnt 0x0
	s_or_b32 exec_lo, exec_lo, s11
	scratch_load_b32 v124, off, off offset:96
	v_cmp_lt_u32_e64 s0, 24, v0
	s_wait_loadcnt 0x0
	ds_store_b32 v1, v124
	s_wait_storecnt_dscnt 0x0
	s_barrier_signal -1
	s_barrier_wait -1
	s_wait_xcnt 0x0
	s_and_saveexec_b32 s11, s0
	s_cbranch_execz .LBB59_346
; %bb.337:
	s_and_not1_b32 vcc_lo, exec_lo, s3
	s_cbranch_vccnz .LBB59_339
; %bb.338:
	scratch_load_b32 v124, v7, off
	ds_load_b32 v125, v1
	s_wait_loadcnt_dscnt 0x0
	v_mul_f32_e32 v124, v124, v125
	s_cbranch_execz .LBB59_340
	s_branch .LBB59_341
.LBB59_339:
                                        ; implicit-def: $vgpr124
.LBB59_340:
	ds_load_b32 v124, v1
.LBB59_341:
	s_and_saveexec_b32 s12, s1
	s_cbranch_execz .LBB59_345
; %bb.342:
	v_subrev_nc_u32_e32 v125, 25, v0
	s_movk_i32 s1, 0x64
	s_movk_i32 s14, 0x154
	s_mov_b32 s13, 0
.LBB59_343:                             ; =>This Inner Loop Header: Depth=1
	scratch_load_b32 v126, off, s1
	v_dual_mov_b32 v127, s14 :: v_dual_add_nc_u32 v125, -1, v125
	s_add_co_i32 s14, s14, 4
	s_wait_xcnt 0x0
	s_add_co_i32 s1, s1, 4
	ds_load_b32 v127, v127
	v_cmp_eq_u32_e32 vcc_lo, 0, v125
	s_or_b32 s13, vcc_lo, s13
	s_wait_loadcnt_dscnt 0x0
	v_fmac_f32_e32 v124, v126, v127
	s_and_not1_b32 exec_lo, exec_lo, s13
	s_cbranch_execnz .LBB59_343
; %bb.344:
	s_or_b32 exec_lo, exec_lo, s13
.LBB59_345:
	s_delay_alu instid0(SALU_CYCLE_1)
	s_or_b32 exec_lo, exec_lo, s12
	v_mov_b32_e32 v125, 0
	ds_load_b32 v125, v125 offset:96
	s_wait_dscnt 0x0
	v_mul_f32_e32 v124, v124, v125
	scratch_store_b32 off, v124, off offset:96
.LBB59_346:
	s_wait_xcnt 0x0
	s_or_b32 exec_lo, exec_lo, s11
	scratch_load_b32 v124, off, off offset:92
	v_cmp_lt_u32_e64 s1, 23, v0
	s_wait_loadcnt 0x0
	ds_store_b32 v1, v124
	s_wait_storecnt_dscnt 0x0
	s_barrier_signal -1
	s_barrier_wait -1
	s_wait_xcnt 0x0
	s_and_saveexec_b32 s11, s1
	s_cbranch_execz .LBB59_356
; %bb.347:
	s_and_not1_b32 vcc_lo, exec_lo, s3
	s_cbranch_vccnz .LBB59_349
; %bb.348:
	scratch_load_b32 v124, v7, off
	ds_load_b32 v125, v1
	s_wait_loadcnt_dscnt 0x0
	v_mul_f32_e32 v124, v124, v125
	s_cbranch_execz .LBB59_350
	s_branch .LBB59_351
.LBB59_349:
                                        ; implicit-def: $vgpr124
.LBB59_350:
	ds_load_b32 v124, v1
.LBB59_351:
	s_and_saveexec_b32 s12, s0
	s_cbranch_execz .LBB59_355
; %bb.352:
	v_subrev_nc_u32_e32 v125, 24, v0
	s_movk_i32 s13, 0x150
	s_mov_b32 s0, 0
.LBB59_353:                             ; =>This Inner Loop Header: Depth=1
	scratch_load_b32 v126, off, s10
	v_dual_mov_b32 v127, s13 :: v_dual_add_nc_u32 v125, -1, v125
	s_add_co_i32 s13, s13, 4
	s_wait_xcnt 0x0
	s_add_co_i32 s10, s10, 4
	ds_load_b32 v127, v127
	v_cmp_eq_u32_e32 vcc_lo, 0, v125
	s_or_b32 s0, vcc_lo, s0
	s_wait_loadcnt_dscnt 0x0
	v_fmac_f32_e32 v124, v126, v127
	s_and_not1_b32 exec_lo, exec_lo, s0
	s_cbranch_execnz .LBB59_353
; %bb.354:
	s_or_b32 exec_lo, exec_lo, s0
.LBB59_355:
	s_delay_alu instid0(SALU_CYCLE_1)
	s_or_b32 exec_lo, exec_lo, s12
	v_mov_b32_e32 v125, 0
	ds_load_b32 v125, v125 offset:92
	s_wait_dscnt 0x0
	v_mul_f32_e32 v124, v124, v125
	scratch_store_b32 off, v124, off offset:92
.LBB59_356:
	s_wait_xcnt 0x0
	s_or_b32 exec_lo, exec_lo, s11
	scratch_load_b32 v124, off, off offset:88
	v_cmp_lt_u32_e64 s0, 22, v0
	s_wait_loadcnt 0x0
	ds_store_b32 v1, v124
	s_wait_storecnt_dscnt 0x0
	s_barrier_signal -1
	s_barrier_wait -1
	s_wait_xcnt 0x0
	s_and_saveexec_b32 s10, s0
	s_cbranch_execz .LBB59_366
; %bb.357:
	s_and_not1_b32 vcc_lo, exec_lo, s3
	s_cbranch_vccnz .LBB59_359
; %bb.358:
	scratch_load_b32 v124, v7, off
	ds_load_b32 v125, v1
	s_wait_loadcnt_dscnt 0x0
	v_mul_f32_e32 v124, v124, v125
	s_cbranch_execz .LBB59_360
	s_branch .LBB59_361
.LBB59_359:
                                        ; implicit-def: $vgpr124
.LBB59_360:
	ds_load_b32 v124, v1
.LBB59_361:
	s_and_saveexec_b32 s11, s1
	s_cbranch_execz .LBB59_365
; %bb.362:
	v_subrev_nc_u32_e32 v125, 23, v0
	s_movk_i32 s1, 0x5c
	s_movk_i32 s13, 0x14c
	s_mov_b32 s12, 0
.LBB59_363:                             ; =>This Inner Loop Header: Depth=1
	scratch_load_b32 v126, off, s1
	v_dual_mov_b32 v127, s13 :: v_dual_add_nc_u32 v125, -1, v125
	s_add_co_i32 s13, s13, 4
	s_wait_xcnt 0x0
	s_add_co_i32 s1, s1, 4
	ds_load_b32 v127, v127
	v_cmp_eq_u32_e32 vcc_lo, 0, v125
	s_or_b32 s12, vcc_lo, s12
	s_wait_loadcnt_dscnt 0x0
	v_fmac_f32_e32 v124, v126, v127
	s_and_not1_b32 exec_lo, exec_lo, s12
	s_cbranch_execnz .LBB59_363
; %bb.364:
	s_or_b32 exec_lo, exec_lo, s12
.LBB59_365:
	s_delay_alu instid0(SALU_CYCLE_1)
	s_or_b32 exec_lo, exec_lo, s11
	v_mov_b32_e32 v125, 0
	ds_load_b32 v125, v125 offset:88
	s_wait_dscnt 0x0
	v_mul_f32_e32 v124, v124, v125
	scratch_store_b32 off, v124, off offset:88
.LBB59_366:
	s_wait_xcnt 0x0
	s_or_b32 exec_lo, exec_lo, s10
	scratch_load_b32 v124, off, off offset:84
	v_cmp_lt_u32_e64 s1, 21, v0
	s_wait_loadcnt 0x0
	ds_store_b32 v1, v124
	s_wait_storecnt_dscnt 0x0
	s_barrier_signal -1
	s_barrier_wait -1
	s_wait_xcnt 0x0
	s_and_saveexec_b32 s10, s1
	s_cbranch_execz .LBB59_376
; %bb.367:
	s_and_not1_b32 vcc_lo, exec_lo, s3
	s_cbranch_vccnz .LBB59_369
; %bb.368:
	scratch_load_b32 v124, v7, off
	ds_load_b32 v125, v1
	s_wait_loadcnt_dscnt 0x0
	v_mul_f32_e32 v124, v124, v125
	s_cbranch_execz .LBB59_370
	s_branch .LBB59_371
.LBB59_369:
                                        ; implicit-def: $vgpr124
.LBB59_370:
	ds_load_b32 v124, v1
.LBB59_371:
	s_and_saveexec_b32 s11, s0
	s_cbranch_execz .LBB59_375
; %bb.372:
	v_subrev_nc_u32_e32 v125, 22, v0
	s_movk_i32 s0, 0x58
	s_movk_i32 s13, 0x148
	s_mov_b32 s12, 0
.LBB59_373:                             ; =>This Inner Loop Header: Depth=1
	scratch_load_b32 v126, off, s0
	v_dual_mov_b32 v127, s13 :: v_dual_add_nc_u32 v125, -1, v125
	s_add_co_i32 s13, s13, 4
	s_wait_xcnt 0x0
	s_add_co_i32 s0, s0, 4
	ds_load_b32 v127, v127
	v_cmp_eq_u32_e32 vcc_lo, 0, v125
	s_or_b32 s12, vcc_lo, s12
	s_wait_loadcnt_dscnt 0x0
	v_fmac_f32_e32 v124, v126, v127
	s_and_not1_b32 exec_lo, exec_lo, s12
	s_cbranch_execnz .LBB59_373
; %bb.374:
	s_or_b32 exec_lo, exec_lo, s12
.LBB59_375:
	s_delay_alu instid0(SALU_CYCLE_1)
	s_or_b32 exec_lo, exec_lo, s11
	v_mov_b32_e32 v125, 0
	ds_load_b32 v125, v125 offset:84
	s_wait_dscnt 0x0
	v_mul_f32_e32 v124, v124, v125
	scratch_store_b32 off, v124, off offset:84
.LBB59_376:
	;; [unrolled: 58-line block ×3, first 2 shown]
	s_wait_xcnt 0x0
	s_or_b32 exec_lo, exec_lo, s10
	scratch_load_b32 v124, off, off offset:76
	v_cmp_lt_u32_e64 s1, 19, v0
	s_wait_loadcnt 0x0
	ds_store_b32 v1, v124
	s_wait_storecnt_dscnt 0x0
	s_barrier_signal -1
	s_barrier_wait -1
	s_wait_xcnt 0x0
	s_and_saveexec_b32 s10, s1
	s_cbranch_execz .LBB59_396
; %bb.387:
	s_and_not1_b32 vcc_lo, exec_lo, s3
	s_cbranch_vccnz .LBB59_389
; %bb.388:
	scratch_load_b32 v124, v7, off
	ds_load_b32 v125, v1
	s_wait_loadcnt_dscnt 0x0
	v_mul_f32_e32 v124, v124, v125
	s_cbranch_execz .LBB59_390
	s_branch .LBB59_391
.LBB59_389:
                                        ; implicit-def: $vgpr124
.LBB59_390:
	ds_load_b32 v124, v1
.LBB59_391:
	s_and_saveexec_b32 s11, s0
	s_cbranch_execz .LBB59_395
; %bb.392:
	v_subrev_nc_u32_e32 v125, 20, v0
	s_movk_i32 s12, 0x140
	s_mov_b32 s0, 0
.LBB59_393:                             ; =>This Inner Loop Header: Depth=1
	scratch_load_b32 v126, off, s9
	v_dual_mov_b32 v127, s12 :: v_dual_add_nc_u32 v125, -1, v125
	s_add_co_i32 s12, s12, 4
	s_wait_xcnt 0x0
	s_add_co_i32 s9, s9, 4
	ds_load_b32 v127, v127
	v_cmp_eq_u32_e32 vcc_lo, 0, v125
	s_or_b32 s0, vcc_lo, s0
	s_wait_loadcnt_dscnt 0x0
	v_fmac_f32_e32 v124, v126, v127
	s_and_not1_b32 exec_lo, exec_lo, s0
	s_cbranch_execnz .LBB59_393
; %bb.394:
	s_or_b32 exec_lo, exec_lo, s0
.LBB59_395:
	s_delay_alu instid0(SALU_CYCLE_1)
	s_or_b32 exec_lo, exec_lo, s11
	v_mov_b32_e32 v125, 0
	ds_load_b32 v125, v125 offset:76
	s_wait_dscnt 0x0
	v_mul_f32_e32 v124, v124, v125
	scratch_store_b32 off, v124, off offset:76
.LBB59_396:
	s_wait_xcnt 0x0
	s_or_b32 exec_lo, exec_lo, s10
	scratch_load_b32 v124, off, off offset:72
	v_cmp_lt_u32_e64 s0, 18, v0
	s_wait_loadcnt 0x0
	ds_store_b32 v1, v124
	s_wait_storecnt_dscnt 0x0
	s_barrier_signal -1
	s_barrier_wait -1
	s_wait_xcnt 0x0
	s_and_saveexec_b32 s9, s0
	s_cbranch_execz .LBB59_406
; %bb.397:
	s_and_not1_b32 vcc_lo, exec_lo, s3
	s_cbranch_vccnz .LBB59_399
; %bb.398:
	scratch_load_b32 v124, v7, off
	ds_load_b32 v125, v1
	s_wait_loadcnt_dscnt 0x0
	v_mul_f32_e32 v124, v124, v125
	s_cbranch_execz .LBB59_400
	s_branch .LBB59_401
.LBB59_399:
                                        ; implicit-def: $vgpr124
.LBB59_400:
	ds_load_b32 v124, v1
.LBB59_401:
	s_and_saveexec_b32 s10, s1
	s_cbranch_execz .LBB59_405
; %bb.402:
	v_subrev_nc_u32_e32 v125, 19, v0
	s_movk_i32 s1, 0x4c
	s_movk_i32 s12, 0x13c
	s_mov_b32 s11, 0
.LBB59_403:                             ; =>This Inner Loop Header: Depth=1
	scratch_load_b32 v126, off, s1
	v_dual_mov_b32 v127, s12 :: v_dual_add_nc_u32 v125, -1, v125
	s_add_co_i32 s12, s12, 4
	s_wait_xcnt 0x0
	s_add_co_i32 s1, s1, 4
	ds_load_b32 v127, v127
	v_cmp_eq_u32_e32 vcc_lo, 0, v125
	s_or_b32 s11, vcc_lo, s11
	s_wait_loadcnt_dscnt 0x0
	v_fmac_f32_e32 v124, v126, v127
	s_and_not1_b32 exec_lo, exec_lo, s11
	s_cbranch_execnz .LBB59_403
; %bb.404:
	s_or_b32 exec_lo, exec_lo, s11
.LBB59_405:
	s_delay_alu instid0(SALU_CYCLE_1)
	s_or_b32 exec_lo, exec_lo, s10
	v_mov_b32_e32 v125, 0
	ds_load_b32 v125, v125 offset:72
	s_wait_dscnt 0x0
	v_mul_f32_e32 v124, v124, v125
	scratch_store_b32 off, v124, off offset:72
.LBB59_406:
	s_wait_xcnt 0x0
	s_or_b32 exec_lo, exec_lo, s9
	scratch_load_b32 v124, off, off offset:68
	v_cmp_lt_u32_e64 s1, 17, v0
	s_wait_loadcnt 0x0
	ds_store_b32 v1, v124
	s_wait_storecnt_dscnt 0x0
	s_barrier_signal -1
	s_barrier_wait -1
	s_wait_xcnt 0x0
	s_and_saveexec_b32 s9, s1
	s_cbranch_execz .LBB59_416
; %bb.407:
	s_and_not1_b32 vcc_lo, exec_lo, s3
	s_cbranch_vccnz .LBB59_409
; %bb.408:
	scratch_load_b32 v124, v7, off
	ds_load_b32 v125, v1
	s_wait_loadcnt_dscnt 0x0
	v_mul_f32_e32 v124, v124, v125
	s_cbranch_execz .LBB59_410
	s_branch .LBB59_411
.LBB59_409:
                                        ; implicit-def: $vgpr124
.LBB59_410:
	ds_load_b32 v124, v1
.LBB59_411:
	s_and_saveexec_b32 s10, s0
	s_cbranch_execz .LBB59_415
; %bb.412:
	v_subrev_nc_u32_e32 v125, 18, v0
	s_movk_i32 s0, 0x48
	s_movk_i32 s12, 0x138
	s_mov_b32 s11, 0
.LBB59_413:                             ; =>This Inner Loop Header: Depth=1
	scratch_load_b32 v126, off, s0
	v_dual_mov_b32 v127, s12 :: v_dual_add_nc_u32 v125, -1, v125
	s_add_co_i32 s12, s12, 4
	s_wait_xcnt 0x0
	s_add_co_i32 s0, s0, 4
	ds_load_b32 v127, v127
	v_cmp_eq_u32_e32 vcc_lo, 0, v125
	s_or_b32 s11, vcc_lo, s11
	s_wait_loadcnt_dscnt 0x0
	v_fmac_f32_e32 v124, v126, v127
	s_and_not1_b32 exec_lo, exec_lo, s11
	s_cbranch_execnz .LBB59_413
; %bb.414:
	s_or_b32 exec_lo, exec_lo, s11
.LBB59_415:
	s_delay_alu instid0(SALU_CYCLE_1)
	s_or_b32 exec_lo, exec_lo, s10
	v_mov_b32_e32 v125, 0
	ds_load_b32 v125, v125 offset:68
	s_wait_dscnt 0x0
	v_mul_f32_e32 v124, v124, v125
	scratch_store_b32 off, v124, off offset:68
.LBB59_416:
	s_wait_xcnt 0x0
	s_or_b32 exec_lo, exec_lo, s9
	scratch_load_b32 v124, off, off offset:64
	v_cmp_lt_u32_e64 s0, 16, v0
	s_wait_loadcnt 0x0
	ds_store_b32 v1, v124
	s_wait_storecnt_dscnt 0x0
	s_barrier_signal -1
	s_barrier_wait -1
	s_wait_xcnt 0x0
	s_and_saveexec_b32 s9, s0
	s_cbranch_execz .LBB59_426
; %bb.417:
	s_and_not1_b32 vcc_lo, exec_lo, s3
	s_cbranch_vccnz .LBB59_419
; %bb.418:
	scratch_load_b32 v124, v7, off
	ds_load_b32 v125, v1
	s_wait_loadcnt_dscnt 0x0
	v_mul_f32_e32 v124, v124, v125
	s_cbranch_execz .LBB59_420
	s_branch .LBB59_421
.LBB59_419:
                                        ; implicit-def: $vgpr124
.LBB59_420:
	ds_load_b32 v124, v1
.LBB59_421:
	s_and_saveexec_b32 s10, s1
	s_cbranch_execz .LBB59_425
; %bb.422:
	v_subrev_nc_u32_e32 v125, 17, v0
	s_movk_i32 s1, 0x44
	s_movk_i32 s12, 0x134
	s_mov_b32 s11, 0
.LBB59_423:                             ; =>This Inner Loop Header: Depth=1
	scratch_load_b32 v126, off, s1
	v_dual_mov_b32 v127, s12 :: v_dual_add_nc_u32 v125, -1, v125
	s_add_co_i32 s12, s12, 4
	s_wait_xcnt 0x0
	s_add_co_i32 s1, s1, 4
	ds_load_b32 v127, v127
	v_cmp_eq_u32_e32 vcc_lo, 0, v125
	s_or_b32 s11, vcc_lo, s11
	s_wait_loadcnt_dscnt 0x0
	v_fmac_f32_e32 v124, v126, v127
	s_and_not1_b32 exec_lo, exec_lo, s11
	s_cbranch_execnz .LBB59_423
; %bb.424:
	s_or_b32 exec_lo, exec_lo, s11
.LBB59_425:
	s_delay_alu instid0(SALU_CYCLE_1)
	s_or_b32 exec_lo, exec_lo, s10
	v_mov_b32_e32 v125, 0
	ds_load_b32 v125, v125 offset:64
	s_wait_dscnt 0x0
	v_mul_f32_e32 v124, v124, v125
	scratch_store_b32 off, v124, off offset:64
.LBB59_426:
	s_wait_xcnt 0x0
	s_or_b32 exec_lo, exec_lo, s9
	scratch_load_b32 v124, off, off offset:60
	v_cmp_lt_u32_e64 s1, 15, v0
	s_wait_loadcnt 0x0
	ds_store_b32 v1, v124
	s_wait_storecnt_dscnt 0x0
	s_barrier_signal -1
	s_barrier_wait -1
	s_wait_xcnt 0x0
	s_and_saveexec_b32 s9, s1
	s_cbranch_execz .LBB59_436
; %bb.427:
	s_and_not1_b32 vcc_lo, exec_lo, s3
	s_cbranch_vccnz .LBB59_429
; %bb.428:
	scratch_load_b32 v124, v7, off
	ds_load_b32 v125, v1
	s_wait_loadcnt_dscnt 0x0
	v_mul_f32_e32 v124, v124, v125
	s_cbranch_execz .LBB59_430
	s_branch .LBB59_431
.LBB59_429:
                                        ; implicit-def: $vgpr124
.LBB59_430:
	ds_load_b32 v124, v1
.LBB59_431:
	s_and_saveexec_b32 s10, s0
	s_cbranch_execz .LBB59_435
; %bb.432:
	v_add_nc_u32_e32 v125, -16, v0
	s_movk_i32 s11, 0x130
	s_mov_b32 s0, 0
.LBB59_433:                             ; =>This Inner Loop Header: Depth=1
	scratch_load_b32 v126, off, s8
	v_dual_mov_b32 v127, s11 :: v_dual_add_nc_u32 v125, -1, v125
	s_add_co_i32 s11, s11, 4
	s_wait_xcnt 0x0
	s_add_co_i32 s8, s8, 4
	ds_load_b32 v127, v127
	v_cmp_eq_u32_e32 vcc_lo, 0, v125
	s_or_b32 s0, vcc_lo, s0
	s_wait_loadcnt_dscnt 0x0
	v_fmac_f32_e32 v124, v126, v127
	s_and_not1_b32 exec_lo, exec_lo, s0
	s_cbranch_execnz .LBB59_433
; %bb.434:
	s_or_b32 exec_lo, exec_lo, s0
.LBB59_435:
	s_delay_alu instid0(SALU_CYCLE_1)
	s_or_b32 exec_lo, exec_lo, s10
	v_mov_b32_e32 v125, 0
	ds_load_b32 v125, v125 offset:60
	s_wait_dscnt 0x0
	v_mul_f32_e32 v124, v124, v125
	scratch_store_b32 off, v124, off offset:60
.LBB59_436:
	s_wait_xcnt 0x0
	s_or_b32 exec_lo, exec_lo, s9
	scratch_load_b32 v124, off, off offset:56
	v_cmp_lt_u32_e64 s0, 14, v0
	s_wait_loadcnt 0x0
	ds_store_b32 v1, v124
	s_wait_storecnt_dscnt 0x0
	s_barrier_signal -1
	s_barrier_wait -1
	s_wait_xcnt 0x0
	s_and_saveexec_b32 s8, s0
	s_cbranch_execz .LBB59_446
; %bb.437:
	s_and_not1_b32 vcc_lo, exec_lo, s3
	s_cbranch_vccnz .LBB59_439
; %bb.438:
	scratch_load_b32 v124, v7, off
	ds_load_b32 v125, v1
	s_wait_loadcnt_dscnt 0x0
	v_mul_f32_e32 v124, v124, v125
	s_cbranch_execz .LBB59_440
	s_branch .LBB59_441
.LBB59_439:
                                        ; implicit-def: $vgpr124
.LBB59_440:
	ds_load_b32 v124, v1
.LBB59_441:
	s_and_saveexec_b32 s9, s1
	s_cbranch_execz .LBB59_445
; %bb.442:
	v_add_nc_u32_e32 v125, -15, v0
	s_mov_b32 s1, 60
	s_movk_i32 s11, 0x12c
	s_mov_b32 s10, 0
.LBB59_443:                             ; =>This Inner Loop Header: Depth=1
	scratch_load_b32 v126, off, s1
	v_dual_mov_b32 v127, s11 :: v_dual_add_nc_u32 v125, -1, v125
	s_add_co_i32 s11, s11, 4
	s_wait_xcnt 0x0
	s_add_co_i32 s1, s1, 4
	ds_load_b32 v127, v127
	v_cmp_eq_u32_e32 vcc_lo, 0, v125
	s_or_b32 s10, vcc_lo, s10
	s_wait_loadcnt_dscnt 0x0
	v_fmac_f32_e32 v124, v126, v127
	s_and_not1_b32 exec_lo, exec_lo, s10
	s_cbranch_execnz .LBB59_443
; %bb.444:
	s_or_b32 exec_lo, exec_lo, s10
.LBB59_445:
	s_delay_alu instid0(SALU_CYCLE_1)
	s_or_b32 exec_lo, exec_lo, s9
	v_mov_b32_e32 v125, 0
	ds_load_b32 v125, v125 offset:56
	s_wait_dscnt 0x0
	v_mul_f32_e32 v124, v124, v125
	scratch_store_b32 off, v124, off offset:56
.LBB59_446:
	s_wait_xcnt 0x0
	s_or_b32 exec_lo, exec_lo, s8
	scratch_load_b32 v124, off, off offset:52
	v_cmp_lt_u32_e64 s1, 13, v0
	s_wait_loadcnt 0x0
	ds_store_b32 v1, v124
	s_wait_storecnt_dscnt 0x0
	s_barrier_signal -1
	s_barrier_wait -1
	s_wait_xcnt 0x0
	s_and_saveexec_b32 s8, s1
	s_cbranch_execz .LBB59_456
; %bb.447:
	s_and_not1_b32 vcc_lo, exec_lo, s3
	s_cbranch_vccnz .LBB59_449
; %bb.448:
	scratch_load_b32 v124, v7, off
	ds_load_b32 v125, v1
	s_wait_loadcnt_dscnt 0x0
	v_mul_f32_e32 v124, v124, v125
	s_cbranch_execz .LBB59_450
	s_branch .LBB59_451
.LBB59_449:
                                        ; implicit-def: $vgpr124
.LBB59_450:
	ds_load_b32 v124, v1
.LBB59_451:
	s_and_saveexec_b32 s9, s0
	s_cbranch_execz .LBB59_455
; %bb.452:
	v_add_nc_u32_e32 v125, -14, v0
	s_mov_b32 s0, 56
	s_movk_i32 s11, 0x128
	s_mov_b32 s10, 0
.LBB59_453:                             ; =>This Inner Loop Header: Depth=1
	scratch_load_b32 v126, off, s0
	v_dual_mov_b32 v127, s11 :: v_dual_add_nc_u32 v125, -1, v125
	s_add_co_i32 s11, s11, 4
	s_wait_xcnt 0x0
	s_add_co_i32 s0, s0, 4
	ds_load_b32 v127, v127
	v_cmp_eq_u32_e32 vcc_lo, 0, v125
	s_or_b32 s10, vcc_lo, s10
	s_wait_loadcnt_dscnt 0x0
	v_fmac_f32_e32 v124, v126, v127
	s_and_not1_b32 exec_lo, exec_lo, s10
	s_cbranch_execnz .LBB59_453
; %bb.454:
	s_or_b32 exec_lo, exec_lo, s10
.LBB59_455:
	s_delay_alu instid0(SALU_CYCLE_1)
	s_or_b32 exec_lo, exec_lo, s9
	v_mov_b32_e32 v125, 0
	ds_load_b32 v125, v125 offset:52
	s_wait_dscnt 0x0
	v_mul_f32_e32 v124, v124, v125
	scratch_store_b32 off, v124, off offset:52
.LBB59_456:
	;; [unrolled: 58-line block ×3, first 2 shown]
	s_wait_xcnt 0x0
	s_or_b32 exec_lo, exec_lo, s8
	scratch_load_b32 v124, off, off offset:44
	v_cmp_lt_u32_e64 s1, 11, v0
	s_wait_loadcnt 0x0
	ds_store_b32 v1, v124
	s_wait_storecnt_dscnt 0x0
	s_barrier_signal -1
	s_barrier_wait -1
	s_wait_xcnt 0x0
	s_and_saveexec_b32 s8, s1
	s_cbranch_execz .LBB59_476
; %bb.467:
	s_and_not1_b32 vcc_lo, exec_lo, s3
	s_cbranch_vccnz .LBB59_469
; %bb.468:
	scratch_load_b32 v124, v7, off
	ds_load_b32 v125, v1
	s_wait_loadcnt_dscnt 0x0
	v_mul_f32_e32 v124, v124, v125
	s_cbranch_execz .LBB59_470
	s_branch .LBB59_471
.LBB59_469:
                                        ; implicit-def: $vgpr124
.LBB59_470:
	ds_load_b32 v124, v1
.LBB59_471:
	s_and_saveexec_b32 s9, s0
	s_cbranch_execz .LBB59_475
; %bb.472:
	v_add_nc_u32_e32 v125, -12, v0
	s_movk_i32 s10, 0x120
	s_mov_b32 s0, 0
.LBB59_473:                             ; =>This Inner Loop Header: Depth=1
	scratch_load_b32 v126, off, s5
	v_dual_mov_b32 v127, s10 :: v_dual_add_nc_u32 v125, -1, v125
	s_add_co_i32 s10, s10, 4
	s_wait_xcnt 0x0
	s_add_co_i32 s5, s5, 4
	ds_load_b32 v127, v127
	v_cmp_eq_u32_e32 vcc_lo, 0, v125
	s_or_b32 s0, vcc_lo, s0
	s_wait_loadcnt_dscnt 0x0
	v_fmac_f32_e32 v124, v126, v127
	s_and_not1_b32 exec_lo, exec_lo, s0
	s_cbranch_execnz .LBB59_473
; %bb.474:
	s_or_b32 exec_lo, exec_lo, s0
.LBB59_475:
	s_delay_alu instid0(SALU_CYCLE_1)
	s_or_b32 exec_lo, exec_lo, s9
	v_mov_b32_e32 v125, 0
	ds_load_b32 v125, v125 offset:44
	s_wait_dscnt 0x0
	v_mul_f32_e32 v124, v124, v125
	scratch_store_b32 off, v124, off offset:44
.LBB59_476:
	s_wait_xcnt 0x0
	s_or_b32 exec_lo, exec_lo, s8
	scratch_load_b32 v124, off, off offset:40
	v_cmp_lt_u32_e64 s0, 10, v0
	s_wait_loadcnt 0x0
	ds_store_b32 v1, v124
	s_wait_storecnt_dscnt 0x0
	s_barrier_signal -1
	s_barrier_wait -1
	s_wait_xcnt 0x0
	s_and_saveexec_b32 s5, s0
	s_cbranch_execz .LBB59_486
; %bb.477:
	s_and_not1_b32 vcc_lo, exec_lo, s3
	s_cbranch_vccnz .LBB59_479
; %bb.478:
	scratch_load_b32 v124, v7, off
	ds_load_b32 v125, v1
	s_wait_loadcnt_dscnt 0x0
	v_mul_f32_e32 v124, v124, v125
	s_cbranch_execz .LBB59_480
	s_branch .LBB59_481
.LBB59_479:
                                        ; implicit-def: $vgpr124
.LBB59_480:
	ds_load_b32 v124, v1
.LBB59_481:
	s_and_saveexec_b32 s8, s1
	s_cbranch_execz .LBB59_485
; %bb.482:
	v_add_nc_u32_e32 v125, -11, v0
	s_mov_b32 s1, 44
	s_movk_i32 s10, 0x11c
	s_mov_b32 s9, 0
.LBB59_483:                             ; =>This Inner Loop Header: Depth=1
	scratch_load_b32 v126, off, s1
	v_dual_mov_b32 v127, s10 :: v_dual_add_nc_u32 v125, -1, v125
	s_add_co_i32 s10, s10, 4
	s_wait_xcnt 0x0
	s_add_co_i32 s1, s1, 4
	ds_load_b32 v127, v127
	v_cmp_eq_u32_e32 vcc_lo, 0, v125
	s_or_b32 s9, vcc_lo, s9
	s_wait_loadcnt_dscnt 0x0
	v_fmac_f32_e32 v124, v126, v127
	s_and_not1_b32 exec_lo, exec_lo, s9
	s_cbranch_execnz .LBB59_483
; %bb.484:
	s_or_b32 exec_lo, exec_lo, s9
.LBB59_485:
	s_delay_alu instid0(SALU_CYCLE_1)
	s_or_b32 exec_lo, exec_lo, s8
	v_mov_b32_e32 v125, 0
	ds_load_b32 v125, v125 offset:40
	s_wait_dscnt 0x0
	v_mul_f32_e32 v124, v124, v125
	scratch_store_b32 off, v124, off offset:40
.LBB59_486:
	s_wait_xcnt 0x0
	s_or_b32 exec_lo, exec_lo, s5
	scratch_load_b32 v124, off, off offset:36
	v_cmp_lt_u32_e64 s1, 9, v0
	s_wait_loadcnt 0x0
	ds_store_b32 v1, v124
	s_wait_storecnt_dscnt 0x0
	s_barrier_signal -1
	s_barrier_wait -1
	s_wait_xcnt 0x0
	s_and_saveexec_b32 s5, s1
	s_cbranch_execz .LBB59_496
; %bb.487:
	s_and_not1_b32 vcc_lo, exec_lo, s3
	s_cbranch_vccnz .LBB59_489
; %bb.488:
	scratch_load_b32 v124, v7, off
	ds_load_b32 v125, v1
	s_wait_loadcnt_dscnt 0x0
	v_mul_f32_e32 v124, v124, v125
	s_cbranch_execz .LBB59_490
	s_branch .LBB59_491
.LBB59_489:
                                        ; implicit-def: $vgpr124
.LBB59_490:
	ds_load_b32 v124, v1
.LBB59_491:
	s_and_saveexec_b32 s8, s0
	s_cbranch_execz .LBB59_495
; %bb.492:
	v_add_nc_u32_e32 v125, -10, v0
	s_mov_b32 s0, 40
	s_movk_i32 s10, 0x118
	s_mov_b32 s9, 0
.LBB59_493:                             ; =>This Inner Loop Header: Depth=1
	scratch_load_b32 v126, off, s0
	v_dual_mov_b32 v127, s10 :: v_dual_add_nc_u32 v125, -1, v125
	s_add_co_i32 s10, s10, 4
	s_wait_xcnt 0x0
	s_add_co_i32 s0, s0, 4
	ds_load_b32 v127, v127
	v_cmp_eq_u32_e32 vcc_lo, 0, v125
	s_or_b32 s9, vcc_lo, s9
	s_wait_loadcnt_dscnt 0x0
	v_fmac_f32_e32 v124, v126, v127
	s_and_not1_b32 exec_lo, exec_lo, s9
	s_cbranch_execnz .LBB59_493
; %bb.494:
	s_or_b32 exec_lo, exec_lo, s9
.LBB59_495:
	s_delay_alu instid0(SALU_CYCLE_1)
	s_or_b32 exec_lo, exec_lo, s8
	v_mov_b32_e32 v125, 0
	ds_load_b32 v125, v125 offset:36
	s_wait_dscnt 0x0
	v_mul_f32_e32 v124, v124, v125
	scratch_store_b32 off, v124, off offset:36
.LBB59_496:
	;; [unrolled: 58-line block ×3, first 2 shown]
	s_wait_xcnt 0x0
	s_or_b32 exec_lo, exec_lo, s5
	scratch_load_b32 v124, off, off offset:28
	v_cmp_lt_u32_e64 s1, 7, v0
	s_wait_loadcnt 0x0
	ds_store_b32 v1, v124
	s_wait_storecnt_dscnt 0x0
	s_barrier_signal -1
	s_barrier_wait -1
	s_wait_xcnt 0x0
	s_and_saveexec_b32 s5, s1
	s_cbranch_execz .LBB59_516
; %bb.507:
	s_and_not1_b32 vcc_lo, exec_lo, s3
	s_cbranch_vccnz .LBB59_509
; %bb.508:
	scratch_load_b32 v124, v7, off
	ds_load_b32 v125, v1
	s_wait_loadcnt_dscnt 0x0
	v_mul_f32_e32 v124, v124, v125
	s_cbranch_execz .LBB59_510
	s_branch .LBB59_511
.LBB59_509:
                                        ; implicit-def: $vgpr124
.LBB59_510:
	ds_load_b32 v124, v1
.LBB59_511:
	s_and_saveexec_b32 s8, s0
	s_cbranch_execz .LBB59_515
; %bb.512:
	v_add_nc_u32_e32 v125, -8, v0
	s_movk_i32 s9, 0x110
	s_mov_b32 s0, 0
.LBB59_513:                             ; =>This Inner Loop Header: Depth=1
	scratch_load_b32 v126, off, s2
	v_dual_mov_b32 v127, s9 :: v_dual_add_nc_u32 v125, -1, v125
	s_add_co_i32 s9, s9, 4
	s_wait_xcnt 0x0
	s_add_co_i32 s2, s2, 4
	ds_load_b32 v127, v127
	v_cmp_eq_u32_e32 vcc_lo, 0, v125
	s_or_b32 s0, vcc_lo, s0
	s_wait_loadcnt_dscnt 0x0
	v_fmac_f32_e32 v124, v126, v127
	s_and_not1_b32 exec_lo, exec_lo, s0
	s_cbranch_execnz .LBB59_513
; %bb.514:
	s_or_b32 exec_lo, exec_lo, s0
.LBB59_515:
	s_delay_alu instid0(SALU_CYCLE_1)
	s_or_b32 exec_lo, exec_lo, s8
	v_mov_b32_e32 v125, 0
	ds_load_b32 v125, v125 offset:28
	s_wait_dscnt 0x0
	v_mul_f32_e32 v124, v124, v125
	scratch_store_b32 off, v124, off offset:28
.LBB59_516:
	s_wait_xcnt 0x0
	s_or_b32 exec_lo, exec_lo, s5
	scratch_load_b32 v124, off, off offset:24
	v_cmp_lt_u32_e64 s0, 6, v0
	s_wait_loadcnt 0x0
	ds_store_b32 v1, v124
	s_wait_storecnt_dscnt 0x0
	s_barrier_signal -1
	s_barrier_wait -1
	s_wait_xcnt 0x0
	s_and_saveexec_b32 s2, s0
	s_cbranch_execz .LBB59_526
; %bb.517:
	s_and_not1_b32 vcc_lo, exec_lo, s3
	s_cbranch_vccnz .LBB59_519
; %bb.518:
	scratch_load_b32 v124, v7, off
	ds_load_b32 v125, v1
	s_wait_loadcnt_dscnt 0x0
	v_mul_f32_e32 v124, v124, v125
	s_cbranch_execz .LBB59_520
	s_branch .LBB59_521
.LBB59_519:
                                        ; implicit-def: $vgpr124
.LBB59_520:
	ds_load_b32 v124, v1
.LBB59_521:
	s_and_saveexec_b32 s5, s1
	s_cbranch_execz .LBB59_525
; %bb.522:
	v_add_nc_u32_e32 v125, -7, v0
	s_mov_b32 s1, 28
	s_movk_i32 s9, 0x10c
	s_mov_b32 s8, 0
.LBB59_523:                             ; =>This Inner Loop Header: Depth=1
	scratch_load_b32 v126, off, s1
	v_dual_mov_b32 v127, s9 :: v_dual_add_nc_u32 v125, -1, v125
	s_add_co_i32 s9, s9, 4
	s_wait_xcnt 0x0
	s_add_co_i32 s1, s1, 4
	ds_load_b32 v127, v127
	v_cmp_eq_u32_e32 vcc_lo, 0, v125
	s_or_b32 s8, vcc_lo, s8
	s_wait_loadcnt_dscnt 0x0
	v_fmac_f32_e32 v124, v126, v127
	s_and_not1_b32 exec_lo, exec_lo, s8
	s_cbranch_execnz .LBB59_523
; %bb.524:
	s_or_b32 exec_lo, exec_lo, s8
.LBB59_525:
	s_delay_alu instid0(SALU_CYCLE_1)
	s_or_b32 exec_lo, exec_lo, s5
	v_mov_b32_e32 v125, 0
	ds_load_b32 v125, v125 offset:24
	s_wait_dscnt 0x0
	v_mul_f32_e32 v124, v124, v125
	scratch_store_b32 off, v124, off offset:24
.LBB59_526:
	s_wait_xcnt 0x0
	s_or_b32 exec_lo, exec_lo, s2
	scratch_load_b32 v124, off, off offset:20
	v_cmp_lt_u32_e64 s1, 5, v0
	s_wait_loadcnt 0x0
	ds_store_b32 v1, v124
	s_wait_storecnt_dscnt 0x0
	s_barrier_signal -1
	s_barrier_wait -1
	s_wait_xcnt 0x0
	s_and_saveexec_b32 s2, s1
	s_cbranch_execz .LBB59_536
; %bb.527:
	s_and_not1_b32 vcc_lo, exec_lo, s3
	s_cbranch_vccnz .LBB59_529
; %bb.528:
	scratch_load_b32 v124, v7, off
	ds_load_b32 v125, v1
	s_wait_loadcnt_dscnt 0x0
	v_mul_f32_e32 v124, v124, v125
	s_cbranch_execz .LBB59_530
	s_branch .LBB59_531
.LBB59_529:
                                        ; implicit-def: $vgpr124
.LBB59_530:
	ds_load_b32 v124, v1
.LBB59_531:
	s_and_saveexec_b32 s5, s0
	s_cbranch_execz .LBB59_535
; %bb.532:
	v_add_nc_u32_e32 v125, -6, v0
	s_mov_b32 s0, 24
	s_movk_i32 s9, 0x108
	s_mov_b32 s8, 0
.LBB59_533:                             ; =>This Inner Loop Header: Depth=1
	scratch_load_b32 v126, off, s0
	v_dual_mov_b32 v127, s9 :: v_dual_add_nc_u32 v125, -1, v125
	s_add_co_i32 s9, s9, 4
	s_wait_xcnt 0x0
	s_add_co_i32 s0, s0, 4
	ds_load_b32 v127, v127
	v_cmp_eq_u32_e32 vcc_lo, 0, v125
	s_or_b32 s8, vcc_lo, s8
	s_wait_loadcnt_dscnt 0x0
	v_fmac_f32_e32 v124, v126, v127
	s_and_not1_b32 exec_lo, exec_lo, s8
	s_cbranch_execnz .LBB59_533
; %bb.534:
	s_or_b32 exec_lo, exec_lo, s8
.LBB59_535:
	s_delay_alu instid0(SALU_CYCLE_1)
	s_or_b32 exec_lo, exec_lo, s5
	v_mov_b32_e32 v125, 0
	ds_load_b32 v125, v125 offset:20
	s_wait_dscnt 0x0
	v_mul_f32_e32 v124, v124, v125
	scratch_store_b32 off, v124, off offset:20
.LBB59_536:
	;; [unrolled: 58-line block ×3, first 2 shown]
	s_wait_xcnt 0x0
	s_or_b32 exec_lo, exec_lo, s2
	scratch_load_b32 v124, off, off offset:12
	v_cmp_lt_u32_e64 s2, 3, v0
	s_wait_loadcnt 0x0
	ds_store_b32 v1, v124
	s_wait_storecnt_dscnt 0x0
	s_barrier_signal -1
	s_barrier_wait -1
	s_wait_xcnt 0x0
	s_and_saveexec_b32 s1, s2
	s_cbranch_execz .LBB59_556
; %bb.547:
	s_and_not1_b32 vcc_lo, exec_lo, s3
	s_cbranch_vccnz .LBB59_549
; %bb.548:
	scratch_load_b32 v124, v7, off
	ds_load_b32 v125, v1
	s_wait_loadcnt_dscnt 0x0
	v_mul_f32_e32 v124, v124, v125
	s_cbranch_execz .LBB59_550
	s_branch .LBB59_551
.LBB59_549:
                                        ; implicit-def: $vgpr124
.LBB59_550:
	ds_load_b32 v124, v1
.LBB59_551:
	s_and_saveexec_b32 s5, s0
	s_cbranch_execz .LBB59_555
; %bb.552:
	v_add_nc_u32_e32 v125, -4, v0
	s_movk_i32 s8, 0x100
	s_mov_b32 s0, 0
.LBB59_553:                             ; =>This Inner Loop Header: Depth=1
	scratch_load_b32 v126, off, s4
	v_dual_mov_b32 v127, s8 :: v_dual_add_nc_u32 v125, -1, v125
	s_add_co_i32 s8, s8, 4
	s_wait_xcnt 0x0
	s_add_co_i32 s4, s4, 4
	ds_load_b32 v127, v127
	v_cmp_eq_u32_e32 vcc_lo, 0, v125
	s_or_b32 s0, vcc_lo, s0
	s_wait_loadcnt_dscnt 0x0
	v_fmac_f32_e32 v124, v126, v127
	s_and_not1_b32 exec_lo, exec_lo, s0
	s_cbranch_execnz .LBB59_553
; %bb.554:
	s_or_b32 exec_lo, exec_lo, s0
.LBB59_555:
	s_delay_alu instid0(SALU_CYCLE_1)
	s_or_b32 exec_lo, exec_lo, s5
	v_mov_b32_e32 v125, 0
	ds_load_b32 v125, v125 offset:12
	s_wait_dscnt 0x0
	v_mul_f32_e32 v124, v124, v125
	scratch_store_b32 off, v124, off offset:12
.LBB59_556:
	s_wait_xcnt 0x0
	s_or_b32 exec_lo, exec_lo, s1
	scratch_load_b32 v124, off, off offset:8
	v_cmp_lt_u32_e64 s1, 2, v0
	s_wait_loadcnt 0x0
	ds_store_b32 v1, v124
	s_wait_storecnt_dscnt 0x0
	s_barrier_signal -1
	s_barrier_wait -1
	s_wait_xcnt 0x0
	s_and_saveexec_b32 s0, s1
	s_cbranch_execz .LBB59_566
; %bb.557:
	s_and_not1_b32 vcc_lo, exec_lo, s3
	s_cbranch_vccnz .LBB59_559
; %bb.558:
	scratch_load_b32 v124, v7, off
	ds_load_b32 v125, v1
	s_wait_loadcnt_dscnt 0x0
	v_mul_f32_e32 v124, v124, v125
	s_cbranch_execz .LBB59_560
	s_branch .LBB59_561
.LBB59_559:
                                        ; implicit-def: $vgpr124
.LBB59_560:
	ds_load_b32 v124, v1
.LBB59_561:
	s_and_saveexec_b32 s4, s2
	s_cbranch_execz .LBB59_565
; %bb.562:
	v_add_nc_u32_e32 v125, -3, v0
	s_or_b32 s2, 0, 12
	s_movk_i32 s8, 0xfc
	s_mov_b32 s5, 0
.LBB59_563:                             ; =>This Inner Loop Header: Depth=1
	scratch_load_b32 v126, off, s2
	v_dual_mov_b32 v127, s8 :: v_dual_add_nc_u32 v125, -1, v125
	s_add_co_i32 s8, s8, 4
	s_wait_xcnt 0x0
	s_add_co_i32 s2, s2, 4
	ds_load_b32 v127, v127
	v_cmp_eq_u32_e32 vcc_lo, 0, v125
	s_or_b32 s5, vcc_lo, s5
	s_wait_loadcnt_dscnt 0x0
	v_fmac_f32_e32 v124, v126, v127
	s_and_not1_b32 exec_lo, exec_lo, s5
	s_cbranch_execnz .LBB59_563
; %bb.564:
	s_or_b32 exec_lo, exec_lo, s5
.LBB59_565:
	s_delay_alu instid0(SALU_CYCLE_1)
	s_or_b32 exec_lo, exec_lo, s4
	v_mov_b32_e32 v125, 0
	ds_load_b32 v125, v125 offset:8
	s_wait_dscnt 0x0
	v_mul_f32_e32 v124, v124, v125
	scratch_store_b32 off, v124, off offset:8
.LBB59_566:
	s_wait_xcnt 0x0
	s_or_b32 exec_lo, exec_lo, s0
	scratch_load_b32 v124, off, off offset:4
	v_cmp_lt_u32_e64 s0, 1, v0
	s_wait_loadcnt 0x0
	ds_store_b32 v1, v124
	s_wait_storecnt_dscnt 0x0
	s_barrier_signal -1
	s_barrier_wait -1
	s_wait_xcnt 0x0
	s_and_saveexec_b32 s2, s0
	s_cbranch_execz .LBB59_576
; %bb.567:
	s_and_not1_b32 vcc_lo, exec_lo, s3
	s_cbranch_vccnz .LBB59_569
; %bb.568:
	scratch_load_b32 v124, v7, off
	ds_load_b32 v125, v1
	s_wait_loadcnt_dscnt 0x0
	v_mul_f32_e32 v124, v124, v125
	s_cbranch_execz .LBB59_570
	s_branch .LBB59_571
.LBB59_569:
                                        ; implicit-def: $vgpr124
.LBB59_570:
	ds_load_b32 v124, v1
.LBB59_571:
	s_and_saveexec_b32 s4, s1
	s_cbranch_execz .LBB59_575
; %bb.572:
	v_add_nc_u32_e32 v125, -2, v0
	s_or_b32 s1, 0, 8
	s_movk_i32 s8, 0xf8
	s_mov_b32 s5, 0
.LBB59_573:                             ; =>This Inner Loop Header: Depth=1
	scratch_load_b32 v126, off, s1
	v_dual_mov_b32 v127, s8 :: v_dual_add_nc_u32 v125, -1, v125
	s_add_co_i32 s8, s8, 4
	s_wait_xcnt 0x0
	s_add_co_i32 s1, s1, 4
	ds_load_b32 v127, v127
	v_cmp_eq_u32_e32 vcc_lo, 0, v125
	s_or_b32 s5, vcc_lo, s5
	s_wait_loadcnt_dscnt 0x0
	v_fmac_f32_e32 v124, v126, v127
	s_and_not1_b32 exec_lo, exec_lo, s5
	s_cbranch_execnz .LBB59_573
; %bb.574:
	s_or_b32 exec_lo, exec_lo, s5
.LBB59_575:
	s_delay_alu instid0(SALU_CYCLE_1)
	s_or_b32 exec_lo, exec_lo, s4
	v_mov_b32_e32 v125, 0
	ds_load_b32 v125, v125 offset:4
	s_wait_dscnt 0x0
	v_mul_f32_e32 v124, v124, v125
	scratch_store_b32 off, v124, off offset:4
.LBB59_576:
	s_wait_xcnt 0x0
	s_or_b32 exec_lo, exec_lo, s2
	scratch_load_b32 v124, off, off
	s_mov_b32 s1, 0
	s_mov_b32 s2, exec_lo
	s_wait_loadcnt 0x0
	ds_store_b32 v1, v124
	s_wait_storecnt_dscnt 0x0
	s_barrier_signal -1
	s_barrier_wait -1
	s_wait_xcnt 0x0
	v_cmpx_ne_u32_e32 0, v0
	s_cbranch_execz .LBB59_586
; %bb.577:
	s_and_not1_b32 vcc_lo, exec_lo, s3
	s_cbranch_vccnz .LBB59_579
; %bb.578:
	scratch_load_b32 v124, v7, off
	ds_load_b32 v125, v1
	s_wait_loadcnt_dscnt 0x0
	v_mul_f32_e32 v124, v124, v125
	s_cbranch_execz .LBB59_580
	s_branch .LBB59_581
.LBB59_579:
                                        ; implicit-def: $vgpr124
.LBB59_580:
	ds_load_b32 v124, v1
.LBB59_581:
	s_and_saveexec_b32 s4, s0
	s_cbranch_execz .LBB59_585
; %bb.582:
	v_add_nc_u32_e32 v125, -1, v0
	s_or_b32 s0, 0, 4
	s_movk_i32 s8, 0xf4
	s_mov_b32 s5, 0
.LBB59_583:                             ; =>This Inner Loop Header: Depth=1
	scratch_load_b32 v126, off, s0
	v_dual_mov_b32 v127, s8 :: v_dual_add_nc_u32 v125, -1, v125
	s_add_co_i32 s8, s8, 4
	s_wait_xcnt 0x0
	s_add_co_i32 s0, s0, 4
	ds_load_b32 v127, v127
	v_cmp_eq_u32_e32 vcc_lo, 0, v125
	s_or_b32 s5, vcc_lo, s5
	s_wait_loadcnt_dscnt 0x0
	v_fmac_f32_e32 v124, v126, v127
	s_and_not1_b32 exec_lo, exec_lo, s5
	s_cbranch_execnz .LBB59_583
; %bb.584:
	s_or_b32 exec_lo, exec_lo, s5
.LBB59_585:
	s_delay_alu instid0(SALU_CYCLE_1)
	s_or_b32 exec_lo, exec_lo, s4
	v_mov_b32_e32 v125, 0
	ds_load_b32 v125, v125
	s_wait_dscnt 0x0
	v_mul_f32_e32 v124, v124, v125
	scratch_store_b32 off, v124, off
.LBB59_586:
	s_wait_xcnt 0x0
	s_or_b32 exec_lo, exec_lo, s2
.LBB59_587:
	v_lshl_add_u64 v[144:145], v[8:9], 2, s[6:7]
	v_lshl_add_u64 v[146:147], v[10:11], 2, s[6:7]
	;; [unrolled: 1-line block ×58, first 2 shown]
	s_and_b32 vcc_lo, exec_lo, s1
	s_cbranch_vccz .LBB59_1169
; %bb.588:
	scratch_load_b32 v100, off, off offset:4
	v_cmp_eq_u32_e64 s0, 0, v0
	s_wait_loadcnt 0x0
	ds_store_b32 v1, v100
	s_wait_storecnt_dscnt 0x0
	s_barrier_signal -1
	s_barrier_wait -1
	s_wait_xcnt 0x0
	s_and_saveexec_b32 s1, s0
	s_cbranch_execz .LBB59_594
; %bb.589:
	s_and_b32 vcc_lo, exec_lo, s3
	s_cbranch_vccz .LBB59_591
; %bb.590:
	scratch_load_b32 v100, v7, off
	ds_load_b32 v101, v1
	s_wait_loadcnt_dscnt 0x0
	v_mul_f32_e32 v100, v100, v101
	s_cbranch_execz .LBB59_592
	s_branch .LBB59_593
.LBB59_591:
                                        ; implicit-def: $vgpr100
.LBB59_592:
	ds_load_b32 v100, v1
.LBB59_593:
	v_mov_b32_e32 v101, 0
	ds_load_b32 v101, v101 offset:4
	s_wait_dscnt 0x0
	v_mul_f32_e32 v100, v100, v101
	scratch_store_b32 off, v100, off offset:4
.LBB59_594:
	s_wait_xcnt 0x0
	s_or_b32 exec_lo, exec_lo, s1
	scratch_load_b32 v101, off, off offset:8
	v_cndmask_b32_e64 v100, 0, 1, s3
	s_mov_b32 s1, exec_lo
	s_wait_loadcnt 0x0
	ds_store_b32 v1, v101
	s_wait_storecnt_dscnt 0x0
	s_barrier_signal -1
	s_barrier_wait -1
	s_wait_xcnt 0x0
	v_cmpx_gt_u32_e32 2, v0
	s_cbranch_execz .LBB59_600
; %bb.595:
	s_and_not1_b32 vcc_lo, exec_lo, s3
	s_cbranch_vccnz .LBB59_597
; %bb.596:
	scratch_load_b32 v101, v7, off
	ds_load_b32 v102, v1
	s_wait_loadcnt_dscnt 0x0
	v_mul_f32_e32 v101, v101, v102
	s_cbranch_execz .LBB59_598
	s_branch .LBB59_599
.LBB59_597:
                                        ; implicit-def: $vgpr101
.LBB59_598:
	ds_load_b32 v101, v1
.LBB59_599:
	scratch_load_b32 v104, off, off offset:4
	v_mov_b32_e32 v102, 0
	ds_load_2addr_b32 v[102:103], v102 offset0:2 offset1:61
	s_wait_loadcnt_dscnt 0x0
	v_fma_f32 v103, v104, v103, v101
	s_delay_alu instid0(VALU_DEP_1) | instskip(NEXT) | instid1(VALU_DEP_1)
	v_cndmask_b32_e64 v101, v101, v103, s0
	v_mul_f32_e32 v101, v101, v102
	scratch_store_b32 off, v101, off offset:8
.LBB59_600:
	s_wait_xcnt 0x0
	s_or_b32 exec_lo, exec_lo, s1
	scratch_load_b32 v101, off, off offset:12
	s_mov_b32 s1, exec_lo
	s_wait_loadcnt 0x0
	ds_store_b32 v1, v101
	s_wait_storecnt_dscnt 0x0
	s_barrier_signal -1
	s_barrier_wait -1
	s_wait_xcnt 0x0
	v_cmpx_gt_u32_e32 3, v0
	s_cbranch_execz .LBB59_608
; %bb.601:
	v_cmp_ne_u32_e32 vcc_lo, 1, v100
	s_cbranch_vccnz .LBB59_603
; %bb.602:
	scratch_load_b32 v101, v7, off
	ds_load_b32 v102, v1
	s_wait_loadcnt_dscnt 0x0
	v_mul_f32_e32 v101, v101, v102
	s_cbranch_execz .LBB59_604
	s_branch .LBB59_605
.LBB59_603:
                                        ; implicit-def: $vgpr101
.LBB59_604:
	ds_load_b32 v101, v1
.LBB59_605:
	s_mov_b32 s2, exec_lo
	v_cmpx_ne_u32_e32 2, v0
	s_cbranch_execz .LBB59_607
; %bb.606:
	scratch_load_b32 v102, v7, off offset:4
	scratch_load_b32 v103, off, off offset:8
	ds_load_b32 v104, v1 offset:4
	v_mov_b32_e32 v105, 0
	ds_load_b32 v105, v105 offset:248
	s_wait_loadcnt_dscnt 0x101
	v_fmac_f32_e32 v101, v102, v104
	s_wait_loadcnt_dscnt 0x0
	s_delay_alu instid0(VALU_DEP_1) | instskip(NEXT) | instid1(VALU_DEP_1)
	v_fma_f32 v102, v103, v105, v101
	v_cndmask_b32_e64 v101, v101, v102, s0
.LBB59_607:
	s_or_b32 exec_lo, exec_lo, s2
	v_mov_b32_e32 v102, 0
	ds_load_b32 v102, v102 offset:12
	s_wait_dscnt 0x0
	v_mul_f32_e32 v101, v101, v102
	scratch_store_b32 off, v101, off offset:12
.LBB59_608:
	s_wait_xcnt 0x0
	s_or_b32 exec_lo, exec_lo, s1
	scratch_load_b32 v101, off, off offset:16
	s_mov_b32 s0, exec_lo
	s_wait_loadcnt 0x0
	ds_store_b32 v1, v101
	s_wait_storecnt_dscnt 0x0
	s_barrier_signal -1
	s_barrier_wait -1
	s_wait_xcnt 0x0
	v_cmpx_gt_u32_e32 4, v0
	s_cbranch_execz .LBB59_618
; %bb.609:
	v_cmp_ne_u32_e32 vcc_lo, 1, v100
	s_cbranch_vccnz .LBB59_611
; %bb.610:
	scratch_load_b32 v101, v7, off
	ds_load_b32 v102, v1
	s_wait_loadcnt_dscnt 0x0
	v_mul_f32_e32 v101, v101, v102
	s_cbranch_execz .LBB59_612
	s_branch .LBB59_613
.LBB59_611:
                                        ; implicit-def: $vgpr101
.LBB59_612:
	ds_load_b32 v101, v1
.LBB59_613:
	s_mov_b32 s1, exec_lo
	v_cmpx_ne_u32_e32 3, v0
	s_cbranch_execz .LBB59_617
; %bb.614:
	v_add_nc_u32_e32 v102, 0xf4, v6
	v_add3_u32 v103, 0, v6, 4
	v_mov_b32_e32 v104, v0
	s_mov_b32 s2, 0
.LBB59_615:                             ; =>This Inner Loop Header: Depth=1
	scratch_load_b32 v105, v103, off
	ds_load_b32 v106, v102
	v_dual_add_nc_u32 v104, 1, v104 :: v_dual_add_nc_u32 v102, 4, v102
	s_wait_xcnt 0x0
	v_add_nc_u32_e32 v103, 4, v103
	s_delay_alu instid0(VALU_DEP_2)
	v_cmp_lt_u32_e32 vcc_lo, 2, v104
	s_or_b32 s2, vcc_lo, s2
	s_wait_loadcnt_dscnt 0x0
	v_fmac_f32_e32 v101, v105, v106
	s_and_not1_b32 exec_lo, exec_lo, s2
	s_cbranch_execnz .LBB59_615
; %bb.616:
	s_or_b32 exec_lo, exec_lo, s2
.LBB59_617:
	s_delay_alu instid0(SALU_CYCLE_1)
	s_or_b32 exec_lo, exec_lo, s1
	v_mov_b32_e32 v102, 0
	ds_load_b32 v102, v102 offset:16
	s_wait_dscnt 0x0
	v_mul_f32_e32 v101, v101, v102
	scratch_store_b32 off, v101, off offset:16
.LBB59_618:
	s_wait_xcnt 0x0
	s_or_b32 exec_lo, exec_lo, s0
	scratch_load_b32 v101, off, off offset:20
	s_mov_b32 s0, exec_lo
	s_wait_loadcnt 0x0
	ds_store_b32 v1, v101
	s_wait_storecnt_dscnt 0x0
	s_barrier_signal -1
	s_barrier_wait -1
	s_wait_xcnt 0x0
	v_cmpx_gt_u32_e32 5, v0
	s_cbranch_execz .LBB59_628
; %bb.619:
	v_cmp_ne_u32_e32 vcc_lo, 1, v100
	s_cbranch_vccnz .LBB59_621
; %bb.620:
	scratch_load_b32 v101, v7, off
	ds_load_b32 v102, v1
	s_wait_loadcnt_dscnt 0x0
	v_mul_f32_e32 v101, v101, v102
	s_cbranch_execz .LBB59_622
	s_branch .LBB59_623
.LBB59_621:
                                        ; implicit-def: $vgpr101
.LBB59_622:
	ds_load_b32 v101, v1
.LBB59_623:
	s_mov_b32 s1, exec_lo
	v_cmpx_ne_u32_e32 4, v0
	s_cbranch_execz .LBB59_627
; %bb.624:
	v_add_nc_u32_e32 v102, 0xf4, v6
	v_add3_u32 v103, 0, v6, 4
	v_mov_b32_e32 v104, v0
	s_mov_b32 s2, 0
.LBB59_625:                             ; =>This Inner Loop Header: Depth=1
	scratch_load_b32 v105, v103, off
	ds_load_b32 v106, v102
	v_dual_add_nc_u32 v104, 1, v104 :: v_dual_add_nc_u32 v102, 4, v102
	s_wait_xcnt 0x0
	v_add_nc_u32_e32 v103, 4, v103
	s_delay_alu instid0(VALU_DEP_2)
	v_cmp_lt_u32_e32 vcc_lo, 3, v104
	s_or_b32 s2, vcc_lo, s2
	s_wait_loadcnt_dscnt 0x0
	v_fmac_f32_e32 v101, v105, v106
	s_and_not1_b32 exec_lo, exec_lo, s2
	s_cbranch_execnz .LBB59_625
; %bb.626:
	s_or_b32 exec_lo, exec_lo, s2
.LBB59_627:
	s_delay_alu instid0(SALU_CYCLE_1)
	s_or_b32 exec_lo, exec_lo, s1
	v_mov_b32_e32 v102, 0
	ds_load_b32 v102, v102 offset:20
	s_wait_dscnt 0x0
	v_mul_f32_e32 v101, v101, v102
	scratch_store_b32 off, v101, off offset:20
.LBB59_628:
	;; [unrolled: 59-line block ×39, first 2 shown]
	s_wait_xcnt 0x0
	s_or_b32 exec_lo, exec_lo, s0
	scratch_load_b32 v101, off, off offset:172
	s_mov_b32 s0, exec_lo
	s_wait_loadcnt 0x0
	ds_store_b32 v1, v101
	s_wait_storecnt_dscnt 0x0
	s_barrier_signal -1
	s_barrier_wait -1
	s_wait_xcnt 0x0
	v_cmpx_gt_u32_e32 43, v0
	s_cbranch_execz .LBB59_1008
; %bb.999:
	v_cmp_ne_u32_e32 vcc_lo, 1, v100
	s_cbranch_vccnz .LBB59_1001
; %bb.1000:
	scratch_load_b32 v101, v7, off
	ds_load_b32 v102, v1
	s_wait_loadcnt_dscnt 0x0
	v_mul_f32_e32 v101, v101, v102
	s_cbranch_execz .LBB59_1002
	s_branch .LBB59_1003
.LBB59_1001:
                                        ; implicit-def: $vgpr101
.LBB59_1002:
	ds_load_b32 v101, v1
.LBB59_1003:
	s_mov_b32 s1, exec_lo
	v_cmpx_ne_u32_e32 42, v0
	s_cbranch_execz .LBB59_1007
; %bb.1004:
	v_add_nc_u32_e32 v102, 0xf4, v6
	v_add3_u32 v103, 0, v6, 4
	v_mov_b32_e32 v104, v0
	s_mov_b32 s2, 0
.LBB59_1005:                            ; =>This Inner Loop Header: Depth=1
	scratch_load_b32 v105, v103, off
	ds_load_b32 v106, v102
	v_dual_add_nc_u32 v104, 1, v104 :: v_dual_add_nc_u32 v102, 4, v102
	s_wait_xcnt 0x0
	v_add_nc_u32_e32 v103, 4, v103
	s_delay_alu instid0(VALU_DEP_2)
	v_cmp_lt_u32_e32 vcc_lo, 41, v104
	s_or_b32 s2, vcc_lo, s2
	s_wait_loadcnt_dscnt 0x0
	v_fmac_f32_e32 v101, v105, v106
	s_and_not1_b32 exec_lo, exec_lo, s2
	s_cbranch_execnz .LBB59_1005
; %bb.1006:
	s_or_b32 exec_lo, exec_lo, s2
.LBB59_1007:
	s_delay_alu instid0(SALU_CYCLE_1)
	s_or_b32 exec_lo, exec_lo, s1
	v_mov_b32_e32 v102, 0
	ds_load_b32 v102, v102 offset:172
	s_wait_dscnt 0x0
	v_mul_f32_e32 v101, v101, v102
	scratch_store_b32 off, v101, off offset:172
.LBB59_1008:
	s_wait_xcnt 0x0
	s_or_b32 exec_lo, exec_lo, s0
	scratch_load_b32 v101, off, off offset:176
	s_mov_b32 s0, exec_lo
	s_wait_loadcnt 0x0
	ds_store_b32 v1, v101
	s_wait_storecnt_dscnt 0x0
	s_barrier_signal -1
	s_barrier_wait -1
	s_wait_xcnt 0x0
	v_cmpx_gt_u32_e32 44, v0
	s_cbranch_execz .LBB59_1018
; %bb.1009:
	v_cmp_ne_u32_e32 vcc_lo, 1, v100
	s_cbranch_vccnz .LBB59_1011
; %bb.1010:
	scratch_load_b32 v101, v7, off
	ds_load_b32 v102, v1
	s_wait_loadcnt_dscnt 0x0
	v_mul_f32_e32 v101, v101, v102
	s_cbranch_execz .LBB59_1012
	s_branch .LBB59_1013
.LBB59_1011:
                                        ; implicit-def: $vgpr101
.LBB59_1012:
	ds_load_b32 v101, v1
.LBB59_1013:
	s_mov_b32 s1, exec_lo
	v_cmpx_ne_u32_e32 43, v0
	s_cbranch_execz .LBB59_1017
; %bb.1014:
	v_add_nc_u32_e32 v102, 0xf4, v6
	v_add3_u32 v103, 0, v6, 4
	v_mov_b32_e32 v104, v0
	s_mov_b32 s2, 0
.LBB59_1015:                            ; =>This Inner Loop Header: Depth=1
	scratch_load_b32 v105, v103, off
	ds_load_b32 v106, v102
	v_dual_add_nc_u32 v104, 1, v104 :: v_dual_add_nc_u32 v102, 4, v102
	s_wait_xcnt 0x0
	v_add_nc_u32_e32 v103, 4, v103
	s_delay_alu instid0(VALU_DEP_2)
	v_cmp_lt_u32_e32 vcc_lo, 42, v104
	s_or_b32 s2, vcc_lo, s2
	s_wait_loadcnt_dscnt 0x0
	v_fmac_f32_e32 v101, v105, v106
	s_and_not1_b32 exec_lo, exec_lo, s2
	s_cbranch_execnz .LBB59_1015
; %bb.1016:
	s_or_b32 exec_lo, exec_lo, s2
.LBB59_1017:
	s_delay_alu instid0(SALU_CYCLE_1)
	s_or_b32 exec_lo, exec_lo, s1
	v_mov_b32_e32 v102, 0
	ds_load_b32 v102, v102 offset:176
	s_wait_dscnt 0x0
	v_mul_f32_e32 v101, v101, v102
	scratch_store_b32 off, v101, off offset:176
.LBB59_1018:
	;; [unrolled: 59-line block ×15, first 2 shown]
	s_wait_xcnt 0x0
	s_or_b32 exec_lo, exec_lo, s0
	scratch_load_b32 v101, off, off offset:232
	v_cmp_gt_u32_e64 s0, 58, v0
	s_wait_loadcnt 0x0
	ds_store_b32 v1, v101
	s_wait_storecnt_dscnt 0x0
	s_barrier_signal -1
	s_barrier_wait -1
	s_wait_xcnt 0x0
	s_and_saveexec_b32 s1, s0
	s_cbranch_execz .LBB59_1158
; %bb.1149:
	v_cmp_ne_u32_e32 vcc_lo, 1, v100
	s_cbranch_vccnz .LBB59_1151
; %bb.1150:
	scratch_load_b32 v101, v7, off
	ds_load_b32 v102, v1
	s_wait_loadcnt_dscnt 0x0
	v_mul_f32_e32 v101, v101, v102
	s_cbranch_execz .LBB59_1152
	s_branch .LBB59_1153
.LBB59_1151:
                                        ; implicit-def: $vgpr101
.LBB59_1152:
	ds_load_b32 v101, v1
.LBB59_1153:
	s_mov_b32 s2, exec_lo
	v_cmpx_ne_u32_e32 57, v0
	s_cbranch_execz .LBB59_1157
; %bb.1154:
	v_add_nc_u32_e32 v102, 0xf4, v6
	v_add3_u32 v103, 0, v6, 4
	v_mov_b32_e32 v104, v0
	s_mov_b32 s3, 0
.LBB59_1155:                            ; =>This Inner Loop Header: Depth=1
	scratch_load_b32 v105, v103, off
	ds_load_b32 v106, v102
	v_dual_add_nc_u32 v104, 1, v104 :: v_dual_add_nc_u32 v102, 4, v102
	s_wait_xcnt 0x0
	v_add_nc_u32_e32 v103, 4, v103
	s_delay_alu instid0(VALU_DEP_2)
	v_cmp_lt_u32_e32 vcc_lo, 56, v104
	s_or_b32 s3, vcc_lo, s3
	s_wait_loadcnt_dscnt 0x0
	v_fmac_f32_e32 v101, v105, v106
	s_and_not1_b32 exec_lo, exec_lo, s3
	s_cbranch_execnz .LBB59_1155
; %bb.1156:
	s_or_b32 exec_lo, exec_lo, s3
.LBB59_1157:
	s_delay_alu instid0(SALU_CYCLE_1)
	s_or_b32 exec_lo, exec_lo, s2
	v_mov_b32_e32 v102, 0
	ds_load_b32 v102, v102 offset:232
	s_wait_dscnt 0x0
	v_mul_f32_e32 v101, v101, v102
	scratch_store_b32 off, v101, off offset:232
.LBB59_1158:
	s_wait_xcnt 0x0
	s_or_b32 exec_lo, exec_lo, s1
	scratch_load_b32 v101, off, off offset:236
	s_mov_b32 s1, exec_lo
	s_wait_loadcnt 0x0
	ds_store_b32 v1, v101
	s_wait_storecnt_dscnt 0x0
	s_barrier_signal -1
	s_barrier_wait -1
	s_wait_xcnt 0x0
	v_cmpx_ne_u32_e32 59, v0
	s_cbranch_execz .LBB59_1168
; %bb.1159:
	v_cmp_ne_u32_e32 vcc_lo, 1, v100
	s_cbranch_vccnz .LBB59_1161
; %bb.1160:
	scratch_load_b32 v7, v7, off
	ds_load_b32 v100, v1
	s_wait_loadcnt_dscnt 0x0
	v_mul_f32_e32 v7, v7, v100
	s_cbranch_execz .LBB59_1162
	s_branch .LBB59_1163
.LBB59_1161:
                                        ; implicit-def: $vgpr7
.LBB59_1162:
	ds_load_b32 v7, v1
.LBB59_1163:
	s_and_saveexec_b32 s2, s0
	s_cbranch_execz .LBB59_1167
; %bb.1164:
	v_add_nc_u32_e32 v1, 0xf4, v6
	v_add3_u32 v6, 0, v6, 4
	s_mov_b32 s0, 0
.LBB59_1165:                            ; =>This Inner Loop Header: Depth=1
	scratch_load_b32 v100, v6, off
	ds_load_b32 v101, v1
	v_dual_add_nc_u32 v0, 1, v0 :: v_dual_add_nc_u32 v1, 4, v1
	s_wait_xcnt 0x0
	v_add_nc_u32_e32 v6, 4, v6
	s_delay_alu instid0(VALU_DEP_2)
	v_cmp_lt_u32_e32 vcc_lo, 57, v0
	s_or_b32 s0, vcc_lo, s0
	s_wait_loadcnt_dscnt 0x0
	v_fmac_f32_e32 v7, v100, v101
	s_and_not1_b32 exec_lo, exec_lo, s0
	s_cbranch_execnz .LBB59_1165
; %bb.1166:
	s_or_b32 exec_lo, exec_lo, s0
.LBB59_1167:
	s_delay_alu instid0(SALU_CYCLE_1)
	s_or_b32 exec_lo, exec_lo, s2
	v_mov_b32_e32 v0, 0
	ds_load_b32 v0, v0 offset:236
	s_wait_dscnt 0x0
	v_mul_f32_e32 v0, v7, v0
	scratch_store_b32 off, v0, off offset:236
.LBB59_1168:
	s_wait_xcnt 0x0
	s_or_b32 exec_lo, exec_lo, s1
.LBB59_1169:
	s_clause 0x4
	scratch_load_b128 v[100:103], off, off
	scratch_load_b128 v[104:107], off, off offset:16
	scratch_load_b128 v[108:111], off, off offset:32
	;; [unrolled: 1-line block ×4, first 2 shown]
	s_wait_loadcnt 0x4
	s_clause 0x1
	global_store_b32 v[2:3], v100, off
	global_store_b32 v[4:5], v101, off
	scratch_load_b128 v[0:3], off, off offset:80
	s_clause 0x1
	global_store_b32 v[144:145], v102, off
	global_store_b32 v[146:147], v103, off
	s_clause 0x1
	scratch_load_b128 v[4:7], off, off offset:96
	scratch_load_b128 v[100:103], off, off offset:112
	s_wait_loadcnt 0x6
	s_clause 0x1
	global_store_b32 v[140:141], v104, off
	global_store_b32 v[142:143], v105, off
	scratch_load_b128 v[120:123], off, off offset:128
	s_clause 0x1
	global_store_b32 v[136:137], v106, off
	global_store_b32 v[138:139], v107, off
	s_clause 0x1
	scratch_load_b128 v[104:107], off, off offset:144
	scratch_load_b128 v[136:139], off, off offset:160
	;; [unrolled: 11-line block ×3, first 2 shown]
	s_wait_loadcnt 0xa
	s_clause 0x1
	global_store_b32 v[124:125], v112, off
	global_store_b32 v[126:127], v113, off
	scratch_load_b128 v[124:127], off, off offset:224
	s_clause 0x1
	global_store_b32 v[8:9], v114, off
	global_store_b32 v[10:11], v115, off
	s_wait_loadcnt 0xa
	s_clause 0x3
	global_store_b32 v[12:13], v116, off
	global_store_b32 v[14:15], v117, off
	global_store_b32 v[16:17], v118, off
	global_store_b32 v[18:19], v119, off
	s_wait_loadcnt 0x9
	s_clause 0x3
	global_store_b32 v[20:21], v0, off
	global_store_b32 v[22:23], v1, off
	;; [unrolled: 6-line block ×11, first 2 shown]
	global_store_b32 v[96:97], v126, off
	global_store_b32 v[98:99], v127, off
.LBB59_1170:
	s_sendmsg sendmsg(MSG_DEALLOC_VGPRS)
	s_endpgm
	.section	.rodata,"a",@progbits
	.p2align	6, 0x0
	.amdhsa_kernel _ZN9rocsolver6v33100L18trti2_kernel_smallILi60EfPfEEv13rocblas_fill_17rocblas_diagonal_T1_iil
		.amdhsa_group_segment_fixed_size 480
		.amdhsa_private_segment_fixed_size 256
		.amdhsa_kernarg_size 32
		.amdhsa_user_sgpr_count 2
		.amdhsa_user_sgpr_dispatch_ptr 0
		.amdhsa_user_sgpr_queue_ptr 0
		.amdhsa_user_sgpr_kernarg_segment_ptr 1
		.amdhsa_user_sgpr_dispatch_id 0
		.amdhsa_user_sgpr_kernarg_preload_length 0
		.amdhsa_user_sgpr_kernarg_preload_offset 0
		.amdhsa_user_sgpr_private_segment_size 0
		.amdhsa_wavefront_size32 1
		.amdhsa_uses_dynamic_stack 0
		.amdhsa_enable_private_segment 1
		.amdhsa_system_sgpr_workgroup_id_x 1
		.amdhsa_system_sgpr_workgroup_id_y 0
		.amdhsa_system_sgpr_workgroup_id_z 0
		.amdhsa_system_sgpr_workgroup_info 0
		.amdhsa_system_vgpr_workitem_id 0
		.amdhsa_next_free_vgpr 148
		.amdhsa_next_free_sgpr 23
		.amdhsa_named_barrier_count 0
		.amdhsa_reserve_vcc 1
		.amdhsa_float_round_mode_32 0
		.amdhsa_float_round_mode_16_64 0
		.amdhsa_float_denorm_mode_32 3
		.amdhsa_float_denorm_mode_16_64 3
		.amdhsa_fp16_overflow 0
		.amdhsa_memory_ordered 1
		.amdhsa_forward_progress 1
		.amdhsa_inst_pref_size 255
		.amdhsa_round_robin_scheduling 0
		.amdhsa_exception_fp_ieee_invalid_op 0
		.amdhsa_exception_fp_denorm_src 0
		.amdhsa_exception_fp_ieee_div_zero 0
		.amdhsa_exception_fp_ieee_overflow 0
		.amdhsa_exception_fp_ieee_underflow 0
		.amdhsa_exception_fp_ieee_inexact 0
		.amdhsa_exception_int_div_zero 0
	.end_amdhsa_kernel
	.section	.text._ZN9rocsolver6v33100L18trti2_kernel_smallILi60EfPfEEv13rocblas_fill_17rocblas_diagonal_T1_iil,"axG",@progbits,_ZN9rocsolver6v33100L18trti2_kernel_smallILi60EfPfEEv13rocblas_fill_17rocblas_diagonal_T1_iil,comdat
.Lfunc_end59:
	.size	_ZN9rocsolver6v33100L18trti2_kernel_smallILi60EfPfEEv13rocblas_fill_17rocblas_diagonal_T1_iil, .Lfunc_end59-_ZN9rocsolver6v33100L18trti2_kernel_smallILi60EfPfEEv13rocblas_fill_17rocblas_diagonal_T1_iil
                                        ; -- End function
	.set _ZN9rocsolver6v33100L18trti2_kernel_smallILi60EfPfEEv13rocblas_fill_17rocblas_diagonal_T1_iil.num_vgpr, 148
	.set _ZN9rocsolver6v33100L18trti2_kernel_smallILi60EfPfEEv13rocblas_fill_17rocblas_diagonal_T1_iil.num_agpr, 0
	.set _ZN9rocsolver6v33100L18trti2_kernel_smallILi60EfPfEEv13rocblas_fill_17rocblas_diagonal_T1_iil.numbered_sgpr, 23
	.set _ZN9rocsolver6v33100L18trti2_kernel_smallILi60EfPfEEv13rocblas_fill_17rocblas_diagonal_T1_iil.num_named_barrier, 0
	.set _ZN9rocsolver6v33100L18trti2_kernel_smallILi60EfPfEEv13rocblas_fill_17rocblas_diagonal_T1_iil.private_seg_size, 256
	.set _ZN9rocsolver6v33100L18trti2_kernel_smallILi60EfPfEEv13rocblas_fill_17rocblas_diagonal_T1_iil.uses_vcc, 1
	.set _ZN9rocsolver6v33100L18trti2_kernel_smallILi60EfPfEEv13rocblas_fill_17rocblas_diagonal_T1_iil.uses_flat_scratch, 1
	.set _ZN9rocsolver6v33100L18trti2_kernel_smallILi60EfPfEEv13rocblas_fill_17rocblas_diagonal_T1_iil.has_dyn_sized_stack, 0
	.set _ZN9rocsolver6v33100L18trti2_kernel_smallILi60EfPfEEv13rocblas_fill_17rocblas_diagonal_T1_iil.has_recursion, 0
	.set _ZN9rocsolver6v33100L18trti2_kernel_smallILi60EfPfEEv13rocblas_fill_17rocblas_diagonal_T1_iil.has_indirect_call, 0
	.section	.AMDGPU.csdata,"",@progbits
; Kernel info:
; codeLenInByte = 33432
; TotalNumSgprs: 25
; NumVgprs: 148
; ScratchSize: 256
; MemoryBound: 0
; FloatMode: 240
; IeeeMode: 1
; LDSByteSize: 480 bytes/workgroup (compile time only)
; SGPRBlocks: 0
; VGPRBlocks: 9
; NumSGPRsForWavesPerEU: 25
; NumVGPRsForWavesPerEU: 148
; NamedBarCnt: 0
; Occupancy: 6
; WaveLimiterHint : 0
; COMPUTE_PGM_RSRC2:SCRATCH_EN: 1
; COMPUTE_PGM_RSRC2:USER_SGPR: 2
; COMPUTE_PGM_RSRC2:TRAP_HANDLER: 0
; COMPUTE_PGM_RSRC2:TGID_X_EN: 1
; COMPUTE_PGM_RSRC2:TGID_Y_EN: 0
; COMPUTE_PGM_RSRC2:TGID_Z_EN: 0
; COMPUTE_PGM_RSRC2:TIDIG_COMP_CNT: 0
	.section	.text._ZN9rocsolver6v33100L18trti2_kernel_smallILi61EfPfEEv13rocblas_fill_17rocblas_diagonal_T1_iil,"axG",@progbits,_ZN9rocsolver6v33100L18trti2_kernel_smallILi61EfPfEEv13rocblas_fill_17rocblas_diagonal_T1_iil,comdat
	.globl	_ZN9rocsolver6v33100L18trti2_kernel_smallILi61EfPfEEv13rocblas_fill_17rocblas_diagonal_T1_iil ; -- Begin function _ZN9rocsolver6v33100L18trti2_kernel_smallILi61EfPfEEv13rocblas_fill_17rocblas_diagonal_T1_iil
	.p2align	8
	.type	_ZN9rocsolver6v33100L18trti2_kernel_smallILi61EfPfEEv13rocblas_fill_17rocblas_diagonal_T1_iil,@function
_ZN9rocsolver6v33100L18trti2_kernel_smallILi61EfPfEEv13rocblas_fill_17rocblas_diagonal_T1_iil: ; @_ZN9rocsolver6v33100L18trti2_kernel_smallILi61EfPfEEv13rocblas_fill_17rocblas_diagonal_T1_iil
; %bb.0:
	s_mov_b32 s2, exec_lo
	v_cmpx_gt_u32_e32 61, v0
	s_cbranch_execz .LBB60_1190
; %bb.1:
	s_load_b256 s[4:11], s[0:1], 0x0
	s_wait_xcnt 0x0
	s_bfe_u32 s0, ttmp6, 0x4000c
	s_and_b32 s1, ttmp6, 15
	s_add_co_i32 s0, s0, 1
	s_getreg_b32 s2, hwreg(HW_REG_IB_STS2, 6, 4)
	s_mul_i32 s0, ttmp9, s0
	v_dual_mov_b32 v7, 0 :: v_dual_lshlrev_b32 v6, 2, v0
	s_add_co_i32 s0, s1, s0
	s_wait_kmcnt 0x0
	v_add3_u32 v8, s9, s9, v0
	s_ashr_i32 s1, s8, 31
	s_cmp_eq_u32 s2, 0
	s_cselect_b32 s2, ttmp9, s0
	s_delay_alu instid0(VALU_DEP_1)
	v_add_nc_u32_e32 v10, s9, v8
	s_ashr_i32 s3, s2, 31
	s_mov_b32 s0, s8
	s_mul_u64 s[2:3], s[10:11], s[2:3]
	s_lshl_b64 s[0:1], s[0:1], 2
	v_add_nc_u32_e32 v12, s9, v10
	s_lshl_b64 s[2:3], s[2:3], 2
	v_ashrrev_i32_e32 v9, 31, v8
	s_add_nc_u64 s[2:3], s[6:7], s[2:3]
	s_delay_alu instid0(VALU_DEP_2)
	v_add_nc_u32_e32 v14, s9, v12
	s_add_nc_u64 s[6:7], s[2:3], s[0:1]
	s_mov_b32 s0, s9
	v_add_nc_u64_e32 v[2:3], s[6:7], v[6:7]
	s_ashr_i32 s1, s9, 31
	v_add_nc_u32_e32 v16, s9, v14
	s_cmp_lg_u32 s5, 0x84
	v_ashrrev_i32_e32 v11, 31, v10
	s_cselect_b32 s3, -1, 0
	s_cmp_eq_u32 s5, 0x84
	v_add_nc_u32_e32 v18, s9, v16
	v_lshl_add_u64 v[4:5], s[0:1], 2, v[2:3]
	s_delay_alu instid0(VALU_DEP_2)
	v_dual_ashrrev_i32 v17, 31, v16 :: v_dual_ashrrev_i32 v19, 31, v18
	v_add_nc_u32_e32 v20, s9, v18
	s_clause 0x7
	global_load_b32 v100, v0, s[6:7] scale_offset
	global_load_b32 v101, v[4:5], off
	global_load_b32 v102, v8, s[6:7] scale_offset
	global_load_b32 v103, v10, s[6:7] scale_offset
	;; [unrolled: 1-line block ×6, first 2 shown]
	v_dual_ashrrev_i32 v13, 31, v12 :: v_dual_ashrrev_i32 v15, 31, v14
	v_add_nc_u32_e32 v22, s9, v20
	s_delay_alu instid0(VALU_DEP_1) | instskip(NEXT) | instid1(VALU_DEP_1)
	v_add_nc_u32_e32 v24, s9, v22
	v_add_nc_u32_e32 v26, s9, v24
	s_delay_alu instid0(VALU_DEP_1) | instskip(NEXT) | instid1(VALU_DEP_1)
	v_dual_add_nc_u32 v28, s9, v26 :: v_dual_ashrrev_i32 v21, 31, v20
	v_dual_ashrrev_i32 v23, 31, v22 :: v_dual_add_nc_u32 v30, s9, v28
	s_delay_alu instid0(VALU_DEP_1)
	v_dual_ashrrev_i32 v29, 31, v28 :: v_dual_ashrrev_i32 v31, 31, v30
	v_add_nc_u32_e32 v32, s9, v30
	s_clause 0x3
	global_load_b32 v108, v20, s[6:7] scale_offset
	global_load_b32 v109, v22, s[6:7] scale_offset
	global_load_b32 v110, v24, s[6:7] scale_offset
	global_load_b32 v111, v26, s[6:7] scale_offset
	v_dual_ashrrev_i32 v25, 31, v24 :: v_dual_ashrrev_i32 v27, 31, v26
	v_add_nc_u32_e32 v34, s9, v32
	s_delay_alu instid0(VALU_DEP_1) | instskip(NEXT) | instid1(VALU_DEP_1)
	v_add_nc_u32_e32 v36, s9, v34
	v_add_nc_u32_e32 v38, s9, v36
	s_delay_alu instid0(VALU_DEP_1)
	v_add_nc_u32_e32 v40, s9, v38
	s_clause 0x3
	global_load_b32 v112, v28, s[6:7] scale_offset
	global_load_b32 v113, v30, s[6:7] scale_offset
	;; [unrolled: 1-line block ×4, first 2 shown]
	v_dual_ashrrev_i32 v33, 31, v32 :: v_dual_ashrrev_i32 v35, 31, v34
	v_dual_add_nc_u32 v42, s9, v40 :: v_dual_ashrrev_i32 v41, 31, v40
	s_delay_alu instid0(VALU_DEP_1)
	v_dual_ashrrev_i32 v43, 31, v42 :: v_dual_add_nc_u32 v44, s9, v42
	s_clause 0x3
	global_load_b32 v116, v36, s[6:7] scale_offset
	global_load_b32 v117, v38, s[6:7] scale_offset
	;; [unrolled: 1-line block ×4, first 2 shown]
	v_dual_ashrrev_i32 v37, 31, v36 :: v_dual_ashrrev_i32 v39, 31, v38
	v_add_nc_u32_e32 v46, s9, v44
	s_delay_alu instid0(VALU_DEP_1) | instskip(NEXT) | instid1(VALU_DEP_1)
	v_add_nc_u32_e32 v48, s9, v46
	v_add_nc_u32_e32 v50, s9, v48
	s_delay_alu instid0(VALU_DEP_1) | instskip(NEXT) | instid1(VALU_DEP_1)
	v_dual_add_nc_u32 v52, s9, v50 :: v_dual_ashrrev_i32 v45, 31, v44
	v_dual_ashrrev_i32 v47, 31, v46 :: v_dual_add_nc_u32 v54, s9, v52
	s_delay_alu instid0(VALU_DEP_1)
	v_dual_ashrrev_i32 v53, 31, v52 :: v_dual_ashrrev_i32 v55, 31, v54
	v_add_nc_u32_e32 v56, s9, v54
	s_clause 0x3
	global_load_b32 v120, v44, s[6:7] scale_offset
	global_load_b32 v121, v46, s[6:7] scale_offset
	;; [unrolled: 1-line block ×4, first 2 shown]
	v_dual_ashrrev_i32 v49, 31, v48 :: v_dual_ashrrev_i32 v51, 31, v50
	v_add_nc_u32_e32 v58, s9, v56
	s_delay_alu instid0(VALU_DEP_1) | instskip(NEXT) | instid1(VALU_DEP_1)
	v_add_nc_u32_e32 v60, s9, v58
	v_add_nc_u32_e32 v62, s9, v60
	s_delay_alu instid0(VALU_DEP_1) | instskip(NEXT) | instid1(VALU_DEP_1)
	v_dual_add_nc_u32 v64, s9, v62 :: v_dual_ashrrev_i32 v57, 31, v56
	v_dual_ashrrev_i32 v59, 31, v58 :: v_dual_add_nc_u32 v66, s9, v64
	s_delay_alu instid0(VALU_DEP_1)
	v_dual_ashrrev_i32 v65, 31, v64 :: v_dual_ashrrev_i32 v67, 31, v66
	v_add_nc_u32_e32 v68, s9, v66
	s_clause 0x7
	global_load_b32 v124, v52, s[6:7] scale_offset
	global_load_b32 v125, v54, s[6:7] scale_offset
	;; [unrolled: 1-line block ×8, first 2 shown]
	v_dual_ashrrev_i32 v61, 31, v60 :: v_dual_ashrrev_i32 v63, 31, v62
	v_add_nc_u32_e32 v70, s9, v68
	s_delay_alu instid0(VALU_DEP_1) | instskip(NEXT) | instid1(VALU_DEP_1)
	v_add_nc_u32_e32 v72, s9, v70
	v_add_nc_u32_e32 v74, s9, v72
	s_delay_alu instid0(VALU_DEP_1) | instskip(NEXT) | instid1(VALU_DEP_1)
	v_dual_add_nc_u32 v76, s9, v74 :: v_dual_ashrrev_i32 v69, 31, v68
	v_dual_ashrrev_i32 v71, 31, v70 :: v_dual_add_nc_u32 v78, s9, v76
	s_delay_alu instid0(VALU_DEP_1)
	v_dual_ashrrev_i32 v77, 31, v76 :: v_dual_ashrrev_i32 v79, 31, v78
	v_add_nc_u32_e32 v80, s9, v78
	s_clause 0x3
	global_load_b32 v132, v68, s[6:7] scale_offset
	global_load_b32 v133, v70, s[6:7] scale_offset
	;; [unrolled: 1-line block ×4, first 2 shown]
	v_dual_ashrrev_i32 v73, 31, v72 :: v_dual_ashrrev_i32 v75, 31, v74
	v_add_nc_u32_e32 v82, s9, v80
	s_delay_alu instid0(VALU_DEP_1) | instskip(NEXT) | instid1(VALU_DEP_1)
	v_add_nc_u32_e32 v84, s9, v82
	v_add_nc_u32_e32 v86, s9, v84
	s_delay_alu instid0(VALU_DEP_1)
	v_add_nc_u32_e32 v88, s9, v86
	s_clause 0x3
	global_load_b32 v136, v76, s[6:7] scale_offset
	global_load_b32 v137, v78, s[6:7] scale_offset
	;; [unrolled: 1-line block ×4, first 2 shown]
	s_wait_loadcnt 0x24
	scratch_store_b128 off, v[100:103], off
	s_wait_loadcnt 0x20
	scratch_store_b128 off, v[104:107], off offset:16
	v_add_nc_u32_e32 v90, s9, v88
	v_dual_ashrrev_i32 v81, 31, v80 :: v_dual_ashrrev_i32 v83, 31, v82
	s_delay_alu instid0(VALU_DEP_2) | instskip(SKIP_1) | instid1(VALU_DEP_1)
	v_dual_ashrrev_i32 v89, 31, v88 :: v_dual_ashrrev_i32 v91, 31, v90
	v_dual_add_nc_u32 v92, s9, v90 :: v_dual_ashrrev_i32 v85, 31, v84
	v_dual_ashrrev_i32 v87, 31, v86 :: v_dual_add_nc_u32 v94, s9, v92
	s_delay_alu instid0(VALU_DEP_1) | instskip(NEXT) | instid1(VALU_DEP_1)
	v_add_nc_u32_e32 v96, s9, v94
	v_add_nc_u32_e32 v98, s9, v96
	s_wait_xcnt 0x1
	s_delay_alu instid0(VALU_DEP_1) | instskip(NEXT) | instid1(VALU_DEP_1)
	v_dual_add_nc_u32 v100, s9, v98 :: v_dual_ashrrev_i32 v93, 31, v92
	v_dual_ashrrev_i32 v95, 31, v94 :: v_dual_add_nc_u32 v102, s9, v100
	s_delay_alu instid0(VALU_DEP_1)
	v_dual_ashrrev_i32 v101, 31, v100 :: v_dual_ashrrev_i32 v103, 31, v102
	s_wait_xcnt 0x0
	v_add_nc_u32_e32 v104, s9, v102
	s_clause 0x7
	global_load_b32 v140, v84, s[6:7] scale_offset
	global_load_b32 v141, v86, s[6:7] scale_offset
	;; [unrolled: 1-line block ×8, first 2 shown]
	s_wait_loadcnt 0x24
	scratch_store_b128 off, v[108:111], off offset:32
	v_dual_ashrrev_i32 v97, 31, v96 :: v_dual_ashrrev_i32 v99, 31, v98
	v_add_nc_u32_e32 v106, s9, v104
	s_wait_xcnt 0x0
	s_delay_alu instid0(VALU_DEP_1) | instskip(SKIP_4) | instid1(VALU_DEP_1)
	v_add_nc_u32_e32 v108, s9, v106
	s_wait_loadcnt 0x20
	scratch_store_b128 off, v[112:115], off offset:48
	v_add_nc_u32_e32 v110, s9, v108
	s_wait_xcnt 0x0
	v_dual_add_nc_u32 v112, s9, v110 :: v_dual_ashrrev_i32 v105, 31, v104
	v_ashrrev_i32_e32 v107, 31, v106
	s_wait_loadcnt 0x1c
	scratch_store_b128 off, v[116:119], off offset:64
	v_dual_add_nc_u32 v114, s9, v112 :: v_dual_ashrrev_i32 v113, 31, v112
	s_wait_xcnt 0x0
	s_delay_alu instid0(VALU_DEP_1) | instskip(SKIP_1) | instid1(VALU_DEP_2)
	v_dual_ashrrev_i32 v115, 31, v114 :: v_dual_add_nc_u32 v116, s9, v114
	v_dual_ashrrev_i32 v109, 31, v108 :: v_dual_ashrrev_i32 v111, 31, v110
	v_add_nc_u32_e32 v118, s9, v116
	s_wait_loadcnt 0x18
	scratch_store_b128 off, v[120:123], off offset:80
	s_wait_xcnt 0x0
	v_add_nc_u32_e32 v120, s9, v118
	s_delay_alu instid0(VALU_DEP_1) | instskip(NEXT) | instid1(VALU_DEP_1)
	v_dual_add_nc_u32 v122, s9, v120 :: v_dual_ashrrev_i32 v121, 31, v120
	v_ashrrev_i32_e32 v123, 31, v122
	s_wait_loadcnt 0x14
	scratch_store_b128 off, v[124:127], off offset:96
	s_wait_xcnt 0x0
	v_dual_add_nc_u32 v124, s9, v122 :: v_dual_ashrrev_i32 v117, 31, v116
	v_ashrrev_i32_e32 v119, 31, v118
	s_wait_loadcnt 0x10
	scratch_store_b128 off, v[128:131], off offset:112
	s_wait_loadcnt 0xc
	scratch_store_b128 off, v[132:135], off offset:128
	s_clause 0x7
	global_load_b32 v126, v100, s[6:7] scale_offset
	global_load_b32 v127, v102, s[6:7] scale_offset
	;; [unrolled: 1-line block ×8, first 2 shown]
	v_ashrrev_i32_e32 v125, 31, v124
	s_wait_loadcnt 0x10
	scratch_store_b128 off, v[136:139], off offset:144
	s_wait_loadcnt 0xc
	scratch_store_b128 off, v[140:143], off offset:160
	;; [unrolled: 2-line block ×3, first 2 shown]
	s_clause 0x4
	global_load_b32 v134, v116, s[6:7] scale_offset
	global_load_b32 v135, v118, s[6:7] scale_offset
	;; [unrolled: 1-line block ×5, first 2 shown]
	s_wait_loadcnt 0x9
	scratch_store_b128 off, v[126:129], off offset:192
	s_wait_loadcnt 0x5
	scratch_store_b128 off, v[130:133], off offset:208
	s_wait_xcnt 0x1
	v_mov_b32_e32 v126, -1.0
	s_wait_loadcnt 0x1
	scratch_store_b128 off, v[134:137], off offset:224
	s_wait_loadcnt 0x0
	scratch_store_b32 off, v1, off offset:240
	s_cbranch_scc1 .LBB60_3
; %bb.2:
	scratch_load_b32 v1, v0, off scale_offset
	s_wait_loadcnt 0x0
	v_div_scale_f32 v7, null, v1, v1, 1.0
	s_delay_alu instid0(VALU_DEP_1) | instskip(SKIP_1) | instid1(TRANS32_DEP_1)
	v_rcp_f32_e32 v126, v7
	v_nop
	v_fma_f32 v127, -v7, v126, 1.0
	s_delay_alu instid0(VALU_DEP_1) | instskip(SKIP_1) | instid1(VALU_DEP_1)
	v_fmac_f32_e32 v126, v127, v126
	v_div_scale_f32 v127, vcc_lo, 1.0, v1, 1.0
	v_mul_f32_e32 v128, v127, v126
	s_delay_alu instid0(VALU_DEP_1) | instskip(NEXT) | instid1(VALU_DEP_1)
	v_fma_f32 v129, -v7, v128, v127
	v_fmac_f32_e32 v128, v129, v126
	s_delay_alu instid0(VALU_DEP_1) | instskip(NEXT) | instid1(VALU_DEP_1)
	v_fma_f32 v7, -v7, v128, v127
	v_div_fmas_f32 v7, v7, v126, v128
	s_delay_alu instid0(VALU_DEP_1) | instskip(NEXT) | instid1(VALU_DEP_1)
	v_div_fixup_f32 v1, v7, v1, 1.0
	v_xor_b32_e32 v126, 0x80000000, v1
	scratch_store_b32 v0, v1, off scale_offset
.LBB60_3:
	s_wait_xcnt 0x0
	v_or_b32_e32 v1, 0x100, v6
	v_mov_b32_e32 v7, v6
	s_cmp_eq_u32 s4, 0x79
	s_mov_b32 s1, -1
	ds_store_b32 v6, v126
	s_cbranch_scc1 .LBB60_597
; %bb.4:
	scratch_load_b32 v126, off, off offset:236
	v_cmp_eq_u32_e64 s0, 60, v0
	s_movk_i32 s1, 0x50
	s_movk_i32 s2, 0x60
	;; [unrolled: 1-line block ×10, first 2 shown]
	s_wait_loadcnt 0x0
	ds_store_b32 v1, v126
	s_wait_storecnt_dscnt 0x0
	s_barrier_signal -1
	s_barrier_wait -1
	s_wait_xcnt 0x0
	s_and_saveexec_b32 s4, s0
	s_cbranch_execz .LBB60_10
; %bb.5:
	s_and_b32 vcc_lo, exec_lo, s3
	s_cbranch_vccz .LBB60_7
; %bb.6:
	scratch_load_b32 v126, v7, off
	ds_load_b32 v127, v1
	s_wait_loadcnt_dscnt 0x0
	v_mul_f32_e32 v126, v126, v127
	s_cbranch_execz .LBB60_8
	s_branch .LBB60_9
.LBB60_7:
                                        ; implicit-def: $vgpr126
.LBB60_8:
	ds_load_b32 v126, v1
.LBB60_9:
	v_mov_b32_e32 v127, 0
	ds_load_b32 v127, v127 offset:236
	s_wait_dscnt 0x0
	v_mul_f32_e32 v126, v126, v127
	scratch_store_b32 off, v126, off offset:236
.LBB60_10:
	s_wait_xcnt 0x0
	s_or_b32 exec_lo, exec_lo, s4
	scratch_load_b32 v126, off, off offset:232
	s_mov_b32 s10, s1
	v_cmp_lt_u32_e64 s1, 58, v0
	s_mov_b32 s4, 16
	s_mov_b32 s5, 32
	;; [unrolled: 1-line block ×5, first 2 shown]
	s_wait_loadcnt 0x0
	ds_store_b32 v1, v126
	s_wait_storecnt_dscnt 0x0
	s_barrier_signal -1
	s_barrier_wait -1
	s_wait_xcnt 0x0
	s_and_saveexec_b32 s2, s1
	s_cbranch_execz .LBB60_16
; %bb.11:
	s_and_not1_b32 vcc_lo, exec_lo, s3
	s_cbranch_vccnz .LBB60_13
; %bb.12:
	scratch_load_b32 v126, v7, off
	ds_load_b32 v127, v1
	s_wait_loadcnt_dscnt 0x0
	v_mul_f32_e32 v126, v126, v127
	s_cbranch_execz .LBB60_14
	s_branch .LBB60_15
.LBB60_13:
                                        ; implicit-def: $vgpr126
.LBB60_14:
	ds_load_b32 v126, v1
.LBB60_15:
	scratch_load_b32 v127, off, off offset:236
	v_mov_b32_e32 v128, 0
	ds_load_2addr_b32 v[128:129], v128 offset0:58 offset1:123
	s_wait_loadcnt_dscnt 0x0
	v_fma_f32 v127, v127, v129, v126
	s_delay_alu instid0(VALU_DEP_1) | instskip(NEXT) | instid1(VALU_DEP_1)
	v_cndmask_b32_e64 v126, v126, v127, s0
	v_mul_f32_e32 v126, v126, v128
	scratch_store_b32 off, v126, off offset:232
.LBB60_16:
	s_wait_xcnt 0x0
	s_or_b32 exec_lo, exec_lo, s2
	scratch_load_b32 v126, off, off offset:228
	v_cmp_lt_u32_e64 s0, 57, v0
	s_wait_loadcnt 0x0
	ds_store_b32 v1, v126
	s_wait_storecnt_dscnt 0x0
	s_barrier_signal -1
	s_barrier_wait -1
	s_wait_xcnt 0x0
	s_and_saveexec_b32 s2, s0
	s_cbranch_execz .LBB60_26
; %bb.17:
	s_and_not1_b32 vcc_lo, exec_lo, s3
	s_cbranch_vccnz .LBB60_19
; %bb.18:
	scratch_load_b32 v126, v7, off
	ds_load_b32 v127, v1
	s_wait_loadcnt_dscnt 0x0
	v_mul_f32_e32 v126, v126, v127
	s_cbranch_execz .LBB60_20
	s_branch .LBB60_21
.LBB60_19:
                                        ; implicit-def: $vgpr126
.LBB60_20:
	ds_load_b32 v126, v1
.LBB60_21:
	s_and_saveexec_b32 s20, s1
	s_cbranch_execz .LBB60_25
; %bb.22:
	v_subrev_nc_u32_e32 v127, 58, v0
	s_movk_i32 s1, 0xe8
	s_movk_i32 s22, 0x1e8
	s_mov_b32 s21, 0
.LBB60_23:                              ; =>This Inner Loop Header: Depth=1
	scratch_load_b32 v128, off, s1
	v_dual_mov_b32 v129, s22 :: v_dual_add_nc_u32 v127, -1, v127
	s_add_co_i32 s22, s22, 4
	s_wait_xcnt 0x0
	s_add_co_i32 s1, s1, 4
	ds_load_b32 v129, v129
	v_cmp_eq_u32_e32 vcc_lo, 0, v127
	s_or_b32 s21, vcc_lo, s21
	s_wait_loadcnt_dscnt 0x0
	v_fmac_f32_e32 v126, v128, v129
	s_and_not1_b32 exec_lo, exec_lo, s21
	s_cbranch_execnz .LBB60_23
; %bb.24:
	s_or_b32 exec_lo, exec_lo, s21
.LBB60_25:
	s_delay_alu instid0(SALU_CYCLE_1)
	s_or_b32 exec_lo, exec_lo, s20
	v_mov_b32_e32 v127, 0
	ds_load_b32 v127, v127 offset:228
	s_wait_dscnt 0x0
	v_mul_f32_e32 v126, v126, v127
	scratch_store_b32 off, v126, off offset:228
.LBB60_26:
	s_wait_xcnt 0x0
	s_or_b32 exec_lo, exec_lo, s2
	scratch_load_b32 v126, off, off offset:224
	v_cmp_lt_u32_e64 s1, 56, v0
	s_wait_loadcnt 0x0
	ds_store_b32 v1, v126
	s_wait_storecnt_dscnt 0x0
	s_barrier_signal -1
	s_barrier_wait -1
	s_wait_xcnt 0x0
	s_and_saveexec_b32 s2, s1
	s_cbranch_execz .LBB60_36
; %bb.27:
	s_and_not1_b32 vcc_lo, exec_lo, s3
	s_cbranch_vccnz .LBB60_29
; %bb.28:
	scratch_load_b32 v126, v7, off
	ds_load_b32 v127, v1
	s_wait_loadcnt_dscnt 0x0
	v_mul_f32_e32 v126, v126, v127
	s_cbranch_execz .LBB60_30
	s_branch .LBB60_31
.LBB60_29:
                                        ; implicit-def: $vgpr126
.LBB60_30:
	ds_load_b32 v126, v1
.LBB60_31:
	s_and_saveexec_b32 s20, s0
	s_cbranch_execz .LBB60_35
; %bb.32:
	v_subrev_nc_u32_e32 v127, 57, v0
	s_movk_i32 s0, 0xe4
	s_movk_i32 s22, 0x1e4
	s_mov_b32 s21, 0
.LBB60_33:                              ; =>This Inner Loop Header: Depth=1
	scratch_load_b32 v128, off, s0
	v_dual_mov_b32 v129, s22 :: v_dual_add_nc_u32 v127, -1, v127
	s_add_co_i32 s22, s22, 4
	s_wait_xcnt 0x0
	s_add_co_i32 s0, s0, 4
	ds_load_b32 v129, v129
	v_cmp_eq_u32_e32 vcc_lo, 0, v127
	s_or_b32 s21, vcc_lo, s21
	s_wait_loadcnt_dscnt 0x0
	v_fmac_f32_e32 v126, v128, v129
	s_and_not1_b32 exec_lo, exec_lo, s21
	s_cbranch_execnz .LBB60_33
; %bb.34:
	s_or_b32 exec_lo, exec_lo, s21
.LBB60_35:
	s_delay_alu instid0(SALU_CYCLE_1)
	s_or_b32 exec_lo, exec_lo, s20
	v_mov_b32_e32 v127, 0
	ds_load_b32 v127, v127 offset:224
	s_wait_dscnt 0x0
	v_mul_f32_e32 v126, v126, v127
	scratch_store_b32 off, v126, off offset:224
.LBB60_36:
	s_wait_xcnt 0x0
	s_or_b32 exec_lo, exec_lo, s2
	scratch_load_b32 v126, off, off offset:220
	v_cmp_lt_u32_e64 s2, 55, v0
	s_wait_loadcnt 0x0
	ds_store_b32 v1, v126
	s_wait_storecnt_dscnt 0x0
	s_barrier_signal -1
	s_barrier_wait -1
	s_wait_xcnt 0x0
	s_and_saveexec_b32 s0, s2
	s_cbranch_execz .LBB60_46
; %bb.37:
	s_and_not1_b32 vcc_lo, exec_lo, s3
	s_cbranch_vccnz .LBB60_39
; %bb.38:
	scratch_load_b32 v126, v7, off
	ds_load_b32 v127, v1
	s_wait_loadcnt_dscnt 0x0
	v_mul_f32_e32 v126, v126, v127
	s_cbranch_execz .LBB60_40
	s_branch .LBB60_41
.LBB60_39:
                                        ; implicit-def: $vgpr126
.LBB60_40:
	ds_load_b32 v126, v1
.LBB60_41:
	s_and_saveexec_b32 s20, s1
	s_cbranch_execz .LBB60_45
; %bb.42:
	v_subrev_nc_u32_e32 v127, 56, v0
	s_movk_i32 s21, 0x1e0
	s_mov_b32 s1, 0
.LBB60_43:                              ; =>This Inner Loop Header: Depth=1
	scratch_load_b32 v128, off, s19
	v_dual_mov_b32 v129, s21 :: v_dual_add_nc_u32 v127, -1, v127
	s_add_co_i32 s21, s21, 4
	s_wait_xcnt 0x0
	s_add_co_i32 s19, s19, 4
	ds_load_b32 v129, v129
	v_cmp_eq_u32_e32 vcc_lo, 0, v127
	s_or_b32 s1, vcc_lo, s1
	s_wait_loadcnt_dscnt 0x0
	v_fmac_f32_e32 v126, v128, v129
	s_and_not1_b32 exec_lo, exec_lo, s1
	s_cbranch_execnz .LBB60_43
; %bb.44:
	s_or_b32 exec_lo, exec_lo, s1
.LBB60_45:
	s_delay_alu instid0(SALU_CYCLE_1)
	s_or_b32 exec_lo, exec_lo, s20
	v_mov_b32_e32 v127, 0
	ds_load_b32 v127, v127 offset:220
	s_wait_dscnt 0x0
	v_mul_f32_e32 v126, v126, v127
	scratch_store_b32 off, v126, off offset:220
.LBB60_46:
	s_wait_xcnt 0x0
	s_or_b32 exec_lo, exec_lo, s0
	scratch_load_b32 v126, off, off offset:216
	v_cmp_lt_u32_e64 s0, 54, v0
	s_wait_loadcnt 0x0
	ds_store_b32 v1, v126
	s_wait_storecnt_dscnt 0x0
	s_barrier_signal -1
	s_barrier_wait -1
	s_wait_xcnt 0x0
	s_and_saveexec_b32 s1, s0
	s_cbranch_execz .LBB60_56
; %bb.47:
	s_and_not1_b32 vcc_lo, exec_lo, s3
	s_cbranch_vccnz .LBB60_49
; %bb.48:
	scratch_load_b32 v126, v7, off
	ds_load_b32 v127, v1
	s_wait_loadcnt_dscnt 0x0
	v_mul_f32_e32 v126, v126, v127
	s_cbranch_execz .LBB60_50
	s_branch .LBB60_51
.LBB60_49:
                                        ; implicit-def: $vgpr126
.LBB60_50:
	ds_load_b32 v126, v1
.LBB60_51:
	s_and_saveexec_b32 s19, s2
	s_cbranch_execz .LBB60_55
; %bb.52:
	v_subrev_nc_u32_e32 v127, 55, v0
	s_movk_i32 s2, 0xdc
	s_movk_i32 s21, 0x1dc
	s_mov_b32 s20, 0
.LBB60_53:                              ; =>This Inner Loop Header: Depth=1
	scratch_load_b32 v128, off, s2
	v_dual_mov_b32 v129, s21 :: v_dual_add_nc_u32 v127, -1, v127
	s_add_co_i32 s21, s21, 4
	s_wait_xcnt 0x0
	s_add_co_i32 s2, s2, 4
	ds_load_b32 v129, v129
	v_cmp_eq_u32_e32 vcc_lo, 0, v127
	s_or_b32 s20, vcc_lo, s20
	s_wait_loadcnt_dscnt 0x0
	v_fmac_f32_e32 v126, v128, v129
	s_and_not1_b32 exec_lo, exec_lo, s20
	s_cbranch_execnz .LBB60_53
; %bb.54:
	s_or_b32 exec_lo, exec_lo, s20
.LBB60_55:
	s_delay_alu instid0(SALU_CYCLE_1)
	s_or_b32 exec_lo, exec_lo, s19
	v_mov_b32_e32 v127, 0
	ds_load_b32 v127, v127 offset:216
	s_wait_dscnt 0x0
	v_mul_f32_e32 v126, v126, v127
	scratch_store_b32 off, v126, off offset:216
.LBB60_56:
	s_wait_xcnt 0x0
	s_or_b32 exec_lo, exec_lo, s1
	scratch_load_b32 v126, off, off offset:212
	v_cmp_lt_u32_e64 s1, 53, v0
	s_wait_loadcnt 0x0
	ds_store_b32 v1, v126
	s_wait_storecnt_dscnt 0x0
	s_barrier_signal -1
	s_barrier_wait -1
	s_wait_xcnt 0x0
	s_and_saveexec_b32 s2, s1
	s_cbranch_execz .LBB60_66
; %bb.57:
	s_and_not1_b32 vcc_lo, exec_lo, s3
	s_cbranch_vccnz .LBB60_59
; %bb.58:
	scratch_load_b32 v126, v7, off
	ds_load_b32 v127, v1
	s_wait_loadcnt_dscnt 0x0
	v_mul_f32_e32 v126, v126, v127
	s_cbranch_execz .LBB60_60
	s_branch .LBB60_61
.LBB60_59:
                                        ; implicit-def: $vgpr126
.LBB60_60:
	ds_load_b32 v126, v1
.LBB60_61:
	s_and_saveexec_b32 s19, s0
	s_cbranch_execz .LBB60_65
; %bb.62:
	v_subrev_nc_u32_e32 v127, 54, v0
	s_movk_i32 s0, 0xd8
	s_movk_i32 s21, 0x1d8
	s_mov_b32 s20, 0
.LBB60_63:                              ; =>This Inner Loop Header: Depth=1
	scratch_load_b32 v128, off, s0
	v_dual_mov_b32 v129, s21 :: v_dual_add_nc_u32 v127, -1, v127
	s_add_co_i32 s21, s21, 4
	s_wait_xcnt 0x0
	s_add_co_i32 s0, s0, 4
	ds_load_b32 v129, v129
	v_cmp_eq_u32_e32 vcc_lo, 0, v127
	s_or_b32 s20, vcc_lo, s20
	s_wait_loadcnt_dscnt 0x0
	v_fmac_f32_e32 v126, v128, v129
	s_and_not1_b32 exec_lo, exec_lo, s20
	s_cbranch_execnz .LBB60_63
; %bb.64:
	s_or_b32 exec_lo, exec_lo, s20
.LBB60_65:
	s_delay_alu instid0(SALU_CYCLE_1)
	s_or_b32 exec_lo, exec_lo, s19
	v_mov_b32_e32 v127, 0
	ds_load_b32 v127, v127 offset:212
	s_wait_dscnt 0x0
	v_mul_f32_e32 v126, v126, v127
	scratch_store_b32 off, v126, off offset:212
.LBB60_66:
	;; [unrolled: 58-line block ×3, first 2 shown]
	s_wait_xcnt 0x0
	s_or_b32 exec_lo, exec_lo, s2
	scratch_load_b32 v126, off, off offset:204
	v_cmp_lt_u32_e64 s1, 51, v0
	s_wait_loadcnt 0x0
	ds_store_b32 v1, v126
	s_wait_storecnt_dscnt 0x0
	s_barrier_signal -1
	s_barrier_wait -1
	s_wait_xcnt 0x0
	s_and_saveexec_b32 s2, s1
	s_cbranch_execz .LBB60_86
; %bb.77:
	s_and_not1_b32 vcc_lo, exec_lo, s3
	s_cbranch_vccnz .LBB60_79
; %bb.78:
	scratch_load_b32 v126, v7, off
	ds_load_b32 v127, v1
	s_wait_loadcnt_dscnt 0x0
	v_mul_f32_e32 v126, v126, v127
	s_cbranch_execz .LBB60_80
	s_branch .LBB60_81
.LBB60_79:
                                        ; implicit-def: $vgpr126
.LBB60_80:
	ds_load_b32 v126, v1
.LBB60_81:
	s_and_saveexec_b32 s19, s0
	s_cbranch_execz .LBB60_85
; %bb.82:
	v_subrev_nc_u32_e32 v127, 52, v0
	s_movk_i32 s20, 0x1d0
	s_mov_b32 s0, 0
.LBB60_83:                              ; =>This Inner Loop Header: Depth=1
	scratch_load_b32 v128, off, s18
	v_dual_mov_b32 v129, s20 :: v_dual_add_nc_u32 v127, -1, v127
	s_add_co_i32 s20, s20, 4
	s_wait_xcnt 0x0
	s_add_co_i32 s18, s18, 4
	ds_load_b32 v129, v129
	v_cmp_eq_u32_e32 vcc_lo, 0, v127
	s_or_b32 s0, vcc_lo, s0
	s_wait_loadcnt_dscnt 0x0
	v_fmac_f32_e32 v126, v128, v129
	s_and_not1_b32 exec_lo, exec_lo, s0
	s_cbranch_execnz .LBB60_83
; %bb.84:
	s_or_b32 exec_lo, exec_lo, s0
.LBB60_85:
	s_delay_alu instid0(SALU_CYCLE_1)
	s_or_b32 exec_lo, exec_lo, s19
	v_mov_b32_e32 v127, 0
	ds_load_b32 v127, v127 offset:204
	s_wait_dscnt 0x0
	v_mul_f32_e32 v126, v126, v127
	scratch_store_b32 off, v126, off offset:204
.LBB60_86:
	s_wait_xcnt 0x0
	s_or_b32 exec_lo, exec_lo, s2
	scratch_load_b32 v126, off, off offset:200
	v_cmp_lt_u32_e64 s0, 50, v0
	s_wait_loadcnt 0x0
	ds_store_b32 v1, v126
	s_wait_storecnt_dscnt 0x0
	s_barrier_signal -1
	s_barrier_wait -1
	s_wait_xcnt 0x0
	s_and_saveexec_b32 s2, s0
	s_cbranch_execz .LBB60_96
; %bb.87:
	s_and_not1_b32 vcc_lo, exec_lo, s3
	s_cbranch_vccnz .LBB60_89
; %bb.88:
	scratch_load_b32 v126, v7, off
	ds_load_b32 v127, v1
	s_wait_loadcnt_dscnt 0x0
	v_mul_f32_e32 v126, v126, v127
	s_cbranch_execz .LBB60_90
	s_branch .LBB60_91
.LBB60_89:
                                        ; implicit-def: $vgpr126
.LBB60_90:
	ds_load_b32 v126, v1
.LBB60_91:
	s_and_saveexec_b32 s18, s1
	s_cbranch_execz .LBB60_95
; %bb.92:
	v_subrev_nc_u32_e32 v127, 51, v0
	s_movk_i32 s1, 0xcc
	s_movk_i32 s20, 0x1cc
	s_mov_b32 s19, 0
.LBB60_93:                              ; =>This Inner Loop Header: Depth=1
	scratch_load_b32 v128, off, s1
	v_dual_mov_b32 v129, s20 :: v_dual_add_nc_u32 v127, -1, v127
	s_add_co_i32 s20, s20, 4
	s_wait_xcnt 0x0
	s_add_co_i32 s1, s1, 4
	ds_load_b32 v129, v129
	v_cmp_eq_u32_e32 vcc_lo, 0, v127
	s_or_b32 s19, vcc_lo, s19
	s_wait_loadcnt_dscnt 0x0
	v_fmac_f32_e32 v126, v128, v129
	s_and_not1_b32 exec_lo, exec_lo, s19
	s_cbranch_execnz .LBB60_93
; %bb.94:
	s_or_b32 exec_lo, exec_lo, s19
.LBB60_95:
	s_delay_alu instid0(SALU_CYCLE_1)
	s_or_b32 exec_lo, exec_lo, s18
	v_mov_b32_e32 v127, 0
	ds_load_b32 v127, v127 offset:200
	s_wait_dscnt 0x0
	v_mul_f32_e32 v126, v126, v127
	scratch_store_b32 off, v126, off offset:200
.LBB60_96:
	s_wait_xcnt 0x0
	s_or_b32 exec_lo, exec_lo, s2
	scratch_load_b32 v126, off, off offset:196
	v_cmp_lt_u32_e64 s1, 49, v0
	s_wait_loadcnt 0x0
	ds_store_b32 v1, v126
	s_wait_storecnt_dscnt 0x0
	s_barrier_signal -1
	s_barrier_wait -1
	s_wait_xcnt 0x0
	s_and_saveexec_b32 s2, s1
	s_cbranch_execz .LBB60_106
; %bb.97:
	s_and_not1_b32 vcc_lo, exec_lo, s3
	s_cbranch_vccnz .LBB60_99
; %bb.98:
	scratch_load_b32 v126, v7, off
	ds_load_b32 v127, v1
	s_wait_loadcnt_dscnt 0x0
	v_mul_f32_e32 v126, v126, v127
	s_cbranch_execz .LBB60_100
	s_branch .LBB60_101
.LBB60_99:
                                        ; implicit-def: $vgpr126
.LBB60_100:
	ds_load_b32 v126, v1
.LBB60_101:
	s_and_saveexec_b32 s18, s0
	s_cbranch_execz .LBB60_105
; %bb.102:
	v_subrev_nc_u32_e32 v127, 50, v0
	s_movk_i32 s0, 0xc8
	s_movk_i32 s20, 0x1c8
	s_mov_b32 s19, 0
.LBB60_103:                             ; =>This Inner Loop Header: Depth=1
	scratch_load_b32 v128, off, s0
	v_dual_mov_b32 v129, s20 :: v_dual_add_nc_u32 v127, -1, v127
	s_add_co_i32 s20, s20, 4
	s_wait_xcnt 0x0
	s_add_co_i32 s0, s0, 4
	ds_load_b32 v129, v129
	v_cmp_eq_u32_e32 vcc_lo, 0, v127
	s_or_b32 s19, vcc_lo, s19
	s_wait_loadcnt_dscnt 0x0
	v_fmac_f32_e32 v126, v128, v129
	s_and_not1_b32 exec_lo, exec_lo, s19
	s_cbranch_execnz .LBB60_103
; %bb.104:
	s_or_b32 exec_lo, exec_lo, s19
.LBB60_105:
	s_delay_alu instid0(SALU_CYCLE_1)
	s_or_b32 exec_lo, exec_lo, s18
	v_mov_b32_e32 v127, 0
	ds_load_b32 v127, v127 offset:196
	s_wait_dscnt 0x0
	v_mul_f32_e32 v126, v126, v127
	scratch_store_b32 off, v126, off offset:196
.LBB60_106:
	s_wait_xcnt 0x0
	s_or_b32 exec_lo, exec_lo, s2
	scratch_load_b32 v126, off, off offset:192
	v_cmp_lt_u32_e64 s0, 48, v0
	s_wait_loadcnt 0x0
	ds_store_b32 v1, v126
	s_wait_storecnt_dscnt 0x0
	s_barrier_signal -1
	s_barrier_wait -1
	s_wait_xcnt 0x0
	s_and_saveexec_b32 s2, s0
	s_cbranch_execz .LBB60_116
; %bb.107:
	s_and_not1_b32 vcc_lo, exec_lo, s3
	s_cbranch_vccnz .LBB60_109
; %bb.108:
	scratch_load_b32 v126, v7, off
	ds_load_b32 v127, v1
	s_wait_loadcnt_dscnt 0x0
	v_mul_f32_e32 v126, v126, v127
	s_cbranch_execz .LBB60_110
	s_branch .LBB60_111
.LBB60_109:
                                        ; implicit-def: $vgpr126
.LBB60_110:
	ds_load_b32 v126, v1
.LBB60_111:
	s_and_saveexec_b32 s18, s1
	s_cbranch_execz .LBB60_115
; %bb.112:
	v_subrev_nc_u32_e32 v127, 49, v0
	s_movk_i32 s1, 0xc4
	s_movk_i32 s20, 0x1c4
	s_mov_b32 s19, 0
.LBB60_113:                             ; =>This Inner Loop Header: Depth=1
	scratch_load_b32 v128, off, s1
	v_dual_mov_b32 v129, s20 :: v_dual_add_nc_u32 v127, -1, v127
	s_add_co_i32 s20, s20, 4
	s_wait_xcnt 0x0
	s_add_co_i32 s1, s1, 4
	ds_load_b32 v129, v129
	v_cmp_eq_u32_e32 vcc_lo, 0, v127
	s_or_b32 s19, vcc_lo, s19
	s_wait_loadcnt_dscnt 0x0
	v_fmac_f32_e32 v126, v128, v129
	s_and_not1_b32 exec_lo, exec_lo, s19
	s_cbranch_execnz .LBB60_113
; %bb.114:
	s_or_b32 exec_lo, exec_lo, s19
.LBB60_115:
	s_delay_alu instid0(SALU_CYCLE_1)
	s_or_b32 exec_lo, exec_lo, s18
	v_mov_b32_e32 v127, 0
	ds_load_b32 v127, v127 offset:192
	s_wait_dscnt 0x0
	v_mul_f32_e32 v126, v126, v127
	scratch_store_b32 off, v126, off offset:192
.LBB60_116:
	s_wait_xcnt 0x0
	s_or_b32 exec_lo, exec_lo, s2
	scratch_load_b32 v126, off, off offset:188
	v_cmp_lt_u32_e64 s1, 47, v0
	s_wait_loadcnt 0x0
	ds_store_b32 v1, v126
	s_wait_storecnt_dscnt 0x0
	s_barrier_signal -1
	s_barrier_wait -1
	s_wait_xcnt 0x0
	s_and_saveexec_b32 s2, s1
	s_cbranch_execz .LBB60_126
; %bb.117:
	s_and_not1_b32 vcc_lo, exec_lo, s3
	s_cbranch_vccnz .LBB60_119
; %bb.118:
	scratch_load_b32 v126, v7, off
	ds_load_b32 v127, v1
	s_wait_loadcnt_dscnt 0x0
	v_mul_f32_e32 v126, v126, v127
	s_cbranch_execz .LBB60_120
	s_branch .LBB60_121
.LBB60_119:
                                        ; implicit-def: $vgpr126
.LBB60_120:
	ds_load_b32 v126, v1
.LBB60_121:
	s_and_saveexec_b32 s18, s0
	s_cbranch_execz .LBB60_125
; %bb.122:
	v_subrev_nc_u32_e32 v127, 48, v0
	s_movk_i32 s19, 0x1c0
	s_mov_b32 s0, 0
.LBB60_123:                             ; =>This Inner Loop Header: Depth=1
	scratch_load_b32 v128, off, s17
	v_dual_mov_b32 v129, s19 :: v_dual_add_nc_u32 v127, -1, v127
	s_add_co_i32 s19, s19, 4
	s_wait_xcnt 0x0
	s_add_co_i32 s17, s17, 4
	ds_load_b32 v129, v129
	v_cmp_eq_u32_e32 vcc_lo, 0, v127
	s_or_b32 s0, vcc_lo, s0
	s_wait_loadcnt_dscnt 0x0
	v_fmac_f32_e32 v126, v128, v129
	s_and_not1_b32 exec_lo, exec_lo, s0
	s_cbranch_execnz .LBB60_123
; %bb.124:
	s_or_b32 exec_lo, exec_lo, s0
.LBB60_125:
	s_delay_alu instid0(SALU_CYCLE_1)
	s_or_b32 exec_lo, exec_lo, s18
	v_mov_b32_e32 v127, 0
	ds_load_b32 v127, v127 offset:188
	s_wait_dscnt 0x0
	v_mul_f32_e32 v126, v126, v127
	scratch_store_b32 off, v126, off offset:188
.LBB60_126:
	s_wait_xcnt 0x0
	s_or_b32 exec_lo, exec_lo, s2
	scratch_load_b32 v126, off, off offset:184
	v_cmp_lt_u32_e64 s0, 46, v0
	s_wait_loadcnt 0x0
	ds_store_b32 v1, v126
	s_wait_storecnt_dscnt 0x0
	s_barrier_signal -1
	s_barrier_wait -1
	s_wait_xcnt 0x0
	s_and_saveexec_b32 s2, s0
	s_cbranch_execz .LBB60_136
; %bb.127:
	s_and_not1_b32 vcc_lo, exec_lo, s3
	s_cbranch_vccnz .LBB60_129
; %bb.128:
	scratch_load_b32 v126, v7, off
	ds_load_b32 v127, v1
	s_wait_loadcnt_dscnt 0x0
	v_mul_f32_e32 v126, v126, v127
	s_cbranch_execz .LBB60_130
	s_branch .LBB60_131
.LBB60_129:
                                        ; implicit-def: $vgpr126
.LBB60_130:
	ds_load_b32 v126, v1
.LBB60_131:
	s_and_saveexec_b32 s17, s1
	s_cbranch_execz .LBB60_135
; %bb.132:
	v_subrev_nc_u32_e32 v127, 47, v0
	s_movk_i32 s1, 0xbc
	s_movk_i32 s19, 0x1bc
	s_mov_b32 s18, 0
.LBB60_133:                             ; =>This Inner Loop Header: Depth=1
	scratch_load_b32 v128, off, s1
	v_dual_mov_b32 v129, s19 :: v_dual_add_nc_u32 v127, -1, v127
	s_add_co_i32 s19, s19, 4
	s_wait_xcnt 0x0
	s_add_co_i32 s1, s1, 4
	ds_load_b32 v129, v129
	v_cmp_eq_u32_e32 vcc_lo, 0, v127
	s_or_b32 s18, vcc_lo, s18
	s_wait_loadcnt_dscnt 0x0
	v_fmac_f32_e32 v126, v128, v129
	s_and_not1_b32 exec_lo, exec_lo, s18
	s_cbranch_execnz .LBB60_133
; %bb.134:
	s_or_b32 exec_lo, exec_lo, s18
.LBB60_135:
	s_delay_alu instid0(SALU_CYCLE_1)
	s_or_b32 exec_lo, exec_lo, s17
	v_mov_b32_e32 v127, 0
	ds_load_b32 v127, v127 offset:184
	s_wait_dscnt 0x0
	v_mul_f32_e32 v126, v126, v127
	scratch_store_b32 off, v126, off offset:184
.LBB60_136:
	s_wait_xcnt 0x0
	s_or_b32 exec_lo, exec_lo, s2
	scratch_load_b32 v126, off, off offset:180
	v_cmp_lt_u32_e64 s1, 45, v0
	s_wait_loadcnt 0x0
	ds_store_b32 v1, v126
	s_wait_storecnt_dscnt 0x0
	s_barrier_signal -1
	s_barrier_wait -1
	s_wait_xcnt 0x0
	s_and_saveexec_b32 s2, s1
	s_cbranch_execz .LBB60_146
; %bb.137:
	s_and_not1_b32 vcc_lo, exec_lo, s3
	s_cbranch_vccnz .LBB60_139
; %bb.138:
	scratch_load_b32 v126, v7, off
	ds_load_b32 v127, v1
	s_wait_loadcnt_dscnt 0x0
	v_mul_f32_e32 v126, v126, v127
	s_cbranch_execz .LBB60_140
	s_branch .LBB60_141
.LBB60_139:
                                        ; implicit-def: $vgpr126
.LBB60_140:
	ds_load_b32 v126, v1
.LBB60_141:
	s_and_saveexec_b32 s17, s0
	s_cbranch_execz .LBB60_145
; %bb.142:
	v_subrev_nc_u32_e32 v127, 46, v0
	s_movk_i32 s0, 0xb8
	s_movk_i32 s19, 0x1b8
	s_mov_b32 s18, 0
.LBB60_143:                             ; =>This Inner Loop Header: Depth=1
	scratch_load_b32 v128, off, s0
	v_dual_mov_b32 v129, s19 :: v_dual_add_nc_u32 v127, -1, v127
	s_add_co_i32 s19, s19, 4
	s_wait_xcnt 0x0
	s_add_co_i32 s0, s0, 4
	ds_load_b32 v129, v129
	v_cmp_eq_u32_e32 vcc_lo, 0, v127
	s_or_b32 s18, vcc_lo, s18
	s_wait_loadcnt_dscnt 0x0
	v_fmac_f32_e32 v126, v128, v129
	s_and_not1_b32 exec_lo, exec_lo, s18
	s_cbranch_execnz .LBB60_143
; %bb.144:
	s_or_b32 exec_lo, exec_lo, s18
.LBB60_145:
	s_delay_alu instid0(SALU_CYCLE_1)
	s_or_b32 exec_lo, exec_lo, s17
	v_mov_b32_e32 v127, 0
	ds_load_b32 v127, v127 offset:180
	s_wait_dscnt 0x0
	v_mul_f32_e32 v126, v126, v127
	scratch_store_b32 off, v126, off offset:180
.LBB60_146:
	;; [unrolled: 58-line block ×3, first 2 shown]
	s_wait_xcnt 0x0
	s_or_b32 exec_lo, exec_lo, s2
	scratch_load_b32 v126, off, off offset:172
	v_cmp_lt_u32_e64 s1, 43, v0
	s_wait_loadcnt 0x0
	ds_store_b32 v1, v126
	s_wait_storecnt_dscnt 0x0
	s_barrier_signal -1
	s_barrier_wait -1
	s_wait_xcnt 0x0
	s_and_saveexec_b32 s2, s1
	s_cbranch_execz .LBB60_166
; %bb.157:
	s_and_not1_b32 vcc_lo, exec_lo, s3
	s_cbranch_vccnz .LBB60_159
; %bb.158:
	scratch_load_b32 v126, v7, off
	ds_load_b32 v127, v1
	s_wait_loadcnt_dscnt 0x0
	v_mul_f32_e32 v126, v126, v127
	s_cbranch_execz .LBB60_160
	s_branch .LBB60_161
.LBB60_159:
                                        ; implicit-def: $vgpr126
.LBB60_160:
	ds_load_b32 v126, v1
.LBB60_161:
	s_and_saveexec_b32 s17, s0
	s_cbranch_execz .LBB60_165
; %bb.162:
	v_subrev_nc_u32_e32 v127, 44, v0
	s_movk_i32 s18, 0x1b0
	s_mov_b32 s0, 0
.LBB60_163:                             ; =>This Inner Loop Header: Depth=1
	scratch_load_b32 v128, off, s16
	v_dual_mov_b32 v129, s18 :: v_dual_add_nc_u32 v127, -1, v127
	s_add_co_i32 s18, s18, 4
	s_wait_xcnt 0x0
	s_add_co_i32 s16, s16, 4
	ds_load_b32 v129, v129
	v_cmp_eq_u32_e32 vcc_lo, 0, v127
	s_or_b32 s0, vcc_lo, s0
	s_wait_loadcnt_dscnt 0x0
	v_fmac_f32_e32 v126, v128, v129
	s_and_not1_b32 exec_lo, exec_lo, s0
	s_cbranch_execnz .LBB60_163
; %bb.164:
	s_or_b32 exec_lo, exec_lo, s0
.LBB60_165:
	s_delay_alu instid0(SALU_CYCLE_1)
	s_or_b32 exec_lo, exec_lo, s17
	v_mov_b32_e32 v127, 0
	ds_load_b32 v127, v127 offset:172
	s_wait_dscnt 0x0
	v_mul_f32_e32 v126, v126, v127
	scratch_store_b32 off, v126, off offset:172
.LBB60_166:
	s_wait_xcnt 0x0
	s_or_b32 exec_lo, exec_lo, s2
	scratch_load_b32 v126, off, off offset:168
	v_cmp_lt_u32_e64 s0, 42, v0
	s_wait_loadcnt 0x0
	ds_store_b32 v1, v126
	s_wait_storecnt_dscnt 0x0
	s_barrier_signal -1
	s_barrier_wait -1
	s_wait_xcnt 0x0
	s_and_saveexec_b32 s2, s0
	s_cbranch_execz .LBB60_176
; %bb.167:
	s_and_not1_b32 vcc_lo, exec_lo, s3
	s_cbranch_vccnz .LBB60_169
; %bb.168:
	scratch_load_b32 v126, v7, off
	ds_load_b32 v127, v1
	s_wait_loadcnt_dscnt 0x0
	v_mul_f32_e32 v126, v126, v127
	s_cbranch_execz .LBB60_170
	s_branch .LBB60_171
.LBB60_169:
                                        ; implicit-def: $vgpr126
.LBB60_170:
	ds_load_b32 v126, v1
.LBB60_171:
	s_and_saveexec_b32 s16, s1
	s_cbranch_execz .LBB60_175
; %bb.172:
	v_subrev_nc_u32_e32 v127, 43, v0
	s_movk_i32 s1, 0xac
	s_movk_i32 s18, 0x1ac
	s_mov_b32 s17, 0
.LBB60_173:                             ; =>This Inner Loop Header: Depth=1
	scratch_load_b32 v128, off, s1
	v_dual_mov_b32 v129, s18 :: v_dual_add_nc_u32 v127, -1, v127
	s_add_co_i32 s18, s18, 4
	s_wait_xcnt 0x0
	s_add_co_i32 s1, s1, 4
	ds_load_b32 v129, v129
	v_cmp_eq_u32_e32 vcc_lo, 0, v127
	s_or_b32 s17, vcc_lo, s17
	s_wait_loadcnt_dscnt 0x0
	v_fmac_f32_e32 v126, v128, v129
	s_and_not1_b32 exec_lo, exec_lo, s17
	s_cbranch_execnz .LBB60_173
; %bb.174:
	s_or_b32 exec_lo, exec_lo, s17
.LBB60_175:
	s_delay_alu instid0(SALU_CYCLE_1)
	s_or_b32 exec_lo, exec_lo, s16
	v_mov_b32_e32 v127, 0
	ds_load_b32 v127, v127 offset:168
	s_wait_dscnt 0x0
	v_mul_f32_e32 v126, v126, v127
	scratch_store_b32 off, v126, off offset:168
.LBB60_176:
	s_wait_xcnt 0x0
	s_or_b32 exec_lo, exec_lo, s2
	scratch_load_b32 v126, off, off offset:164
	v_cmp_lt_u32_e64 s1, 41, v0
	s_wait_loadcnt 0x0
	ds_store_b32 v1, v126
	s_wait_storecnt_dscnt 0x0
	s_barrier_signal -1
	s_barrier_wait -1
	s_wait_xcnt 0x0
	s_and_saveexec_b32 s2, s1
	s_cbranch_execz .LBB60_186
; %bb.177:
	s_and_not1_b32 vcc_lo, exec_lo, s3
	s_cbranch_vccnz .LBB60_179
; %bb.178:
	scratch_load_b32 v126, v7, off
	ds_load_b32 v127, v1
	s_wait_loadcnt_dscnt 0x0
	v_mul_f32_e32 v126, v126, v127
	s_cbranch_execz .LBB60_180
	s_branch .LBB60_181
.LBB60_179:
                                        ; implicit-def: $vgpr126
.LBB60_180:
	ds_load_b32 v126, v1
.LBB60_181:
	s_and_saveexec_b32 s16, s0
	s_cbranch_execz .LBB60_185
; %bb.182:
	v_subrev_nc_u32_e32 v127, 42, v0
	s_movk_i32 s0, 0xa8
	s_movk_i32 s18, 0x1a8
	s_mov_b32 s17, 0
.LBB60_183:                             ; =>This Inner Loop Header: Depth=1
	scratch_load_b32 v128, off, s0
	v_dual_mov_b32 v129, s18 :: v_dual_add_nc_u32 v127, -1, v127
	s_add_co_i32 s18, s18, 4
	s_wait_xcnt 0x0
	s_add_co_i32 s0, s0, 4
	ds_load_b32 v129, v129
	v_cmp_eq_u32_e32 vcc_lo, 0, v127
	s_or_b32 s17, vcc_lo, s17
	s_wait_loadcnt_dscnt 0x0
	v_fmac_f32_e32 v126, v128, v129
	s_and_not1_b32 exec_lo, exec_lo, s17
	s_cbranch_execnz .LBB60_183
; %bb.184:
	s_or_b32 exec_lo, exec_lo, s17
.LBB60_185:
	s_delay_alu instid0(SALU_CYCLE_1)
	s_or_b32 exec_lo, exec_lo, s16
	v_mov_b32_e32 v127, 0
	ds_load_b32 v127, v127 offset:164
	s_wait_dscnt 0x0
	v_mul_f32_e32 v126, v126, v127
	scratch_store_b32 off, v126, off offset:164
.LBB60_186:
	;; [unrolled: 58-line block ×3, first 2 shown]
	s_wait_xcnt 0x0
	s_or_b32 exec_lo, exec_lo, s2
	scratch_load_b32 v126, off, off offset:156
	v_cmp_lt_u32_e64 s1, 39, v0
	s_wait_loadcnt 0x0
	ds_store_b32 v1, v126
	s_wait_storecnt_dscnt 0x0
	s_barrier_signal -1
	s_barrier_wait -1
	s_wait_xcnt 0x0
	s_and_saveexec_b32 s2, s1
	s_cbranch_execz .LBB60_206
; %bb.197:
	s_and_not1_b32 vcc_lo, exec_lo, s3
	s_cbranch_vccnz .LBB60_199
; %bb.198:
	scratch_load_b32 v126, v7, off
	ds_load_b32 v127, v1
	s_wait_loadcnt_dscnt 0x0
	v_mul_f32_e32 v126, v126, v127
	s_cbranch_execz .LBB60_200
	s_branch .LBB60_201
.LBB60_199:
                                        ; implicit-def: $vgpr126
.LBB60_200:
	ds_load_b32 v126, v1
.LBB60_201:
	s_and_saveexec_b32 s16, s0
	s_cbranch_execz .LBB60_205
; %bb.202:
	v_subrev_nc_u32_e32 v127, 40, v0
	s_movk_i32 s17, 0x1a0
	s_mov_b32 s0, 0
.LBB60_203:                             ; =>This Inner Loop Header: Depth=1
	scratch_load_b32 v128, off, s15
	v_dual_mov_b32 v129, s17 :: v_dual_add_nc_u32 v127, -1, v127
	s_add_co_i32 s17, s17, 4
	s_wait_xcnt 0x0
	s_add_co_i32 s15, s15, 4
	ds_load_b32 v129, v129
	v_cmp_eq_u32_e32 vcc_lo, 0, v127
	s_or_b32 s0, vcc_lo, s0
	s_wait_loadcnt_dscnt 0x0
	v_fmac_f32_e32 v126, v128, v129
	s_and_not1_b32 exec_lo, exec_lo, s0
	s_cbranch_execnz .LBB60_203
; %bb.204:
	s_or_b32 exec_lo, exec_lo, s0
.LBB60_205:
	s_delay_alu instid0(SALU_CYCLE_1)
	s_or_b32 exec_lo, exec_lo, s16
	v_mov_b32_e32 v127, 0
	ds_load_b32 v127, v127 offset:156
	s_wait_dscnt 0x0
	v_mul_f32_e32 v126, v126, v127
	scratch_store_b32 off, v126, off offset:156
.LBB60_206:
	s_wait_xcnt 0x0
	s_or_b32 exec_lo, exec_lo, s2
	scratch_load_b32 v126, off, off offset:152
	v_cmp_lt_u32_e64 s0, 38, v0
	s_wait_loadcnt 0x0
	ds_store_b32 v1, v126
	s_wait_storecnt_dscnt 0x0
	s_barrier_signal -1
	s_barrier_wait -1
	s_wait_xcnt 0x0
	s_and_saveexec_b32 s2, s0
	s_cbranch_execz .LBB60_216
; %bb.207:
	s_and_not1_b32 vcc_lo, exec_lo, s3
	s_cbranch_vccnz .LBB60_209
; %bb.208:
	scratch_load_b32 v126, v7, off
	ds_load_b32 v127, v1
	s_wait_loadcnt_dscnt 0x0
	v_mul_f32_e32 v126, v126, v127
	s_cbranch_execz .LBB60_210
	s_branch .LBB60_211
.LBB60_209:
                                        ; implicit-def: $vgpr126
.LBB60_210:
	ds_load_b32 v126, v1
.LBB60_211:
	s_and_saveexec_b32 s15, s1
	s_cbranch_execz .LBB60_215
; %bb.212:
	v_subrev_nc_u32_e32 v127, 39, v0
	s_movk_i32 s1, 0x9c
	s_movk_i32 s17, 0x19c
	s_mov_b32 s16, 0
.LBB60_213:                             ; =>This Inner Loop Header: Depth=1
	scratch_load_b32 v128, off, s1
	v_dual_mov_b32 v129, s17 :: v_dual_add_nc_u32 v127, -1, v127
	s_add_co_i32 s17, s17, 4
	s_wait_xcnt 0x0
	s_add_co_i32 s1, s1, 4
	ds_load_b32 v129, v129
	v_cmp_eq_u32_e32 vcc_lo, 0, v127
	s_or_b32 s16, vcc_lo, s16
	s_wait_loadcnt_dscnt 0x0
	v_fmac_f32_e32 v126, v128, v129
	s_and_not1_b32 exec_lo, exec_lo, s16
	s_cbranch_execnz .LBB60_213
; %bb.214:
	s_or_b32 exec_lo, exec_lo, s16
.LBB60_215:
	s_delay_alu instid0(SALU_CYCLE_1)
	s_or_b32 exec_lo, exec_lo, s15
	v_mov_b32_e32 v127, 0
	ds_load_b32 v127, v127 offset:152
	s_wait_dscnt 0x0
	v_mul_f32_e32 v126, v126, v127
	scratch_store_b32 off, v126, off offset:152
.LBB60_216:
	s_wait_xcnt 0x0
	s_or_b32 exec_lo, exec_lo, s2
	scratch_load_b32 v126, off, off offset:148
	v_cmp_lt_u32_e64 s1, 37, v0
	s_wait_loadcnt 0x0
	ds_store_b32 v1, v126
	s_wait_storecnt_dscnt 0x0
	s_barrier_signal -1
	s_barrier_wait -1
	s_wait_xcnt 0x0
	s_and_saveexec_b32 s2, s1
	s_cbranch_execz .LBB60_226
; %bb.217:
	s_and_not1_b32 vcc_lo, exec_lo, s3
	s_cbranch_vccnz .LBB60_219
; %bb.218:
	scratch_load_b32 v126, v7, off
	ds_load_b32 v127, v1
	s_wait_loadcnt_dscnt 0x0
	v_mul_f32_e32 v126, v126, v127
	s_cbranch_execz .LBB60_220
	s_branch .LBB60_221
.LBB60_219:
                                        ; implicit-def: $vgpr126
.LBB60_220:
	ds_load_b32 v126, v1
.LBB60_221:
	s_and_saveexec_b32 s15, s0
	s_cbranch_execz .LBB60_225
; %bb.222:
	v_subrev_nc_u32_e32 v127, 38, v0
	s_movk_i32 s0, 0x98
	s_movk_i32 s17, 0x198
	s_mov_b32 s16, 0
.LBB60_223:                             ; =>This Inner Loop Header: Depth=1
	scratch_load_b32 v128, off, s0
	v_dual_mov_b32 v129, s17 :: v_dual_add_nc_u32 v127, -1, v127
	s_add_co_i32 s17, s17, 4
	s_wait_xcnt 0x0
	s_add_co_i32 s0, s0, 4
	ds_load_b32 v129, v129
	v_cmp_eq_u32_e32 vcc_lo, 0, v127
	s_or_b32 s16, vcc_lo, s16
	s_wait_loadcnt_dscnt 0x0
	v_fmac_f32_e32 v126, v128, v129
	s_and_not1_b32 exec_lo, exec_lo, s16
	s_cbranch_execnz .LBB60_223
; %bb.224:
	s_or_b32 exec_lo, exec_lo, s16
.LBB60_225:
	s_delay_alu instid0(SALU_CYCLE_1)
	s_or_b32 exec_lo, exec_lo, s15
	v_mov_b32_e32 v127, 0
	ds_load_b32 v127, v127 offset:148
	s_wait_dscnt 0x0
	v_mul_f32_e32 v126, v126, v127
	scratch_store_b32 off, v126, off offset:148
.LBB60_226:
	;; [unrolled: 58-line block ×3, first 2 shown]
	s_wait_xcnt 0x0
	s_or_b32 exec_lo, exec_lo, s2
	scratch_load_b32 v126, off, off offset:140
	v_cmp_lt_u32_e64 s1, 35, v0
	s_wait_loadcnt 0x0
	ds_store_b32 v1, v126
	s_wait_storecnt_dscnt 0x0
	s_barrier_signal -1
	s_barrier_wait -1
	s_wait_xcnt 0x0
	s_and_saveexec_b32 s2, s1
	s_cbranch_execz .LBB60_246
; %bb.237:
	s_and_not1_b32 vcc_lo, exec_lo, s3
	s_cbranch_vccnz .LBB60_239
; %bb.238:
	scratch_load_b32 v126, v7, off
	ds_load_b32 v127, v1
	s_wait_loadcnt_dscnt 0x0
	v_mul_f32_e32 v126, v126, v127
	s_cbranch_execz .LBB60_240
	s_branch .LBB60_241
.LBB60_239:
                                        ; implicit-def: $vgpr126
.LBB60_240:
	ds_load_b32 v126, v1
.LBB60_241:
	s_and_saveexec_b32 s15, s0
	s_cbranch_execz .LBB60_245
; %bb.242:
	v_subrev_nc_u32_e32 v127, 36, v0
	s_movk_i32 s16, 0x190
	s_mov_b32 s0, 0
.LBB60_243:                             ; =>This Inner Loop Header: Depth=1
	scratch_load_b32 v128, off, s14
	v_dual_mov_b32 v129, s16 :: v_dual_add_nc_u32 v127, -1, v127
	s_add_co_i32 s16, s16, 4
	s_wait_xcnt 0x0
	s_add_co_i32 s14, s14, 4
	ds_load_b32 v129, v129
	v_cmp_eq_u32_e32 vcc_lo, 0, v127
	s_or_b32 s0, vcc_lo, s0
	s_wait_loadcnt_dscnt 0x0
	v_fmac_f32_e32 v126, v128, v129
	s_and_not1_b32 exec_lo, exec_lo, s0
	s_cbranch_execnz .LBB60_243
; %bb.244:
	s_or_b32 exec_lo, exec_lo, s0
.LBB60_245:
	s_delay_alu instid0(SALU_CYCLE_1)
	s_or_b32 exec_lo, exec_lo, s15
	v_mov_b32_e32 v127, 0
	ds_load_b32 v127, v127 offset:140
	s_wait_dscnt 0x0
	v_mul_f32_e32 v126, v126, v127
	scratch_store_b32 off, v126, off offset:140
.LBB60_246:
	s_wait_xcnt 0x0
	s_or_b32 exec_lo, exec_lo, s2
	scratch_load_b32 v126, off, off offset:136
	v_cmp_lt_u32_e64 s0, 34, v0
	s_wait_loadcnt 0x0
	ds_store_b32 v1, v126
	s_wait_storecnt_dscnt 0x0
	s_barrier_signal -1
	s_barrier_wait -1
	s_wait_xcnt 0x0
	s_and_saveexec_b32 s2, s0
	s_cbranch_execz .LBB60_256
; %bb.247:
	s_and_not1_b32 vcc_lo, exec_lo, s3
	s_cbranch_vccnz .LBB60_249
; %bb.248:
	scratch_load_b32 v126, v7, off
	ds_load_b32 v127, v1
	s_wait_loadcnt_dscnt 0x0
	v_mul_f32_e32 v126, v126, v127
	s_cbranch_execz .LBB60_250
	s_branch .LBB60_251
.LBB60_249:
                                        ; implicit-def: $vgpr126
.LBB60_250:
	ds_load_b32 v126, v1
.LBB60_251:
	s_and_saveexec_b32 s14, s1
	s_cbranch_execz .LBB60_255
; %bb.252:
	v_subrev_nc_u32_e32 v127, 35, v0
	s_movk_i32 s1, 0x8c
	s_movk_i32 s16, 0x18c
	s_mov_b32 s15, 0
.LBB60_253:                             ; =>This Inner Loop Header: Depth=1
	scratch_load_b32 v128, off, s1
	v_dual_mov_b32 v129, s16 :: v_dual_add_nc_u32 v127, -1, v127
	s_add_co_i32 s16, s16, 4
	s_wait_xcnt 0x0
	s_add_co_i32 s1, s1, 4
	ds_load_b32 v129, v129
	v_cmp_eq_u32_e32 vcc_lo, 0, v127
	s_or_b32 s15, vcc_lo, s15
	s_wait_loadcnt_dscnt 0x0
	v_fmac_f32_e32 v126, v128, v129
	s_and_not1_b32 exec_lo, exec_lo, s15
	s_cbranch_execnz .LBB60_253
; %bb.254:
	s_or_b32 exec_lo, exec_lo, s15
.LBB60_255:
	s_delay_alu instid0(SALU_CYCLE_1)
	s_or_b32 exec_lo, exec_lo, s14
	v_mov_b32_e32 v127, 0
	ds_load_b32 v127, v127 offset:136
	s_wait_dscnt 0x0
	v_mul_f32_e32 v126, v126, v127
	scratch_store_b32 off, v126, off offset:136
.LBB60_256:
	s_wait_xcnt 0x0
	s_or_b32 exec_lo, exec_lo, s2
	scratch_load_b32 v126, off, off offset:132
	v_cmp_lt_u32_e64 s1, 33, v0
	s_wait_loadcnt 0x0
	ds_store_b32 v1, v126
	s_wait_storecnt_dscnt 0x0
	s_barrier_signal -1
	s_barrier_wait -1
	s_wait_xcnt 0x0
	s_and_saveexec_b32 s2, s1
	s_cbranch_execz .LBB60_266
; %bb.257:
	s_and_not1_b32 vcc_lo, exec_lo, s3
	s_cbranch_vccnz .LBB60_259
; %bb.258:
	scratch_load_b32 v126, v7, off
	ds_load_b32 v127, v1
	s_wait_loadcnt_dscnt 0x0
	v_mul_f32_e32 v126, v126, v127
	s_cbranch_execz .LBB60_260
	s_branch .LBB60_261
.LBB60_259:
                                        ; implicit-def: $vgpr126
.LBB60_260:
	ds_load_b32 v126, v1
.LBB60_261:
	s_and_saveexec_b32 s14, s0
	s_cbranch_execz .LBB60_265
; %bb.262:
	v_subrev_nc_u32_e32 v127, 34, v0
	s_movk_i32 s0, 0x88
	s_movk_i32 s16, 0x188
	s_mov_b32 s15, 0
.LBB60_263:                             ; =>This Inner Loop Header: Depth=1
	scratch_load_b32 v128, off, s0
	v_dual_mov_b32 v129, s16 :: v_dual_add_nc_u32 v127, -1, v127
	s_add_co_i32 s16, s16, 4
	s_wait_xcnt 0x0
	s_add_co_i32 s0, s0, 4
	ds_load_b32 v129, v129
	v_cmp_eq_u32_e32 vcc_lo, 0, v127
	s_or_b32 s15, vcc_lo, s15
	s_wait_loadcnt_dscnt 0x0
	v_fmac_f32_e32 v126, v128, v129
	s_and_not1_b32 exec_lo, exec_lo, s15
	s_cbranch_execnz .LBB60_263
; %bb.264:
	s_or_b32 exec_lo, exec_lo, s15
.LBB60_265:
	s_delay_alu instid0(SALU_CYCLE_1)
	s_or_b32 exec_lo, exec_lo, s14
	v_mov_b32_e32 v127, 0
	ds_load_b32 v127, v127 offset:132
	s_wait_dscnt 0x0
	v_mul_f32_e32 v126, v126, v127
	scratch_store_b32 off, v126, off offset:132
.LBB60_266:
	;; [unrolled: 58-line block ×3, first 2 shown]
	s_wait_xcnt 0x0
	s_or_b32 exec_lo, exec_lo, s2
	scratch_load_b32 v126, off, off offset:124
	v_cmp_lt_u32_e64 s1, 31, v0
	s_wait_loadcnt 0x0
	ds_store_b32 v1, v126
	s_wait_storecnt_dscnt 0x0
	s_barrier_signal -1
	s_barrier_wait -1
	s_wait_xcnt 0x0
	s_and_saveexec_b32 s2, s1
	s_cbranch_execz .LBB60_286
; %bb.277:
	s_and_not1_b32 vcc_lo, exec_lo, s3
	s_cbranch_vccnz .LBB60_279
; %bb.278:
	scratch_load_b32 v126, v7, off
	ds_load_b32 v127, v1
	s_wait_loadcnt_dscnt 0x0
	v_mul_f32_e32 v126, v126, v127
	s_cbranch_execz .LBB60_280
	s_branch .LBB60_281
.LBB60_279:
                                        ; implicit-def: $vgpr126
.LBB60_280:
	ds_load_b32 v126, v1
.LBB60_281:
	s_and_saveexec_b32 s14, s0
	s_cbranch_execz .LBB60_285
; %bb.282:
	v_subrev_nc_u32_e32 v127, 32, v0
	s_movk_i32 s15, 0x180
	s_mov_b32 s0, 0
.LBB60_283:                             ; =>This Inner Loop Header: Depth=1
	scratch_load_b32 v128, off, s13
	v_dual_mov_b32 v129, s15 :: v_dual_add_nc_u32 v127, -1, v127
	s_add_co_i32 s15, s15, 4
	s_wait_xcnt 0x0
	s_add_co_i32 s13, s13, 4
	ds_load_b32 v129, v129
	v_cmp_eq_u32_e32 vcc_lo, 0, v127
	s_or_b32 s0, vcc_lo, s0
	s_wait_loadcnt_dscnt 0x0
	v_fmac_f32_e32 v126, v128, v129
	s_and_not1_b32 exec_lo, exec_lo, s0
	s_cbranch_execnz .LBB60_283
; %bb.284:
	s_or_b32 exec_lo, exec_lo, s0
.LBB60_285:
	s_delay_alu instid0(SALU_CYCLE_1)
	s_or_b32 exec_lo, exec_lo, s14
	v_mov_b32_e32 v127, 0
	ds_load_b32 v127, v127 offset:124
	s_wait_dscnt 0x0
	v_mul_f32_e32 v126, v126, v127
	scratch_store_b32 off, v126, off offset:124
.LBB60_286:
	s_wait_xcnt 0x0
	s_or_b32 exec_lo, exec_lo, s2
	scratch_load_b32 v126, off, off offset:120
	v_cmp_lt_u32_e64 s0, 30, v0
	s_wait_loadcnt 0x0
	ds_store_b32 v1, v126
	s_wait_storecnt_dscnt 0x0
	s_barrier_signal -1
	s_barrier_wait -1
	s_wait_xcnt 0x0
	s_and_saveexec_b32 s2, s0
	s_cbranch_execz .LBB60_296
; %bb.287:
	s_and_not1_b32 vcc_lo, exec_lo, s3
	s_cbranch_vccnz .LBB60_289
; %bb.288:
	scratch_load_b32 v126, v7, off
	ds_load_b32 v127, v1
	s_wait_loadcnt_dscnt 0x0
	v_mul_f32_e32 v126, v126, v127
	s_cbranch_execz .LBB60_290
	s_branch .LBB60_291
.LBB60_289:
                                        ; implicit-def: $vgpr126
.LBB60_290:
	ds_load_b32 v126, v1
.LBB60_291:
	s_and_saveexec_b32 s13, s1
	s_cbranch_execz .LBB60_295
; %bb.292:
	v_subrev_nc_u32_e32 v127, 31, v0
	s_movk_i32 s1, 0x7c
	s_movk_i32 s15, 0x17c
	s_mov_b32 s14, 0
.LBB60_293:                             ; =>This Inner Loop Header: Depth=1
	scratch_load_b32 v128, off, s1
	v_dual_mov_b32 v129, s15 :: v_dual_add_nc_u32 v127, -1, v127
	s_add_co_i32 s15, s15, 4
	s_wait_xcnt 0x0
	s_add_co_i32 s1, s1, 4
	ds_load_b32 v129, v129
	v_cmp_eq_u32_e32 vcc_lo, 0, v127
	s_or_b32 s14, vcc_lo, s14
	s_wait_loadcnt_dscnt 0x0
	v_fmac_f32_e32 v126, v128, v129
	s_and_not1_b32 exec_lo, exec_lo, s14
	s_cbranch_execnz .LBB60_293
; %bb.294:
	s_or_b32 exec_lo, exec_lo, s14
.LBB60_295:
	s_delay_alu instid0(SALU_CYCLE_1)
	s_or_b32 exec_lo, exec_lo, s13
	v_mov_b32_e32 v127, 0
	ds_load_b32 v127, v127 offset:120
	s_wait_dscnt 0x0
	v_mul_f32_e32 v126, v126, v127
	scratch_store_b32 off, v126, off offset:120
.LBB60_296:
	s_wait_xcnt 0x0
	s_or_b32 exec_lo, exec_lo, s2
	scratch_load_b32 v126, off, off offset:116
	v_cmp_lt_u32_e64 s1, 29, v0
	s_wait_loadcnt 0x0
	ds_store_b32 v1, v126
	s_wait_storecnt_dscnt 0x0
	s_barrier_signal -1
	s_barrier_wait -1
	s_wait_xcnt 0x0
	s_and_saveexec_b32 s2, s1
	s_cbranch_execz .LBB60_306
; %bb.297:
	s_and_not1_b32 vcc_lo, exec_lo, s3
	s_cbranch_vccnz .LBB60_299
; %bb.298:
	scratch_load_b32 v126, v7, off
	ds_load_b32 v127, v1
	s_wait_loadcnt_dscnt 0x0
	v_mul_f32_e32 v126, v126, v127
	s_cbranch_execz .LBB60_300
	s_branch .LBB60_301
.LBB60_299:
                                        ; implicit-def: $vgpr126
.LBB60_300:
	ds_load_b32 v126, v1
.LBB60_301:
	s_and_saveexec_b32 s13, s0
	s_cbranch_execz .LBB60_305
; %bb.302:
	v_subrev_nc_u32_e32 v127, 30, v0
	s_movk_i32 s0, 0x78
	s_movk_i32 s15, 0x178
	s_mov_b32 s14, 0
.LBB60_303:                             ; =>This Inner Loop Header: Depth=1
	scratch_load_b32 v128, off, s0
	v_dual_mov_b32 v129, s15 :: v_dual_add_nc_u32 v127, -1, v127
	s_add_co_i32 s15, s15, 4
	s_wait_xcnt 0x0
	s_add_co_i32 s0, s0, 4
	ds_load_b32 v129, v129
	v_cmp_eq_u32_e32 vcc_lo, 0, v127
	s_or_b32 s14, vcc_lo, s14
	s_wait_loadcnt_dscnt 0x0
	v_fmac_f32_e32 v126, v128, v129
	s_and_not1_b32 exec_lo, exec_lo, s14
	s_cbranch_execnz .LBB60_303
; %bb.304:
	s_or_b32 exec_lo, exec_lo, s14
.LBB60_305:
	s_delay_alu instid0(SALU_CYCLE_1)
	s_or_b32 exec_lo, exec_lo, s13
	v_mov_b32_e32 v127, 0
	ds_load_b32 v127, v127 offset:116
	s_wait_dscnt 0x0
	v_mul_f32_e32 v126, v126, v127
	scratch_store_b32 off, v126, off offset:116
.LBB60_306:
	;; [unrolled: 58-line block ×3, first 2 shown]
	s_wait_xcnt 0x0
	s_or_b32 exec_lo, exec_lo, s2
	scratch_load_b32 v126, off, off offset:108
	v_cmp_lt_u32_e64 s1, 27, v0
	s_wait_loadcnt 0x0
	ds_store_b32 v1, v126
	s_wait_storecnt_dscnt 0x0
	s_barrier_signal -1
	s_barrier_wait -1
	s_wait_xcnt 0x0
	s_and_saveexec_b32 s2, s1
	s_cbranch_execz .LBB60_326
; %bb.317:
	s_and_not1_b32 vcc_lo, exec_lo, s3
	s_cbranch_vccnz .LBB60_319
; %bb.318:
	scratch_load_b32 v126, v7, off
	ds_load_b32 v127, v1
	s_wait_loadcnt_dscnt 0x0
	v_mul_f32_e32 v126, v126, v127
	s_cbranch_execz .LBB60_320
	s_branch .LBB60_321
.LBB60_319:
                                        ; implicit-def: $vgpr126
.LBB60_320:
	ds_load_b32 v126, v1
.LBB60_321:
	s_and_saveexec_b32 s13, s0
	s_cbranch_execz .LBB60_325
; %bb.322:
	v_subrev_nc_u32_e32 v127, 28, v0
	s_movk_i32 s14, 0x170
	s_mov_b32 s0, 0
.LBB60_323:                             ; =>This Inner Loop Header: Depth=1
	scratch_load_b32 v128, off, s12
	v_dual_mov_b32 v129, s14 :: v_dual_add_nc_u32 v127, -1, v127
	s_add_co_i32 s14, s14, 4
	s_wait_xcnt 0x0
	s_add_co_i32 s12, s12, 4
	ds_load_b32 v129, v129
	v_cmp_eq_u32_e32 vcc_lo, 0, v127
	s_or_b32 s0, vcc_lo, s0
	s_wait_loadcnt_dscnt 0x0
	v_fmac_f32_e32 v126, v128, v129
	s_and_not1_b32 exec_lo, exec_lo, s0
	s_cbranch_execnz .LBB60_323
; %bb.324:
	s_or_b32 exec_lo, exec_lo, s0
.LBB60_325:
	s_delay_alu instid0(SALU_CYCLE_1)
	s_or_b32 exec_lo, exec_lo, s13
	v_mov_b32_e32 v127, 0
	ds_load_b32 v127, v127 offset:108
	s_wait_dscnt 0x0
	v_mul_f32_e32 v126, v126, v127
	scratch_store_b32 off, v126, off offset:108
.LBB60_326:
	s_wait_xcnt 0x0
	s_or_b32 exec_lo, exec_lo, s2
	scratch_load_b32 v126, off, off offset:104
	v_cmp_lt_u32_e64 s0, 26, v0
	s_wait_loadcnt 0x0
	ds_store_b32 v1, v126
	s_wait_storecnt_dscnt 0x0
	s_barrier_signal -1
	s_barrier_wait -1
	s_wait_xcnt 0x0
	s_and_saveexec_b32 s2, s0
	s_cbranch_execz .LBB60_336
; %bb.327:
	s_and_not1_b32 vcc_lo, exec_lo, s3
	s_cbranch_vccnz .LBB60_329
; %bb.328:
	scratch_load_b32 v126, v7, off
	ds_load_b32 v127, v1
	s_wait_loadcnt_dscnt 0x0
	v_mul_f32_e32 v126, v126, v127
	s_cbranch_execz .LBB60_330
	s_branch .LBB60_331
.LBB60_329:
                                        ; implicit-def: $vgpr126
.LBB60_330:
	ds_load_b32 v126, v1
.LBB60_331:
	s_and_saveexec_b32 s12, s1
	s_cbranch_execz .LBB60_335
; %bb.332:
	v_subrev_nc_u32_e32 v127, 27, v0
	s_movk_i32 s1, 0x6c
	s_movk_i32 s14, 0x16c
	s_mov_b32 s13, 0
.LBB60_333:                             ; =>This Inner Loop Header: Depth=1
	scratch_load_b32 v128, off, s1
	v_dual_mov_b32 v129, s14 :: v_dual_add_nc_u32 v127, -1, v127
	s_add_co_i32 s14, s14, 4
	s_wait_xcnt 0x0
	s_add_co_i32 s1, s1, 4
	ds_load_b32 v129, v129
	v_cmp_eq_u32_e32 vcc_lo, 0, v127
	s_or_b32 s13, vcc_lo, s13
	s_wait_loadcnt_dscnt 0x0
	v_fmac_f32_e32 v126, v128, v129
	s_and_not1_b32 exec_lo, exec_lo, s13
	s_cbranch_execnz .LBB60_333
; %bb.334:
	s_or_b32 exec_lo, exec_lo, s13
.LBB60_335:
	s_delay_alu instid0(SALU_CYCLE_1)
	s_or_b32 exec_lo, exec_lo, s12
	v_mov_b32_e32 v127, 0
	ds_load_b32 v127, v127 offset:104
	s_wait_dscnt 0x0
	v_mul_f32_e32 v126, v126, v127
	scratch_store_b32 off, v126, off offset:104
.LBB60_336:
	s_wait_xcnt 0x0
	s_or_b32 exec_lo, exec_lo, s2
	scratch_load_b32 v126, off, off offset:100
	v_cmp_lt_u32_e64 s1, 25, v0
	s_wait_loadcnt 0x0
	ds_store_b32 v1, v126
	s_wait_storecnt_dscnt 0x0
	s_barrier_signal -1
	s_barrier_wait -1
	s_wait_xcnt 0x0
	s_and_saveexec_b32 s2, s1
	s_cbranch_execz .LBB60_346
; %bb.337:
	s_and_not1_b32 vcc_lo, exec_lo, s3
	s_cbranch_vccnz .LBB60_339
; %bb.338:
	scratch_load_b32 v126, v7, off
	ds_load_b32 v127, v1
	s_wait_loadcnt_dscnt 0x0
	v_mul_f32_e32 v126, v126, v127
	s_cbranch_execz .LBB60_340
	s_branch .LBB60_341
.LBB60_339:
                                        ; implicit-def: $vgpr126
.LBB60_340:
	ds_load_b32 v126, v1
.LBB60_341:
	s_and_saveexec_b32 s12, s0
	s_cbranch_execz .LBB60_345
; %bb.342:
	v_subrev_nc_u32_e32 v127, 26, v0
	s_movk_i32 s0, 0x68
	s_movk_i32 s14, 0x168
	s_mov_b32 s13, 0
.LBB60_343:                             ; =>This Inner Loop Header: Depth=1
	scratch_load_b32 v128, off, s0
	v_dual_mov_b32 v129, s14 :: v_dual_add_nc_u32 v127, -1, v127
	s_add_co_i32 s14, s14, 4
	s_wait_xcnt 0x0
	s_add_co_i32 s0, s0, 4
	ds_load_b32 v129, v129
	v_cmp_eq_u32_e32 vcc_lo, 0, v127
	s_or_b32 s13, vcc_lo, s13
	s_wait_loadcnt_dscnt 0x0
	v_fmac_f32_e32 v126, v128, v129
	s_and_not1_b32 exec_lo, exec_lo, s13
	s_cbranch_execnz .LBB60_343
; %bb.344:
	s_or_b32 exec_lo, exec_lo, s13
.LBB60_345:
	s_delay_alu instid0(SALU_CYCLE_1)
	s_or_b32 exec_lo, exec_lo, s12
	v_mov_b32_e32 v127, 0
	ds_load_b32 v127, v127 offset:100
	s_wait_dscnt 0x0
	v_mul_f32_e32 v126, v126, v127
	scratch_store_b32 off, v126, off offset:100
.LBB60_346:
	;; [unrolled: 58-line block ×3, first 2 shown]
	s_wait_xcnt 0x0
	s_or_b32 exec_lo, exec_lo, s2
	scratch_load_b32 v126, off, off offset:92
	v_cmp_lt_u32_e64 s1, 23, v0
	s_wait_loadcnt 0x0
	ds_store_b32 v1, v126
	s_wait_storecnt_dscnt 0x0
	s_barrier_signal -1
	s_barrier_wait -1
	s_wait_xcnt 0x0
	s_and_saveexec_b32 s2, s1
	s_cbranch_execz .LBB60_366
; %bb.357:
	s_and_not1_b32 vcc_lo, exec_lo, s3
	s_cbranch_vccnz .LBB60_359
; %bb.358:
	scratch_load_b32 v126, v7, off
	ds_load_b32 v127, v1
	s_wait_loadcnt_dscnt 0x0
	v_mul_f32_e32 v126, v126, v127
	s_cbranch_execz .LBB60_360
	s_branch .LBB60_361
.LBB60_359:
                                        ; implicit-def: $vgpr126
.LBB60_360:
	ds_load_b32 v126, v1
.LBB60_361:
	s_and_saveexec_b32 s12, s0
	s_cbranch_execz .LBB60_365
; %bb.362:
	v_subrev_nc_u32_e32 v127, 24, v0
	s_movk_i32 s13, 0x160
	s_mov_b32 s0, 0
.LBB60_363:                             ; =>This Inner Loop Header: Depth=1
	scratch_load_b32 v128, off, s11
	v_dual_mov_b32 v129, s13 :: v_dual_add_nc_u32 v127, -1, v127
	s_add_co_i32 s13, s13, 4
	s_wait_xcnt 0x0
	s_add_co_i32 s11, s11, 4
	ds_load_b32 v129, v129
	v_cmp_eq_u32_e32 vcc_lo, 0, v127
	s_or_b32 s0, vcc_lo, s0
	s_wait_loadcnt_dscnt 0x0
	v_fmac_f32_e32 v126, v128, v129
	s_and_not1_b32 exec_lo, exec_lo, s0
	s_cbranch_execnz .LBB60_363
; %bb.364:
	s_or_b32 exec_lo, exec_lo, s0
.LBB60_365:
	s_delay_alu instid0(SALU_CYCLE_1)
	s_or_b32 exec_lo, exec_lo, s12
	v_mov_b32_e32 v127, 0
	ds_load_b32 v127, v127 offset:92
	s_wait_dscnt 0x0
	v_mul_f32_e32 v126, v126, v127
	scratch_store_b32 off, v126, off offset:92
.LBB60_366:
	s_wait_xcnt 0x0
	s_or_b32 exec_lo, exec_lo, s2
	scratch_load_b32 v126, off, off offset:88
	v_cmp_lt_u32_e64 s0, 22, v0
	s_wait_loadcnt 0x0
	ds_store_b32 v1, v126
	s_wait_storecnt_dscnt 0x0
	s_barrier_signal -1
	s_barrier_wait -1
	s_wait_xcnt 0x0
	s_and_saveexec_b32 s2, s0
	s_cbranch_execz .LBB60_376
; %bb.367:
	s_and_not1_b32 vcc_lo, exec_lo, s3
	s_cbranch_vccnz .LBB60_369
; %bb.368:
	scratch_load_b32 v126, v7, off
	ds_load_b32 v127, v1
	s_wait_loadcnt_dscnt 0x0
	v_mul_f32_e32 v126, v126, v127
	s_cbranch_execz .LBB60_370
	s_branch .LBB60_371
.LBB60_369:
                                        ; implicit-def: $vgpr126
.LBB60_370:
	ds_load_b32 v126, v1
.LBB60_371:
	s_and_saveexec_b32 s11, s1
	s_cbranch_execz .LBB60_375
; %bb.372:
	v_subrev_nc_u32_e32 v127, 23, v0
	s_movk_i32 s1, 0x5c
	s_movk_i32 s13, 0x15c
	s_mov_b32 s12, 0
.LBB60_373:                             ; =>This Inner Loop Header: Depth=1
	scratch_load_b32 v128, off, s1
	v_dual_mov_b32 v129, s13 :: v_dual_add_nc_u32 v127, -1, v127
	s_add_co_i32 s13, s13, 4
	s_wait_xcnt 0x0
	s_add_co_i32 s1, s1, 4
	ds_load_b32 v129, v129
	v_cmp_eq_u32_e32 vcc_lo, 0, v127
	s_or_b32 s12, vcc_lo, s12
	s_wait_loadcnt_dscnt 0x0
	v_fmac_f32_e32 v126, v128, v129
	s_and_not1_b32 exec_lo, exec_lo, s12
	s_cbranch_execnz .LBB60_373
; %bb.374:
	s_or_b32 exec_lo, exec_lo, s12
.LBB60_375:
	s_delay_alu instid0(SALU_CYCLE_1)
	s_or_b32 exec_lo, exec_lo, s11
	v_mov_b32_e32 v127, 0
	ds_load_b32 v127, v127 offset:88
	s_wait_dscnt 0x0
	v_mul_f32_e32 v126, v126, v127
	scratch_store_b32 off, v126, off offset:88
.LBB60_376:
	s_wait_xcnt 0x0
	s_or_b32 exec_lo, exec_lo, s2
	scratch_load_b32 v126, off, off offset:84
	v_cmp_lt_u32_e64 s1, 21, v0
	s_wait_loadcnt 0x0
	ds_store_b32 v1, v126
	s_wait_storecnt_dscnt 0x0
	s_barrier_signal -1
	s_barrier_wait -1
	s_wait_xcnt 0x0
	s_and_saveexec_b32 s2, s1
	s_cbranch_execz .LBB60_386
; %bb.377:
	s_and_not1_b32 vcc_lo, exec_lo, s3
	s_cbranch_vccnz .LBB60_379
; %bb.378:
	scratch_load_b32 v126, v7, off
	ds_load_b32 v127, v1
	s_wait_loadcnt_dscnt 0x0
	v_mul_f32_e32 v126, v126, v127
	s_cbranch_execz .LBB60_380
	s_branch .LBB60_381
.LBB60_379:
                                        ; implicit-def: $vgpr126
.LBB60_380:
	ds_load_b32 v126, v1
.LBB60_381:
	s_and_saveexec_b32 s11, s0
	s_cbranch_execz .LBB60_385
; %bb.382:
	v_subrev_nc_u32_e32 v127, 22, v0
	s_movk_i32 s0, 0x58
	s_movk_i32 s13, 0x158
	s_mov_b32 s12, 0
.LBB60_383:                             ; =>This Inner Loop Header: Depth=1
	scratch_load_b32 v128, off, s0
	v_dual_mov_b32 v129, s13 :: v_dual_add_nc_u32 v127, -1, v127
	s_add_co_i32 s13, s13, 4
	s_wait_xcnt 0x0
	s_add_co_i32 s0, s0, 4
	ds_load_b32 v129, v129
	v_cmp_eq_u32_e32 vcc_lo, 0, v127
	s_or_b32 s12, vcc_lo, s12
	s_wait_loadcnt_dscnt 0x0
	v_fmac_f32_e32 v126, v128, v129
	s_and_not1_b32 exec_lo, exec_lo, s12
	s_cbranch_execnz .LBB60_383
; %bb.384:
	s_or_b32 exec_lo, exec_lo, s12
.LBB60_385:
	s_delay_alu instid0(SALU_CYCLE_1)
	s_or_b32 exec_lo, exec_lo, s11
	v_mov_b32_e32 v127, 0
	ds_load_b32 v127, v127 offset:84
	s_wait_dscnt 0x0
	v_mul_f32_e32 v126, v126, v127
	scratch_store_b32 off, v126, off offset:84
.LBB60_386:
	;; [unrolled: 58-line block ×3, first 2 shown]
	s_wait_xcnt 0x0
	s_or_b32 exec_lo, exec_lo, s2
	scratch_load_b32 v126, off, off offset:76
	v_cmp_lt_u32_e64 s1, 19, v0
	s_wait_loadcnt 0x0
	ds_store_b32 v1, v126
	s_wait_storecnt_dscnt 0x0
	s_barrier_signal -1
	s_barrier_wait -1
	s_wait_xcnt 0x0
	s_and_saveexec_b32 s2, s1
	s_cbranch_execz .LBB60_406
; %bb.397:
	s_and_not1_b32 vcc_lo, exec_lo, s3
	s_cbranch_vccnz .LBB60_399
; %bb.398:
	scratch_load_b32 v126, v7, off
	ds_load_b32 v127, v1
	s_wait_loadcnt_dscnt 0x0
	v_mul_f32_e32 v126, v126, v127
	s_cbranch_execz .LBB60_400
	s_branch .LBB60_401
.LBB60_399:
                                        ; implicit-def: $vgpr126
.LBB60_400:
	ds_load_b32 v126, v1
.LBB60_401:
	s_and_saveexec_b32 s11, s0
	s_cbranch_execz .LBB60_405
; %bb.402:
	v_subrev_nc_u32_e32 v127, 20, v0
	s_movk_i32 s12, 0x150
	s_mov_b32 s0, 0
.LBB60_403:                             ; =>This Inner Loop Header: Depth=1
	scratch_load_b32 v128, off, s10
	v_dual_mov_b32 v129, s12 :: v_dual_add_nc_u32 v127, -1, v127
	s_add_co_i32 s12, s12, 4
	s_wait_xcnt 0x0
	s_add_co_i32 s10, s10, 4
	ds_load_b32 v129, v129
	v_cmp_eq_u32_e32 vcc_lo, 0, v127
	s_or_b32 s0, vcc_lo, s0
	s_wait_loadcnt_dscnt 0x0
	v_fmac_f32_e32 v126, v128, v129
	s_and_not1_b32 exec_lo, exec_lo, s0
	s_cbranch_execnz .LBB60_403
; %bb.404:
	s_or_b32 exec_lo, exec_lo, s0
.LBB60_405:
	s_delay_alu instid0(SALU_CYCLE_1)
	s_or_b32 exec_lo, exec_lo, s11
	v_mov_b32_e32 v127, 0
	ds_load_b32 v127, v127 offset:76
	s_wait_dscnt 0x0
	v_mul_f32_e32 v126, v126, v127
	scratch_store_b32 off, v126, off offset:76
.LBB60_406:
	s_wait_xcnt 0x0
	s_or_b32 exec_lo, exec_lo, s2
	scratch_load_b32 v126, off, off offset:72
	v_cmp_lt_u32_e64 s0, 18, v0
	s_wait_loadcnt 0x0
	ds_store_b32 v1, v126
	s_wait_storecnt_dscnt 0x0
	s_barrier_signal -1
	s_barrier_wait -1
	s_wait_xcnt 0x0
	s_and_saveexec_b32 s2, s0
	s_cbranch_execz .LBB60_416
; %bb.407:
	s_and_not1_b32 vcc_lo, exec_lo, s3
	s_cbranch_vccnz .LBB60_409
; %bb.408:
	scratch_load_b32 v126, v7, off
	ds_load_b32 v127, v1
	s_wait_loadcnt_dscnt 0x0
	v_mul_f32_e32 v126, v126, v127
	s_cbranch_execz .LBB60_410
	s_branch .LBB60_411
.LBB60_409:
                                        ; implicit-def: $vgpr126
.LBB60_410:
	ds_load_b32 v126, v1
.LBB60_411:
	s_and_saveexec_b32 s10, s1
	s_cbranch_execz .LBB60_415
; %bb.412:
	v_subrev_nc_u32_e32 v127, 19, v0
	s_movk_i32 s1, 0x4c
	s_movk_i32 s12, 0x14c
	s_mov_b32 s11, 0
.LBB60_413:                             ; =>This Inner Loop Header: Depth=1
	scratch_load_b32 v128, off, s1
	v_dual_mov_b32 v129, s12 :: v_dual_add_nc_u32 v127, -1, v127
	s_add_co_i32 s12, s12, 4
	s_wait_xcnt 0x0
	s_add_co_i32 s1, s1, 4
	ds_load_b32 v129, v129
	v_cmp_eq_u32_e32 vcc_lo, 0, v127
	s_or_b32 s11, vcc_lo, s11
	s_wait_loadcnt_dscnt 0x0
	v_fmac_f32_e32 v126, v128, v129
	s_and_not1_b32 exec_lo, exec_lo, s11
	s_cbranch_execnz .LBB60_413
; %bb.414:
	s_or_b32 exec_lo, exec_lo, s11
.LBB60_415:
	s_delay_alu instid0(SALU_CYCLE_1)
	s_or_b32 exec_lo, exec_lo, s10
	v_mov_b32_e32 v127, 0
	ds_load_b32 v127, v127 offset:72
	s_wait_dscnt 0x0
	v_mul_f32_e32 v126, v126, v127
	scratch_store_b32 off, v126, off offset:72
.LBB60_416:
	s_wait_xcnt 0x0
	s_or_b32 exec_lo, exec_lo, s2
	scratch_load_b32 v126, off, off offset:68
	v_cmp_lt_u32_e64 s1, 17, v0
	s_wait_loadcnt 0x0
	ds_store_b32 v1, v126
	s_wait_storecnt_dscnt 0x0
	s_barrier_signal -1
	s_barrier_wait -1
	s_wait_xcnt 0x0
	s_and_saveexec_b32 s2, s1
	s_cbranch_execz .LBB60_426
; %bb.417:
	s_and_not1_b32 vcc_lo, exec_lo, s3
	s_cbranch_vccnz .LBB60_419
; %bb.418:
	scratch_load_b32 v126, v7, off
	ds_load_b32 v127, v1
	s_wait_loadcnt_dscnt 0x0
	v_mul_f32_e32 v126, v126, v127
	s_cbranch_execz .LBB60_420
	s_branch .LBB60_421
.LBB60_419:
                                        ; implicit-def: $vgpr126
.LBB60_420:
	ds_load_b32 v126, v1
.LBB60_421:
	s_and_saveexec_b32 s10, s0
	s_cbranch_execz .LBB60_425
; %bb.422:
	v_subrev_nc_u32_e32 v127, 18, v0
	s_movk_i32 s0, 0x48
	s_movk_i32 s12, 0x148
	s_mov_b32 s11, 0
.LBB60_423:                             ; =>This Inner Loop Header: Depth=1
	scratch_load_b32 v128, off, s0
	v_dual_mov_b32 v129, s12 :: v_dual_add_nc_u32 v127, -1, v127
	s_add_co_i32 s12, s12, 4
	s_wait_xcnt 0x0
	s_add_co_i32 s0, s0, 4
	ds_load_b32 v129, v129
	v_cmp_eq_u32_e32 vcc_lo, 0, v127
	s_or_b32 s11, vcc_lo, s11
	s_wait_loadcnt_dscnt 0x0
	v_fmac_f32_e32 v126, v128, v129
	s_and_not1_b32 exec_lo, exec_lo, s11
	s_cbranch_execnz .LBB60_423
; %bb.424:
	s_or_b32 exec_lo, exec_lo, s11
.LBB60_425:
	s_delay_alu instid0(SALU_CYCLE_1)
	s_or_b32 exec_lo, exec_lo, s10
	v_mov_b32_e32 v127, 0
	ds_load_b32 v127, v127 offset:68
	s_wait_dscnt 0x0
	v_mul_f32_e32 v126, v126, v127
	scratch_store_b32 off, v126, off offset:68
.LBB60_426:
	;; [unrolled: 58-line block ×3, first 2 shown]
	s_wait_xcnt 0x0
	s_or_b32 exec_lo, exec_lo, s2
	scratch_load_b32 v126, off, off offset:60
	v_cmp_lt_u32_e64 s1, 15, v0
	s_wait_loadcnt 0x0
	ds_store_b32 v1, v126
	s_wait_storecnt_dscnt 0x0
	s_barrier_signal -1
	s_barrier_wait -1
	s_wait_xcnt 0x0
	s_and_saveexec_b32 s2, s1
	s_cbranch_execz .LBB60_446
; %bb.437:
	s_and_not1_b32 vcc_lo, exec_lo, s3
	s_cbranch_vccnz .LBB60_439
; %bb.438:
	scratch_load_b32 v126, v7, off
	ds_load_b32 v127, v1
	s_wait_loadcnt_dscnt 0x0
	v_mul_f32_e32 v126, v126, v127
	s_cbranch_execz .LBB60_440
	s_branch .LBB60_441
.LBB60_439:
                                        ; implicit-def: $vgpr126
.LBB60_440:
	ds_load_b32 v126, v1
.LBB60_441:
	s_and_saveexec_b32 s10, s0
	s_cbranch_execz .LBB60_445
; %bb.442:
	v_add_nc_u32_e32 v127, -16, v0
	s_movk_i32 s11, 0x140
	s_mov_b32 s0, 0
.LBB60_443:                             ; =>This Inner Loop Header: Depth=1
	scratch_load_b32 v128, off, s9
	v_dual_mov_b32 v129, s11 :: v_dual_add_nc_u32 v127, -1, v127
	s_add_co_i32 s11, s11, 4
	s_wait_xcnt 0x0
	s_add_co_i32 s9, s9, 4
	ds_load_b32 v129, v129
	v_cmp_eq_u32_e32 vcc_lo, 0, v127
	s_or_b32 s0, vcc_lo, s0
	s_wait_loadcnt_dscnt 0x0
	v_fmac_f32_e32 v126, v128, v129
	s_and_not1_b32 exec_lo, exec_lo, s0
	s_cbranch_execnz .LBB60_443
; %bb.444:
	s_or_b32 exec_lo, exec_lo, s0
.LBB60_445:
	s_delay_alu instid0(SALU_CYCLE_1)
	s_or_b32 exec_lo, exec_lo, s10
	v_mov_b32_e32 v127, 0
	ds_load_b32 v127, v127 offset:60
	s_wait_dscnt 0x0
	v_mul_f32_e32 v126, v126, v127
	scratch_store_b32 off, v126, off offset:60
.LBB60_446:
	s_wait_xcnt 0x0
	s_or_b32 exec_lo, exec_lo, s2
	scratch_load_b32 v126, off, off offset:56
	v_cmp_lt_u32_e64 s0, 14, v0
	s_wait_loadcnt 0x0
	ds_store_b32 v1, v126
	s_wait_storecnt_dscnt 0x0
	s_barrier_signal -1
	s_barrier_wait -1
	s_wait_xcnt 0x0
	s_and_saveexec_b32 s2, s0
	s_cbranch_execz .LBB60_456
; %bb.447:
	s_and_not1_b32 vcc_lo, exec_lo, s3
	s_cbranch_vccnz .LBB60_449
; %bb.448:
	scratch_load_b32 v126, v7, off
	ds_load_b32 v127, v1
	s_wait_loadcnt_dscnt 0x0
	v_mul_f32_e32 v126, v126, v127
	s_cbranch_execz .LBB60_450
	s_branch .LBB60_451
.LBB60_449:
                                        ; implicit-def: $vgpr126
.LBB60_450:
	ds_load_b32 v126, v1
.LBB60_451:
	s_and_saveexec_b32 s9, s1
	s_cbranch_execz .LBB60_455
; %bb.452:
	v_add_nc_u32_e32 v127, -15, v0
	s_mov_b32 s1, 60
	s_movk_i32 s11, 0x13c
	s_mov_b32 s10, 0
.LBB60_453:                             ; =>This Inner Loop Header: Depth=1
	scratch_load_b32 v128, off, s1
	v_dual_mov_b32 v129, s11 :: v_dual_add_nc_u32 v127, -1, v127
	s_add_co_i32 s11, s11, 4
	s_wait_xcnt 0x0
	s_add_co_i32 s1, s1, 4
	ds_load_b32 v129, v129
	v_cmp_eq_u32_e32 vcc_lo, 0, v127
	s_or_b32 s10, vcc_lo, s10
	s_wait_loadcnt_dscnt 0x0
	v_fmac_f32_e32 v126, v128, v129
	s_and_not1_b32 exec_lo, exec_lo, s10
	s_cbranch_execnz .LBB60_453
; %bb.454:
	s_or_b32 exec_lo, exec_lo, s10
.LBB60_455:
	s_delay_alu instid0(SALU_CYCLE_1)
	s_or_b32 exec_lo, exec_lo, s9
	v_mov_b32_e32 v127, 0
	ds_load_b32 v127, v127 offset:56
	s_wait_dscnt 0x0
	v_mul_f32_e32 v126, v126, v127
	scratch_store_b32 off, v126, off offset:56
.LBB60_456:
	s_wait_xcnt 0x0
	s_or_b32 exec_lo, exec_lo, s2
	scratch_load_b32 v126, off, off offset:52
	v_cmp_lt_u32_e64 s1, 13, v0
	s_wait_loadcnt 0x0
	ds_store_b32 v1, v126
	s_wait_storecnt_dscnt 0x0
	s_barrier_signal -1
	s_barrier_wait -1
	s_wait_xcnt 0x0
	s_and_saveexec_b32 s2, s1
	s_cbranch_execz .LBB60_466
; %bb.457:
	s_and_not1_b32 vcc_lo, exec_lo, s3
	s_cbranch_vccnz .LBB60_459
; %bb.458:
	scratch_load_b32 v126, v7, off
	ds_load_b32 v127, v1
	s_wait_loadcnt_dscnt 0x0
	v_mul_f32_e32 v126, v126, v127
	s_cbranch_execz .LBB60_460
	s_branch .LBB60_461
.LBB60_459:
                                        ; implicit-def: $vgpr126
.LBB60_460:
	ds_load_b32 v126, v1
.LBB60_461:
	s_and_saveexec_b32 s9, s0
	s_cbranch_execz .LBB60_465
; %bb.462:
	v_add_nc_u32_e32 v127, -14, v0
	s_mov_b32 s0, 56
	s_movk_i32 s11, 0x138
	s_mov_b32 s10, 0
.LBB60_463:                             ; =>This Inner Loop Header: Depth=1
	scratch_load_b32 v128, off, s0
	v_dual_mov_b32 v129, s11 :: v_dual_add_nc_u32 v127, -1, v127
	s_add_co_i32 s11, s11, 4
	s_wait_xcnt 0x0
	s_add_co_i32 s0, s0, 4
	ds_load_b32 v129, v129
	v_cmp_eq_u32_e32 vcc_lo, 0, v127
	s_or_b32 s10, vcc_lo, s10
	s_wait_loadcnt_dscnt 0x0
	v_fmac_f32_e32 v126, v128, v129
	s_and_not1_b32 exec_lo, exec_lo, s10
	s_cbranch_execnz .LBB60_463
; %bb.464:
	s_or_b32 exec_lo, exec_lo, s10
.LBB60_465:
	s_delay_alu instid0(SALU_CYCLE_1)
	s_or_b32 exec_lo, exec_lo, s9
	v_mov_b32_e32 v127, 0
	ds_load_b32 v127, v127 offset:52
	s_wait_dscnt 0x0
	v_mul_f32_e32 v126, v126, v127
	scratch_store_b32 off, v126, off offset:52
.LBB60_466:
	;; [unrolled: 58-line block ×3, first 2 shown]
	s_wait_xcnt 0x0
	s_or_b32 exec_lo, exec_lo, s2
	scratch_load_b32 v126, off, off offset:44
	v_cmp_lt_u32_e64 s1, 11, v0
	s_wait_loadcnt 0x0
	ds_store_b32 v1, v126
	s_wait_storecnt_dscnt 0x0
	s_barrier_signal -1
	s_barrier_wait -1
	s_wait_xcnt 0x0
	s_and_saveexec_b32 s2, s1
	s_cbranch_execz .LBB60_486
; %bb.477:
	s_and_not1_b32 vcc_lo, exec_lo, s3
	s_cbranch_vccnz .LBB60_479
; %bb.478:
	scratch_load_b32 v126, v7, off
	ds_load_b32 v127, v1
	s_wait_loadcnt_dscnt 0x0
	v_mul_f32_e32 v126, v126, v127
	s_cbranch_execz .LBB60_480
	s_branch .LBB60_481
.LBB60_479:
                                        ; implicit-def: $vgpr126
.LBB60_480:
	ds_load_b32 v126, v1
.LBB60_481:
	s_and_saveexec_b32 s9, s0
	s_cbranch_execz .LBB60_485
; %bb.482:
	v_add_nc_u32_e32 v127, -12, v0
	s_movk_i32 s10, 0x130
	s_mov_b32 s0, 0
.LBB60_483:                             ; =>This Inner Loop Header: Depth=1
	scratch_load_b32 v128, off, s8
	v_dual_mov_b32 v129, s10 :: v_dual_add_nc_u32 v127, -1, v127
	s_add_co_i32 s10, s10, 4
	s_wait_xcnt 0x0
	s_add_co_i32 s8, s8, 4
	ds_load_b32 v129, v129
	v_cmp_eq_u32_e32 vcc_lo, 0, v127
	s_or_b32 s0, vcc_lo, s0
	s_wait_loadcnt_dscnt 0x0
	v_fmac_f32_e32 v126, v128, v129
	s_and_not1_b32 exec_lo, exec_lo, s0
	s_cbranch_execnz .LBB60_483
; %bb.484:
	s_or_b32 exec_lo, exec_lo, s0
.LBB60_485:
	s_delay_alu instid0(SALU_CYCLE_1)
	s_or_b32 exec_lo, exec_lo, s9
	v_mov_b32_e32 v127, 0
	ds_load_b32 v127, v127 offset:44
	s_wait_dscnt 0x0
	v_mul_f32_e32 v126, v126, v127
	scratch_store_b32 off, v126, off offset:44
.LBB60_486:
	s_wait_xcnt 0x0
	s_or_b32 exec_lo, exec_lo, s2
	scratch_load_b32 v126, off, off offset:40
	v_cmp_lt_u32_e64 s0, 10, v0
	s_wait_loadcnt 0x0
	ds_store_b32 v1, v126
	s_wait_storecnt_dscnt 0x0
	s_barrier_signal -1
	s_barrier_wait -1
	s_wait_xcnt 0x0
	s_and_saveexec_b32 s2, s0
	s_cbranch_execz .LBB60_496
; %bb.487:
	s_and_not1_b32 vcc_lo, exec_lo, s3
	s_cbranch_vccnz .LBB60_489
; %bb.488:
	scratch_load_b32 v126, v7, off
	ds_load_b32 v127, v1
	s_wait_loadcnt_dscnt 0x0
	v_mul_f32_e32 v126, v126, v127
	s_cbranch_execz .LBB60_490
	s_branch .LBB60_491
.LBB60_489:
                                        ; implicit-def: $vgpr126
.LBB60_490:
	ds_load_b32 v126, v1
.LBB60_491:
	s_and_saveexec_b32 s8, s1
	s_cbranch_execz .LBB60_495
; %bb.492:
	v_add_nc_u32_e32 v127, -11, v0
	s_mov_b32 s1, 44
	s_movk_i32 s10, 0x12c
	s_mov_b32 s9, 0
.LBB60_493:                             ; =>This Inner Loop Header: Depth=1
	scratch_load_b32 v128, off, s1
	v_dual_mov_b32 v129, s10 :: v_dual_add_nc_u32 v127, -1, v127
	s_add_co_i32 s10, s10, 4
	s_wait_xcnt 0x0
	s_add_co_i32 s1, s1, 4
	ds_load_b32 v129, v129
	v_cmp_eq_u32_e32 vcc_lo, 0, v127
	s_or_b32 s9, vcc_lo, s9
	s_wait_loadcnt_dscnt 0x0
	v_fmac_f32_e32 v126, v128, v129
	s_and_not1_b32 exec_lo, exec_lo, s9
	s_cbranch_execnz .LBB60_493
; %bb.494:
	s_or_b32 exec_lo, exec_lo, s9
.LBB60_495:
	s_delay_alu instid0(SALU_CYCLE_1)
	s_or_b32 exec_lo, exec_lo, s8
	v_mov_b32_e32 v127, 0
	ds_load_b32 v127, v127 offset:40
	s_wait_dscnt 0x0
	v_mul_f32_e32 v126, v126, v127
	scratch_store_b32 off, v126, off offset:40
.LBB60_496:
	s_wait_xcnt 0x0
	s_or_b32 exec_lo, exec_lo, s2
	scratch_load_b32 v126, off, off offset:36
	v_cmp_lt_u32_e64 s1, 9, v0
	s_wait_loadcnt 0x0
	ds_store_b32 v1, v126
	s_wait_storecnt_dscnt 0x0
	s_barrier_signal -1
	s_barrier_wait -1
	s_wait_xcnt 0x0
	s_and_saveexec_b32 s2, s1
	s_cbranch_execz .LBB60_506
; %bb.497:
	s_and_not1_b32 vcc_lo, exec_lo, s3
	s_cbranch_vccnz .LBB60_499
; %bb.498:
	scratch_load_b32 v126, v7, off
	ds_load_b32 v127, v1
	s_wait_loadcnt_dscnt 0x0
	v_mul_f32_e32 v126, v126, v127
	s_cbranch_execz .LBB60_500
	s_branch .LBB60_501
.LBB60_499:
                                        ; implicit-def: $vgpr126
.LBB60_500:
	ds_load_b32 v126, v1
.LBB60_501:
	s_and_saveexec_b32 s8, s0
	s_cbranch_execz .LBB60_505
; %bb.502:
	v_add_nc_u32_e32 v127, -10, v0
	s_mov_b32 s0, 40
	s_movk_i32 s10, 0x128
	s_mov_b32 s9, 0
.LBB60_503:                             ; =>This Inner Loop Header: Depth=1
	scratch_load_b32 v128, off, s0
	v_dual_mov_b32 v129, s10 :: v_dual_add_nc_u32 v127, -1, v127
	s_add_co_i32 s10, s10, 4
	s_wait_xcnt 0x0
	s_add_co_i32 s0, s0, 4
	ds_load_b32 v129, v129
	v_cmp_eq_u32_e32 vcc_lo, 0, v127
	s_or_b32 s9, vcc_lo, s9
	s_wait_loadcnt_dscnt 0x0
	v_fmac_f32_e32 v126, v128, v129
	s_and_not1_b32 exec_lo, exec_lo, s9
	s_cbranch_execnz .LBB60_503
; %bb.504:
	s_or_b32 exec_lo, exec_lo, s9
.LBB60_505:
	s_delay_alu instid0(SALU_CYCLE_1)
	s_or_b32 exec_lo, exec_lo, s8
	v_mov_b32_e32 v127, 0
	ds_load_b32 v127, v127 offset:36
	s_wait_dscnt 0x0
	v_mul_f32_e32 v126, v126, v127
	scratch_store_b32 off, v126, off offset:36
.LBB60_506:
	;; [unrolled: 58-line block ×3, first 2 shown]
	s_wait_xcnt 0x0
	s_or_b32 exec_lo, exec_lo, s2
	scratch_load_b32 v126, off, off offset:28
	v_cmp_lt_u32_e64 s1, 7, v0
	s_wait_loadcnt 0x0
	ds_store_b32 v1, v126
	s_wait_storecnt_dscnt 0x0
	s_barrier_signal -1
	s_barrier_wait -1
	s_wait_xcnt 0x0
	s_and_saveexec_b32 s2, s1
	s_cbranch_execz .LBB60_526
; %bb.517:
	s_and_not1_b32 vcc_lo, exec_lo, s3
	s_cbranch_vccnz .LBB60_519
; %bb.518:
	scratch_load_b32 v126, v7, off
	ds_load_b32 v127, v1
	s_wait_loadcnt_dscnt 0x0
	v_mul_f32_e32 v126, v126, v127
	s_cbranch_execz .LBB60_520
	s_branch .LBB60_521
.LBB60_519:
                                        ; implicit-def: $vgpr126
.LBB60_520:
	ds_load_b32 v126, v1
.LBB60_521:
	s_and_saveexec_b32 s8, s0
	s_cbranch_execz .LBB60_525
; %bb.522:
	v_add_nc_u32_e32 v127, -8, v0
	s_movk_i32 s9, 0x120
	s_mov_b32 s0, 0
.LBB60_523:                             ; =>This Inner Loop Header: Depth=1
	scratch_load_b32 v128, off, s5
	v_dual_mov_b32 v129, s9 :: v_dual_add_nc_u32 v127, -1, v127
	s_add_co_i32 s9, s9, 4
	s_wait_xcnt 0x0
	s_add_co_i32 s5, s5, 4
	ds_load_b32 v129, v129
	v_cmp_eq_u32_e32 vcc_lo, 0, v127
	s_or_b32 s0, vcc_lo, s0
	s_wait_loadcnt_dscnt 0x0
	v_fmac_f32_e32 v126, v128, v129
	s_and_not1_b32 exec_lo, exec_lo, s0
	s_cbranch_execnz .LBB60_523
; %bb.524:
	s_or_b32 exec_lo, exec_lo, s0
.LBB60_525:
	s_delay_alu instid0(SALU_CYCLE_1)
	s_or_b32 exec_lo, exec_lo, s8
	v_mov_b32_e32 v127, 0
	ds_load_b32 v127, v127 offset:28
	s_wait_dscnt 0x0
	v_mul_f32_e32 v126, v126, v127
	scratch_store_b32 off, v126, off offset:28
.LBB60_526:
	s_wait_xcnt 0x0
	s_or_b32 exec_lo, exec_lo, s2
	scratch_load_b32 v126, off, off offset:24
	v_cmp_lt_u32_e64 s0, 6, v0
	s_wait_loadcnt 0x0
	ds_store_b32 v1, v126
	s_wait_storecnt_dscnt 0x0
	s_barrier_signal -1
	s_barrier_wait -1
	s_wait_xcnt 0x0
	s_and_saveexec_b32 s2, s0
	s_cbranch_execz .LBB60_536
; %bb.527:
	s_and_not1_b32 vcc_lo, exec_lo, s3
	s_cbranch_vccnz .LBB60_529
; %bb.528:
	scratch_load_b32 v126, v7, off
	ds_load_b32 v127, v1
	s_wait_loadcnt_dscnt 0x0
	v_mul_f32_e32 v126, v126, v127
	s_cbranch_execz .LBB60_530
	s_branch .LBB60_531
.LBB60_529:
                                        ; implicit-def: $vgpr126
.LBB60_530:
	ds_load_b32 v126, v1
.LBB60_531:
	s_and_saveexec_b32 s5, s1
	s_cbranch_execz .LBB60_535
; %bb.532:
	v_add_nc_u32_e32 v127, -7, v0
	s_mov_b32 s1, 28
	s_movk_i32 s9, 0x11c
	s_mov_b32 s8, 0
.LBB60_533:                             ; =>This Inner Loop Header: Depth=1
	scratch_load_b32 v128, off, s1
	v_dual_mov_b32 v129, s9 :: v_dual_add_nc_u32 v127, -1, v127
	s_add_co_i32 s9, s9, 4
	s_wait_xcnt 0x0
	s_add_co_i32 s1, s1, 4
	ds_load_b32 v129, v129
	v_cmp_eq_u32_e32 vcc_lo, 0, v127
	s_or_b32 s8, vcc_lo, s8
	s_wait_loadcnt_dscnt 0x0
	v_fmac_f32_e32 v126, v128, v129
	s_and_not1_b32 exec_lo, exec_lo, s8
	s_cbranch_execnz .LBB60_533
; %bb.534:
	s_or_b32 exec_lo, exec_lo, s8
.LBB60_535:
	s_delay_alu instid0(SALU_CYCLE_1)
	s_or_b32 exec_lo, exec_lo, s5
	v_mov_b32_e32 v127, 0
	ds_load_b32 v127, v127 offset:24
	s_wait_dscnt 0x0
	v_mul_f32_e32 v126, v126, v127
	scratch_store_b32 off, v126, off offset:24
.LBB60_536:
	s_wait_xcnt 0x0
	s_or_b32 exec_lo, exec_lo, s2
	scratch_load_b32 v126, off, off offset:20
	v_cmp_lt_u32_e64 s1, 5, v0
	s_wait_loadcnt 0x0
	ds_store_b32 v1, v126
	s_wait_storecnt_dscnt 0x0
	s_barrier_signal -1
	s_barrier_wait -1
	s_wait_xcnt 0x0
	s_and_saveexec_b32 s2, s1
	s_cbranch_execz .LBB60_546
; %bb.537:
	s_and_not1_b32 vcc_lo, exec_lo, s3
	s_cbranch_vccnz .LBB60_539
; %bb.538:
	scratch_load_b32 v126, v7, off
	ds_load_b32 v127, v1
	s_wait_loadcnt_dscnt 0x0
	v_mul_f32_e32 v126, v126, v127
	s_cbranch_execz .LBB60_540
	s_branch .LBB60_541
.LBB60_539:
                                        ; implicit-def: $vgpr126
.LBB60_540:
	ds_load_b32 v126, v1
.LBB60_541:
	s_and_saveexec_b32 s5, s0
	s_cbranch_execz .LBB60_545
; %bb.542:
	v_add_nc_u32_e32 v127, -6, v0
	s_mov_b32 s0, 24
	s_movk_i32 s9, 0x118
	s_mov_b32 s8, 0
.LBB60_543:                             ; =>This Inner Loop Header: Depth=1
	scratch_load_b32 v128, off, s0
	v_dual_mov_b32 v129, s9 :: v_dual_add_nc_u32 v127, -1, v127
	s_add_co_i32 s9, s9, 4
	s_wait_xcnt 0x0
	s_add_co_i32 s0, s0, 4
	ds_load_b32 v129, v129
	v_cmp_eq_u32_e32 vcc_lo, 0, v127
	s_or_b32 s8, vcc_lo, s8
	s_wait_loadcnt_dscnt 0x0
	v_fmac_f32_e32 v126, v128, v129
	s_and_not1_b32 exec_lo, exec_lo, s8
	s_cbranch_execnz .LBB60_543
; %bb.544:
	s_or_b32 exec_lo, exec_lo, s8
.LBB60_545:
	s_delay_alu instid0(SALU_CYCLE_1)
	s_or_b32 exec_lo, exec_lo, s5
	v_mov_b32_e32 v127, 0
	ds_load_b32 v127, v127 offset:20
	s_wait_dscnt 0x0
	v_mul_f32_e32 v126, v126, v127
	scratch_store_b32 off, v126, off offset:20
.LBB60_546:
	;; [unrolled: 58-line block ×3, first 2 shown]
	s_wait_xcnt 0x0
	s_or_b32 exec_lo, exec_lo, s2
	scratch_load_b32 v126, off, off offset:12
	v_cmp_lt_u32_e64 s2, 3, v0
	s_wait_loadcnt 0x0
	ds_store_b32 v1, v126
	s_wait_storecnt_dscnt 0x0
	s_barrier_signal -1
	s_barrier_wait -1
	s_wait_xcnt 0x0
	s_and_saveexec_b32 s1, s2
	s_cbranch_execz .LBB60_566
; %bb.557:
	s_and_not1_b32 vcc_lo, exec_lo, s3
	s_cbranch_vccnz .LBB60_559
; %bb.558:
	scratch_load_b32 v126, v7, off
	ds_load_b32 v127, v1
	s_wait_loadcnt_dscnt 0x0
	v_mul_f32_e32 v126, v126, v127
	s_cbranch_execz .LBB60_560
	s_branch .LBB60_561
.LBB60_559:
                                        ; implicit-def: $vgpr126
.LBB60_560:
	ds_load_b32 v126, v1
.LBB60_561:
	s_and_saveexec_b32 s5, s0
	s_cbranch_execz .LBB60_565
; %bb.562:
	v_add_nc_u32_e32 v127, -4, v0
	s_movk_i32 s8, 0x110
	s_mov_b32 s0, 0
.LBB60_563:                             ; =>This Inner Loop Header: Depth=1
	scratch_load_b32 v128, off, s4
	v_dual_mov_b32 v129, s8 :: v_dual_add_nc_u32 v127, -1, v127
	s_add_co_i32 s8, s8, 4
	s_wait_xcnt 0x0
	s_add_co_i32 s4, s4, 4
	ds_load_b32 v129, v129
	v_cmp_eq_u32_e32 vcc_lo, 0, v127
	s_or_b32 s0, vcc_lo, s0
	s_wait_loadcnt_dscnt 0x0
	v_fmac_f32_e32 v126, v128, v129
	s_and_not1_b32 exec_lo, exec_lo, s0
	s_cbranch_execnz .LBB60_563
; %bb.564:
	s_or_b32 exec_lo, exec_lo, s0
.LBB60_565:
	s_delay_alu instid0(SALU_CYCLE_1)
	s_or_b32 exec_lo, exec_lo, s5
	v_mov_b32_e32 v127, 0
	ds_load_b32 v127, v127 offset:12
	s_wait_dscnt 0x0
	v_mul_f32_e32 v126, v126, v127
	scratch_store_b32 off, v126, off offset:12
.LBB60_566:
	s_wait_xcnt 0x0
	s_or_b32 exec_lo, exec_lo, s1
	scratch_load_b32 v126, off, off offset:8
	v_cmp_lt_u32_e64 s1, 2, v0
	s_wait_loadcnt 0x0
	ds_store_b32 v1, v126
	s_wait_storecnt_dscnt 0x0
	s_barrier_signal -1
	s_barrier_wait -1
	s_wait_xcnt 0x0
	s_and_saveexec_b32 s0, s1
	s_cbranch_execz .LBB60_576
; %bb.567:
	s_and_not1_b32 vcc_lo, exec_lo, s3
	s_cbranch_vccnz .LBB60_569
; %bb.568:
	scratch_load_b32 v126, v7, off
	ds_load_b32 v127, v1
	s_wait_loadcnt_dscnt 0x0
	v_mul_f32_e32 v126, v126, v127
	s_cbranch_execz .LBB60_570
	s_branch .LBB60_571
.LBB60_569:
                                        ; implicit-def: $vgpr126
.LBB60_570:
	ds_load_b32 v126, v1
.LBB60_571:
	s_and_saveexec_b32 s4, s2
	s_cbranch_execz .LBB60_575
; %bb.572:
	v_add_nc_u32_e32 v127, -3, v0
	s_or_b32 s2, 0, 12
	s_movk_i32 s8, 0x10c
	s_mov_b32 s5, 0
.LBB60_573:                             ; =>This Inner Loop Header: Depth=1
	scratch_load_b32 v128, off, s2
	v_dual_mov_b32 v129, s8 :: v_dual_add_nc_u32 v127, -1, v127
	s_add_co_i32 s8, s8, 4
	s_wait_xcnt 0x0
	s_add_co_i32 s2, s2, 4
	ds_load_b32 v129, v129
	v_cmp_eq_u32_e32 vcc_lo, 0, v127
	s_or_b32 s5, vcc_lo, s5
	s_wait_loadcnt_dscnt 0x0
	v_fmac_f32_e32 v126, v128, v129
	s_and_not1_b32 exec_lo, exec_lo, s5
	s_cbranch_execnz .LBB60_573
; %bb.574:
	s_or_b32 exec_lo, exec_lo, s5
.LBB60_575:
	s_delay_alu instid0(SALU_CYCLE_1)
	s_or_b32 exec_lo, exec_lo, s4
	v_mov_b32_e32 v127, 0
	ds_load_b32 v127, v127 offset:8
	s_wait_dscnt 0x0
	v_mul_f32_e32 v126, v126, v127
	scratch_store_b32 off, v126, off offset:8
.LBB60_576:
	s_wait_xcnt 0x0
	s_or_b32 exec_lo, exec_lo, s0
	scratch_load_b32 v126, off, off offset:4
	v_cmp_lt_u32_e64 s0, 1, v0
	s_wait_loadcnt 0x0
	ds_store_b32 v1, v126
	s_wait_storecnt_dscnt 0x0
	s_barrier_signal -1
	s_barrier_wait -1
	s_wait_xcnt 0x0
	s_and_saveexec_b32 s2, s0
	s_cbranch_execz .LBB60_586
; %bb.577:
	s_and_not1_b32 vcc_lo, exec_lo, s3
	s_cbranch_vccnz .LBB60_579
; %bb.578:
	scratch_load_b32 v126, v7, off
	ds_load_b32 v127, v1
	s_wait_loadcnt_dscnt 0x0
	v_mul_f32_e32 v126, v126, v127
	s_cbranch_execz .LBB60_580
	s_branch .LBB60_581
.LBB60_579:
                                        ; implicit-def: $vgpr126
.LBB60_580:
	ds_load_b32 v126, v1
.LBB60_581:
	s_and_saveexec_b32 s4, s1
	s_cbranch_execz .LBB60_585
; %bb.582:
	v_add_nc_u32_e32 v127, -2, v0
	s_or_b32 s1, 0, 8
	s_movk_i32 s8, 0x108
	s_mov_b32 s5, 0
.LBB60_583:                             ; =>This Inner Loop Header: Depth=1
	scratch_load_b32 v128, off, s1
	v_dual_mov_b32 v129, s8 :: v_dual_add_nc_u32 v127, -1, v127
	s_add_co_i32 s8, s8, 4
	s_wait_xcnt 0x0
	s_add_co_i32 s1, s1, 4
	ds_load_b32 v129, v129
	v_cmp_eq_u32_e32 vcc_lo, 0, v127
	s_or_b32 s5, vcc_lo, s5
	s_wait_loadcnt_dscnt 0x0
	v_fmac_f32_e32 v126, v128, v129
	s_and_not1_b32 exec_lo, exec_lo, s5
	s_cbranch_execnz .LBB60_583
; %bb.584:
	s_or_b32 exec_lo, exec_lo, s5
.LBB60_585:
	s_delay_alu instid0(SALU_CYCLE_1)
	s_or_b32 exec_lo, exec_lo, s4
	v_mov_b32_e32 v127, 0
	ds_load_b32 v127, v127 offset:4
	s_wait_dscnt 0x0
	v_mul_f32_e32 v126, v126, v127
	scratch_store_b32 off, v126, off offset:4
.LBB60_586:
	s_wait_xcnt 0x0
	s_or_b32 exec_lo, exec_lo, s2
	scratch_load_b32 v126, off, off
	s_mov_b32 s1, 0
	s_mov_b32 s2, exec_lo
	s_wait_loadcnt 0x0
	ds_store_b32 v1, v126
	s_wait_storecnt_dscnt 0x0
	s_barrier_signal -1
	s_barrier_wait -1
	s_wait_xcnt 0x0
	v_cmpx_ne_u32_e32 0, v0
	s_cbranch_execz .LBB60_596
; %bb.587:
	s_and_not1_b32 vcc_lo, exec_lo, s3
	s_cbranch_vccnz .LBB60_589
; %bb.588:
	scratch_load_b32 v126, v7, off
	ds_load_b32 v127, v1
	s_wait_loadcnt_dscnt 0x0
	v_mul_f32_e32 v126, v126, v127
	s_cbranch_execz .LBB60_590
	s_branch .LBB60_591
.LBB60_589:
                                        ; implicit-def: $vgpr126
.LBB60_590:
	ds_load_b32 v126, v1
.LBB60_591:
	s_and_saveexec_b32 s4, s0
	s_cbranch_execz .LBB60_595
; %bb.592:
	v_add_nc_u32_e32 v127, -1, v0
	s_or_b32 s0, 0, 4
	s_movk_i32 s8, 0x104
	s_mov_b32 s5, 0
.LBB60_593:                             ; =>This Inner Loop Header: Depth=1
	scratch_load_b32 v128, off, s0
	v_dual_mov_b32 v129, s8 :: v_dual_add_nc_u32 v127, -1, v127
	s_add_co_i32 s8, s8, 4
	s_wait_xcnt 0x0
	s_add_co_i32 s0, s0, 4
	ds_load_b32 v129, v129
	v_cmp_eq_u32_e32 vcc_lo, 0, v127
	s_or_b32 s5, vcc_lo, s5
	s_wait_loadcnt_dscnt 0x0
	v_fmac_f32_e32 v126, v128, v129
	s_and_not1_b32 exec_lo, exec_lo, s5
	s_cbranch_execnz .LBB60_593
; %bb.594:
	s_or_b32 exec_lo, exec_lo, s5
.LBB60_595:
	s_delay_alu instid0(SALU_CYCLE_1)
	s_or_b32 exec_lo, exec_lo, s4
	v_mov_b32_e32 v127, 0
	ds_load_b32 v127, v127
	s_wait_dscnt 0x0
	v_mul_f32_e32 v126, v126, v127
	scratch_store_b32 off, v126, off
.LBB60_596:
	s_wait_xcnt 0x0
	s_or_b32 exec_lo, exec_lo, s2
.LBB60_597:
	v_lshl_add_u64 v[152:153], v[8:9], 2, s[6:7]
	v_lshl_add_u64 v[150:151], v[10:11], 2, s[6:7]
	;; [unrolled: 1-line block ×59, first 2 shown]
	s_and_b32 vcc_lo, exec_lo, s1
	s_cbranch_vccz .LBB60_1189
; %bb.598:
	scratch_load_b32 v98, off, off offset:4
	v_cmp_eq_u32_e64 s0, 0, v0
	s_wait_loadcnt 0x0
	ds_store_b32 v1, v98
	s_wait_storecnt_dscnt 0x0
	s_barrier_signal -1
	s_barrier_wait -1
	s_wait_xcnt 0x0
	s_and_saveexec_b32 s1, s0
	s_cbranch_execz .LBB60_604
; %bb.599:
	s_and_b32 vcc_lo, exec_lo, s3
	s_cbranch_vccz .LBB60_601
; %bb.600:
	scratch_load_b32 v98, v7, off
	ds_load_b32 v99, v1
	s_wait_loadcnt_dscnt 0x0
	v_mul_f32_e32 v98, v98, v99
	s_cbranch_execz .LBB60_602
	s_branch .LBB60_603
.LBB60_601:
                                        ; implicit-def: $vgpr98
.LBB60_602:
	ds_load_b32 v98, v1
.LBB60_603:
	v_mov_b32_e32 v99, 0
	ds_load_b32 v99, v99 offset:4
	s_wait_dscnt 0x0
	v_mul_f32_e32 v98, v98, v99
	scratch_store_b32 off, v98, off offset:4
.LBB60_604:
	s_wait_xcnt 0x0
	s_or_b32 exec_lo, exec_lo, s1
	scratch_load_b32 v99, off, off offset:8
	v_cndmask_b32_e64 v98, 0, 1, s3
	s_mov_b32 s1, exec_lo
	s_wait_loadcnt 0x0
	ds_store_b32 v1, v99
	s_wait_storecnt_dscnt 0x0
	s_barrier_signal -1
	s_barrier_wait -1
	s_wait_xcnt 0x0
	v_cmpx_gt_u32_e32 2, v0
	s_cbranch_execz .LBB60_610
; %bb.605:
	s_and_not1_b32 vcc_lo, exec_lo, s3
	s_cbranch_vccnz .LBB60_607
; %bb.606:
	scratch_load_b32 v99, v7, off
	ds_load_b32 v100, v1
	s_wait_loadcnt_dscnt 0x0
	v_mul_f32_e32 v99, v99, v100
	s_cbranch_execz .LBB60_608
	s_branch .LBB60_609
.LBB60_607:
                                        ; implicit-def: $vgpr99
.LBB60_608:
	ds_load_b32 v99, v1
.LBB60_609:
	scratch_load_b32 v102, off, off offset:4
	v_mov_b32_e32 v100, 0
	ds_load_2addr_b32 v[100:101], v100 offset0:2 offset1:65
	s_wait_loadcnt_dscnt 0x0
	v_fma_f32 v101, v102, v101, v99
	s_delay_alu instid0(VALU_DEP_1) | instskip(NEXT) | instid1(VALU_DEP_1)
	v_cndmask_b32_e64 v99, v99, v101, s0
	v_mul_f32_e32 v99, v99, v100
	scratch_store_b32 off, v99, off offset:8
.LBB60_610:
	s_wait_xcnt 0x0
	s_or_b32 exec_lo, exec_lo, s1
	scratch_load_b32 v99, off, off offset:12
	s_mov_b32 s1, exec_lo
	s_wait_loadcnt 0x0
	ds_store_b32 v1, v99
	s_wait_storecnt_dscnt 0x0
	s_barrier_signal -1
	s_barrier_wait -1
	s_wait_xcnt 0x0
	v_cmpx_gt_u32_e32 3, v0
	s_cbranch_execz .LBB60_618
; %bb.611:
	v_cmp_ne_u32_e32 vcc_lo, 1, v98
	s_cbranch_vccnz .LBB60_613
; %bb.612:
	scratch_load_b32 v99, v7, off
	ds_load_b32 v100, v1
	s_wait_loadcnt_dscnt 0x0
	v_mul_f32_e32 v99, v99, v100
	s_cbranch_execz .LBB60_614
	s_branch .LBB60_615
.LBB60_613:
                                        ; implicit-def: $vgpr99
.LBB60_614:
	ds_load_b32 v99, v1
.LBB60_615:
	s_mov_b32 s2, exec_lo
	v_cmpx_ne_u32_e32 2, v0
	s_cbranch_execz .LBB60_617
; %bb.616:
	scratch_load_b32 v100, v7, off offset:4
	scratch_load_b32 v101, off, off offset:8
	ds_load_b32 v102, v1 offset:4
	v_mov_b32_e32 v103, 0
	ds_load_b32 v103, v103 offset:264
	s_wait_loadcnt_dscnt 0x101
	v_fmac_f32_e32 v99, v100, v102
	s_wait_loadcnt_dscnt 0x0
	s_delay_alu instid0(VALU_DEP_1) | instskip(NEXT) | instid1(VALU_DEP_1)
	v_fma_f32 v100, v101, v103, v99
	v_cndmask_b32_e64 v99, v99, v100, s0
.LBB60_617:
	s_or_b32 exec_lo, exec_lo, s2
	v_mov_b32_e32 v100, 0
	ds_load_b32 v100, v100 offset:12
	s_wait_dscnt 0x0
	v_mul_f32_e32 v99, v99, v100
	scratch_store_b32 off, v99, off offset:12
.LBB60_618:
	s_wait_xcnt 0x0
	s_or_b32 exec_lo, exec_lo, s1
	scratch_load_b32 v99, off, off offset:16
	s_mov_b32 s0, exec_lo
	s_wait_loadcnt 0x0
	ds_store_b32 v1, v99
	s_wait_storecnt_dscnt 0x0
	s_barrier_signal -1
	s_barrier_wait -1
	s_wait_xcnt 0x0
	v_cmpx_gt_u32_e32 4, v0
	s_cbranch_execz .LBB60_628
; %bb.619:
	v_cmp_ne_u32_e32 vcc_lo, 1, v98
	s_cbranch_vccnz .LBB60_621
; %bb.620:
	scratch_load_b32 v99, v7, off
	ds_load_b32 v100, v1
	s_wait_loadcnt_dscnt 0x0
	v_mul_f32_e32 v99, v99, v100
	s_cbranch_execz .LBB60_622
	s_branch .LBB60_623
.LBB60_621:
                                        ; implicit-def: $vgpr99
.LBB60_622:
	ds_load_b32 v99, v1
.LBB60_623:
	s_mov_b32 s1, exec_lo
	v_cmpx_ne_u32_e32 3, v0
	s_cbranch_execz .LBB60_627
; %bb.624:
	v_add_nc_u32_e32 v100, 0x104, v6
	v_add3_u32 v101, 0, v6, 4
	v_mov_b32_e32 v102, v0
	s_mov_b32 s2, 0
.LBB60_625:                             ; =>This Inner Loop Header: Depth=1
	scratch_load_b32 v103, v101, off
	ds_load_b32 v104, v100
	v_dual_add_nc_u32 v102, 1, v102 :: v_dual_add_nc_u32 v100, 4, v100
	s_wait_xcnt 0x0
	v_add_nc_u32_e32 v101, 4, v101
	s_delay_alu instid0(VALU_DEP_2)
	v_cmp_lt_u32_e32 vcc_lo, 2, v102
	s_or_b32 s2, vcc_lo, s2
	s_wait_loadcnt_dscnt 0x0
	v_fmac_f32_e32 v99, v103, v104
	s_and_not1_b32 exec_lo, exec_lo, s2
	s_cbranch_execnz .LBB60_625
; %bb.626:
	s_or_b32 exec_lo, exec_lo, s2
.LBB60_627:
	s_delay_alu instid0(SALU_CYCLE_1)
	s_or_b32 exec_lo, exec_lo, s1
	v_mov_b32_e32 v100, 0
	ds_load_b32 v100, v100 offset:16
	s_wait_dscnt 0x0
	v_mul_f32_e32 v99, v99, v100
	scratch_store_b32 off, v99, off offset:16
.LBB60_628:
	s_wait_xcnt 0x0
	s_or_b32 exec_lo, exec_lo, s0
	scratch_load_b32 v99, off, off offset:20
	s_mov_b32 s0, exec_lo
	s_wait_loadcnt 0x0
	ds_store_b32 v1, v99
	s_wait_storecnt_dscnt 0x0
	s_barrier_signal -1
	s_barrier_wait -1
	s_wait_xcnt 0x0
	v_cmpx_gt_u32_e32 5, v0
	s_cbranch_execz .LBB60_638
; %bb.629:
	v_cmp_ne_u32_e32 vcc_lo, 1, v98
	s_cbranch_vccnz .LBB60_631
; %bb.630:
	scratch_load_b32 v99, v7, off
	ds_load_b32 v100, v1
	s_wait_loadcnt_dscnt 0x0
	v_mul_f32_e32 v99, v99, v100
	s_cbranch_execz .LBB60_632
	s_branch .LBB60_633
.LBB60_631:
                                        ; implicit-def: $vgpr99
.LBB60_632:
	ds_load_b32 v99, v1
.LBB60_633:
	s_mov_b32 s1, exec_lo
	v_cmpx_ne_u32_e32 4, v0
	s_cbranch_execz .LBB60_637
; %bb.634:
	v_add_nc_u32_e32 v100, 0x104, v6
	v_add3_u32 v101, 0, v6, 4
	v_mov_b32_e32 v102, v0
	s_mov_b32 s2, 0
.LBB60_635:                             ; =>This Inner Loop Header: Depth=1
	scratch_load_b32 v103, v101, off
	ds_load_b32 v104, v100
	v_dual_add_nc_u32 v102, 1, v102 :: v_dual_add_nc_u32 v100, 4, v100
	s_wait_xcnt 0x0
	v_add_nc_u32_e32 v101, 4, v101
	s_delay_alu instid0(VALU_DEP_2)
	v_cmp_lt_u32_e32 vcc_lo, 3, v102
	s_or_b32 s2, vcc_lo, s2
	s_wait_loadcnt_dscnt 0x0
	v_fmac_f32_e32 v99, v103, v104
	s_and_not1_b32 exec_lo, exec_lo, s2
	s_cbranch_execnz .LBB60_635
; %bb.636:
	s_or_b32 exec_lo, exec_lo, s2
.LBB60_637:
	s_delay_alu instid0(SALU_CYCLE_1)
	s_or_b32 exec_lo, exec_lo, s1
	v_mov_b32_e32 v100, 0
	ds_load_b32 v100, v100 offset:20
	s_wait_dscnt 0x0
	v_mul_f32_e32 v99, v99, v100
	scratch_store_b32 off, v99, off offset:20
.LBB60_638:
	s_wait_xcnt 0x0
	s_or_b32 exec_lo, exec_lo, s0
	scratch_load_b32 v99, off, off offset:24
	s_mov_b32 s0, exec_lo
	s_wait_loadcnt 0x0
	ds_store_b32 v1, v99
	s_wait_storecnt_dscnt 0x0
	s_barrier_signal -1
	s_barrier_wait -1
	s_wait_xcnt 0x0
	v_cmpx_gt_u32_e32 6, v0
	s_cbranch_execz .LBB60_648
; %bb.639:
	v_cmp_ne_u32_e32 vcc_lo, 1, v98
	s_cbranch_vccnz .LBB60_641
; %bb.640:
	scratch_load_b32 v99, v7, off
	ds_load_b32 v100, v1
	s_wait_loadcnt_dscnt 0x0
	v_mul_f32_e32 v99, v99, v100
	s_cbranch_execz .LBB60_642
	s_branch .LBB60_643
.LBB60_641:
                                        ; implicit-def: $vgpr99
.LBB60_642:
	ds_load_b32 v99, v1
.LBB60_643:
	s_mov_b32 s1, exec_lo
	v_cmpx_ne_u32_e32 5, v0
	s_cbranch_execz .LBB60_647
; %bb.644:
	v_add_nc_u32_e32 v100, 0x104, v6
	v_add3_u32 v101, 0, v6, 4
	v_mov_b32_e32 v102, v0
	s_mov_b32 s2, 0
.LBB60_645:                             ; =>This Inner Loop Header: Depth=1
	scratch_load_b32 v103, v101, off
	ds_load_b32 v104, v100
	v_dual_add_nc_u32 v102, 1, v102 :: v_dual_add_nc_u32 v100, 4, v100
	s_wait_xcnt 0x0
	v_add_nc_u32_e32 v101, 4, v101
	s_delay_alu instid0(VALU_DEP_2)
	v_cmp_lt_u32_e32 vcc_lo, 4, v102
	s_or_b32 s2, vcc_lo, s2
	s_wait_loadcnt_dscnt 0x0
	v_fmac_f32_e32 v99, v103, v104
	s_and_not1_b32 exec_lo, exec_lo, s2
	s_cbranch_execnz .LBB60_645
; %bb.646:
	s_or_b32 exec_lo, exec_lo, s2
.LBB60_647:
	s_delay_alu instid0(SALU_CYCLE_1)
	s_or_b32 exec_lo, exec_lo, s1
	v_mov_b32_e32 v100, 0
	ds_load_b32 v100, v100 offset:24
	s_wait_dscnt 0x0
	v_mul_f32_e32 v99, v99, v100
	scratch_store_b32 off, v99, off offset:24
.LBB60_648:
	s_wait_xcnt 0x0
	s_or_b32 exec_lo, exec_lo, s0
	scratch_load_b32 v99, off, off offset:28
	s_mov_b32 s0, exec_lo
	s_wait_loadcnt 0x0
	ds_store_b32 v1, v99
	s_wait_storecnt_dscnt 0x0
	s_barrier_signal -1
	s_barrier_wait -1
	s_wait_xcnt 0x0
	v_cmpx_gt_u32_e32 7, v0
	s_cbranch_execz .LBB60_658
; %bb.649:
	v_cmp_ne_u32_e32 vcc_lo, 1, v98
	s_cbranch_vccnz .LBB60_651
; %bb.650:
	scratch_load_b32 v99, v7, off
	ds_load_b32 v100, v1
	s_wait_loadcnt_dscnt 0x0
	v_mul_f32_e32 v99, v99, v100
	s_cbranch_execz .LBB60_652
	s_branch .LBB60_653
.LBB60_651:
                                        ; implicit-def: $vgpr99
.LBB60_652:
	ds_load_b32 v99, v1
.LBB60_653:
	s_mov_b32 s1, exec_lo
	v_cmpx_ne_u32_e32 6, v0
	s_cbranch_execz .LBB60_657
; %bb.654:
	v_add_nc_u32_e32 v100, 0x104, v6
	v_add3_u32 v101, 0, v6, 4
	v_mov_b32_e32 v102, v0
	s_mov_b32 s2, 0
.LBB60_655:                             ; =>This Inner Loop Header: Depth=1
	scratch_load_b32 v103, v101, off
	ds_load_b32 v104, v100
	v_dual_add_nc_u32 v102, 1, v102 :: v_dual_add_nc_u32 v100, 4, v100
	s_wait_xcnt 0x0
	v_add_nc_u32_e32 v101, 4, v101
	s_delay_alu instid0(VALU_DEP_2)
	v_cmp_lt_u32_e32 vcc_lo, 5, v102
	s_or_b32 s2, vcc_lo, s2
	s_wait_loadcnt_dscnt 0x0
	v_fmac_f32_e32 v99, v103, v104
	s_and_not1_b32 exec_lo, exec_lo, s2
	s_cbranch_execnz .LBB60_655
; %bb.656:
	s_or_b32 exec_lo, exec_lo, s2
.LBB60_657:
	s_delay_alu instid0(SALU_CYCLE_1)
	s_or_b32 exec_lo, exec_lo, s1
	v_mov_b32_e32 v100, 0
	ds_load_b32 v100, v100 offset:28
	s_wait_dscnt 0x0
	v_mul_f32_e32 v99, v99, v100
	scratch_store_b32 off, v99, off offset:28
.LBB60_658:
	s_wait_xcnt 0x0
	s_or_b32 exec_lo, exec_lo, s0
	scratch_load_b32 v99, off, off offset:32
	s_mov_b32 s0, exec_lo
	s_wait_loadcnt 0x0
	ds_store_b32 v1, v99
	s_wait_storecnt_dscnt 0x0
	s_barrier_signal -1
	s_barrier_wait -1
	s_wait_xcnt 0x0
	v_cmpx_gt_u32_e32 8, v0
	s_cbranch_execz .LBB60_668
; %bb.659:
	v_cmp_ne_u32_e32 vcc_lo, 1, v98
	s_cbranch_vccnz .LBB60_661
; %bb.660:
	scratch_load_b32 v99, v7, off
	ds_load_b32 v100, v1
	s_wait_loadcnt_dscnt 0x0
	v_mul_f32_e32 v99, v99, v100
	s_cbranch_execz .LBB60_662
	s_branch .LBB60_663
.LBB60_661:
                                        ; implicit-def: $vgpr99
.LBB60_662:
	ds_load_b32 v99, v1
.LBB60_663:
	s_mov_b32 s1, exec_lo
	v_cmpx_ne_u32_e32 7, v0
	s_cbranch_execz .LBB60_667
; %bb.664:
	v_add_nc_u32_e32 v100, 0x104, v6
	v_add3_u32 v101, 0, v6, 4
	v_mov_b32_e32 v102, v0
	s_mov_b32 s2, 0
.LBB60_665:                             ; =>This Inner Loop Header: Depth=1
	scratch_load_b32 v103, v101, off
	ds_load_b32 v104, v100
	v_dual_add_nc_u32 v102, 1, v102 :: v_dual_add_nc_u32 v100, 4, v100
	s_wait_xcnt 0x0
	v_add_nc_u32_e32 v101, 4, v101
	s_delay_alu instid0(VALU_DEP_2)
	v_cmp_lt_u32_e32 vcc_lo, 6, v102
	s_or_b32 s2, vcc_lo, s2
	s_wait_loadcnt_dscnt 0x0
	v_fmac_f32_e32 v99, v103, v104
	s_and_not1_b32 exec_lo, exec_lo, s2
	s_cbranch_execnz .LBB60_665
; %bb.666:
	s_or_b32 exec_lo, exec_lo, s2
.LBB60_667:
	s_delay_alu instid0(SALU_CYCLE_1)
	s_or_b32 exec_lo, exec_lo, s1
	v_mov_b32_e32 v100, 0
	ds_load_b32 v100, v100 offset:32
	s_wait_dscnt 0x0
	v_mul_f32_e32 v99, v99, v100
	scratch_store_b32 off, v99, off offset:32
.LBB60_668:
	s_wait_xcnt 0x0
	s_or_b32 exec_lo, exec_lo, s0
	scratch_load_b32 v99, off, off offset:36
	s_mov_b32 s0, exec_lo
	s_wait_loadcnt 0x0
	ds_store_b32 v1, v99
	s_wait_storecnt_dscnt 0x0
	s_barrier_signal -1
	s_barrier_wait -1
	s_wait_xcnt 0x0
	v_cmpx_gt_u32_e32 9, v0
	s_cbranch_execz .LBB60_678
; %bb.669:
	v_cmp_ne_u32_e32 vcc_lo, 1, v98
	s_cbranch_vccnz .LBB60_671
; %bb.670:
	scratch_load_b32 v99, v7, off
	ds_load_b32 v100, v1
	s_wait_loadcnt_dscnt 0x0
	v_mul_f32_e32 v99, v99, v100
	s_cbranch_execz .LBB60_672
	s_branch .LBB60_673
.LBB60_671:
                                        ; implicit-def: $vgpr99
.LBB60_672:
	ds_load_b32 v99, v1
.LBB60_673:
	s_mov_b32 s1, exec_lo
	v_cmpx_ne_u32_e32 8, v0
	s_cbranch_execz .LBB60_677
; %bb.674:
	v_add_nc_u32_e32 v100, 0x104, v6
	v_add3_u32 v101, 0, v6, 4
	v_mov_b32_e32 v102, v0
	s_mov_b32 s2, 0
.LBB60_675:                             ; =>This Inner Loop Header: Depth=1
	scratch_load_b32 v103, v101, off
	ds_load_b32 v104, v100
	v_dual_add_nc_u32 v102, 1, v102 :: v_dual_add_nc_u32 v100, 4, v100
	s_wait_xcnt 0x0
	v_add_nc_u32_e32 v101, 4, v101
	s_delay_alu instid0(VALU_DEP_2)
	v_cmp_lt_u32_e32 vcc_lo, 7, v102
	s_or_b32 s2, vcc_lo, s2
	s_wait_loadcnt_dscnt 0x0
	v_fmac_f32_e32 v99, v103, v104
	s_and_not1_b32 exec_lo, exec_lo, s2
	s_cbranch_execnz .LBB60_675
; %bb.676:
	s_or_b32 exec_lo, exec_lo, s2
.LBB60_677:
	s_delay_alu instid0(SALU_CYCLE_1)
	s_or_b32 exec_lo, exec_lo, s1
	v_mov_b32_e32 v100, 0
	ds_load_b32 v100, v100 offset:36
	s_wait_dscnt 0x0
	v_mul_f32_e32 v99, v99, v100
	scratch_store_b32 off, v99, off offset:36
.LBB60_678:
	s_wait_xcnt 0x0
	s_or_b32 exec_lo, exec_lo, s0
	scratch_load_b32 v99, off, off offset:40
	s_mov_b32 s0, exec_lo
	s_wait_loadcnt 0x0
	ds_store_b32 v1, v99
	s_wait_storecnt_dscnt 0x0
	s_barrier_signal -1
	s_barrier_wait -1
	s_wait_xcnt 0x0
	v_cmpx_gt_u32_e32 10, v0
	s_cbranch_execz .LBB60_688
; %bb.679:
	v_cmp_ne_u32_e32 vcc_lo, 1, v98
	s_cbranch_vccnz .LBB60_681
; %bb.680:
	scratch_load_b32 v99, v7, off
	ds_load_b32 v100, v1
	s_wait_loadcnt_dscnt 0x0
	v_mul_f32_e32 v99, v99, v100
	s_cbranch_execz .LBB60_682
	s_branch .LBB60_683
.LBB60_681:
                                        ; implicit-def: $vgpr99
.LBB60_682:
	ds_load_b32 v99, v1
.LBB60_683:
	s_mov_b32 s1, exec_lo
	v_cmpx_ne_u32_e32 9, v0
	s_cbranch_execz .LBB60_687
; %bb.684:
	v_add_nc_u32_e32 v100, 0x104, v6
	v_add3_u32 v101, 0, v6, 4
	v_mov_b32_e32 v102, v0
	s_mov_b32 s2, 0
.LBB60_685:                             ; =>This Inner Loop Header: Depth=1
	scratch_load_b32 v103, v101, off
	ds_load_b32 v104, v100
	v_dual_add_nc_u32 v102, 1, v102 :: v_dual_add_nc_u32 v100, 4, v100
	s_wait_xcnt 0x0
	v_add_nc_u32_e32 v101, 4, v101
	s_delay_alu instid0(VALU_DEP_2)
	v_cmp_lt_u32_e32 vcc_lo, 8, v102
	s_or_b32 s2, vcc_lo, s2
	s_wait_loadcnt_dscnt 0x0
	v_fmac_f32_e32 v99, v103, v104
	s_and_not1_b32 exec_lo, exec_lo, s2
	s_cbranch_execnz .LBB60_685
; %bb.686:
	s_or_b32 exec_lo, exec_lo, s2
.LBB60_687:
	s_delay_alu instid0(SALU_CYCLE_1)
	s_or_b32 exec_lo, exec_lo, s1
	v_mov_b32_e32 v100, 0
	ds_load_b32 v100, v100 offset:40
	s_wait_dscnt 0x0
	v_mul_f32_e32 v99, v99, v100
	scratch_store_b32 off, v99, off offset:40
.LBB60_688:
	s_wait_xcnt 0x0
	s_or_b32 exec_lo, exec_lo, s0
	scratch_load_b32 v99, off, off offset:44
	s_mov_b32 s0, exec_lo
	s_wait_loadcnt 0x0
	ds_store_b32 v1, v99
	s_wait_storecnt_dscnt 0x0
	s_barrier_signal -1
	s_barrier_wait -1
	s_wait_xcnt 0x0
	v_cmpx_gt_u32_e32 11, v0
	s_cbranch_execz .LBB60_698
; %bb.689:
	v_cmp_ne_u32_e32 vcc_lo, 1, v98
	s_cbranch_vccnz .LBB60_691
; %bb.690:
	scratch_load_b32 v99, v7, off
	ds_load_b32 v100, v1
	s_wait_loadcnt_dscnt 0x0
	v_mul_f32_e32 v99, v99, v100
	s_cbranch_execz .LBB60_692
	s_branch .LBB60_693
.LBB60_691:
                                        ; implicit-def: $vgpr99
.LBB60_692:
	ds_load_b32 v99, v1
.LBB60_693:
	s_mov_b32 s1, exec_lo
	v_cmpx_ne_u32_e32 10, v0
	s_cbranch_execz .LBB60_697
; %bb.694:
	v_add_nc_u32_e32 v100, 0x104, v6
	v_add3_u32 v101, 0, v6, 4
	v_mov_b32_e32 v102, v0
	s_mov_b32 s2, 0
.LBB60_695:                             ; =>This Inner Loop Header: Depth=1
	scratch_load_b32 v103, v101, off
	ds_load_b32 v104, v100
	v_dual_add_nc_u32 v102, 1, v102 :: v_dual_add_nc_u32 v100, 4, v100
	s_wait_xcnt 0x0
	v_add_nc_u32_e32 v101, 4, v101
	s_delay_alu instid0(VALU_DEP_2)
	v_cmp_lt_u32_e32 vcc_lo, 9, v102
	s_or_b32 s2, vcc_lo, s2
	s_wait_loadcnt_dscnt 0x0
	v_fmac_f32_e32 v99, v103, v104
	s_and_not1_b32 exec_lo, exec_lo, s2
	s_cbranch_execnz .LBB60_695
; %bb.696:
	s_or_b32 exec_lo, exec_lo, s2
.LBB60_697:
	s_delay_alu instid0(SALU_CYCLE_1)
	s_or_b32 exec_lo, exec_lo, s1
	v_mov_b32_e32 v100, 0
	ds_load_b32 v100, v100 offset:44
	s_wait_dscnt 0x0
	v_mul_f32_e32 v99, v99, v100
	scratch_store_b32 off, v99, off offset:44
.LBB60_698:
	s_wait_xcnt 0x0
	s_or_b32 exec_lo, exec_lo, s0
	scratch_load_b32 v99, off, off offset:48
	s_mov_b32 s0, exec_lo
	s_wait_loadcnt 0x0
	ds_store_b32 v1, v99
	s_wait_storecnt_dscnt 0x0
	s_barrier_signal -1
	s_barrier_wait -1
	s_wait_xcnt 0x0
	v_cmpx_gt_u32_e32 12, v0
	s_cbranch_execz .LBB60_708
; %bb.699:
	v_cmp_ne_u32_e32 vcc_lo, 1, v98
	s_cbranch_vccnz .LBB60_701
; %bb.700:
	scratch_load_b32 v99, v7, off
	ds_load_b32 v100, v1
	s_wait_loadcnt_dscnt 0x0
	v_mul_f32_e32 v99, v99, v100
	s_cbranch_execz .LBB60_702
	s_branch .LBB60_703
.LBB60_701:
                                        ; implicit-def: $vgpr99
.LBB60_702:
	ds_load_b32 v99, v1
.LBB60_703:
	s_mov_b32 s1, exec_lo
	v_cmpx_ne_u32_e32 11, v0
	s_cbranch_execz .LBB60_707
; %bb.704:
	v_add_nc_u32_e32 v100, 0x104, v6
	v_add3_u32 v101, 0, v6, 4
	v_mov_b32_e32 v102, v0
	s_mov_b32 s2, 0
.LBB60_705:                             ; =>This Inner Loop Header: Depth=1
	scratch_load_b32 v103, v101, off
	ds_load_b32 v104, v100
	v_dual_add_nc_u32 v102, 1, v102 :: v_dual_add_nc_u32 v100, 4, v100
	s_wait_xcnt 0x0
	v_add_nc_u32_e32 v101, 4, v101
	s_delay_alu instid0(VALU_DEP_2)
	v_cmp_lt_u32_e32 vcc_lo, 10, v102
	s_or_b32 s2, vcc_lo, s2
	s_wait_loadcnt_dscnt 0x0
	v_fmac_f32_e32 v99, v103, v104
	s_and_not1_b32 exec_lo, exec_lo, s2
	s_cbranch_execnz .LBB60_705
; %bb.706:
	s_or_b32 exec_lo, exec_lo, s2
.LBB60_707:
	s_delay_alu instid0(SALU_CYCLE_1)
	s_or_b32 exec_lo, exec_lo, s1
	v_mov_b32_e32 v100, 0
	ds_load_b32 v100, v100 offset:48
	s_wait_dscnt 0x0
	v_mul_f32_e32 v99, v99, v100
	scratch_store_b32 off, v99, off offset:48
.LBB60_708:
	s_wait_xcnt 0x0
	s_or_b32 exec_lo, exec_lo, s0
	scratch_load_b32 v99, off, off offset:52
	s_mov_b32 s0, exec_lo
	s_wait_loadcnt 0x0
	ds_store_b32 v1, v99
	s_wait_storecnt_dscnt 0x0
	s_barrier_signal -1
	s_barrier_wait -1
	s_wait_xcnt 0x0
	v_cmpx_gt_u32_e32 13, v0
	s_cbranch_execz .LBB60_718
; %bb.709:
	v_cmp_ne_u32_e32 vcc_lo, 1, v98
	s_cbranch_vccnz .LBB60_711
; %bb.710:
	scratch_load_b32 v99, v7, off
	ds_load_b32 v100, v1
	s_wait_loadcnt_dscnt 0x0
	v_mul_f32_e32 v99, v99, v100
	s_cbranch_execz .LBB60_712
	s_branch .LBB60_713
.LBB60_711:
                                        ; implicit-def: $vgpr99
.LBB60_712:
	ds_load_b32 v99, v1
.LBB60_713:
	s_mov_b32 s1, exec_lo
	v_cmpx_ne_u32_e32 12, v0
	s_cbranch_execz .LBB60_717
; %bb.714:
	v_add_nc_u32_e32 v100, 0x104, v6
	v_add3_u32 v101, 0, v6, 4
	v_mov_b32_e32 v102, v0
	s_mov_b32 s2, 0
.LBB60_715:                             ; =>This Inner Loop Header: Depth=1
	scratch_load_b32 v103, v101, off
	ds_load_b32 v104, v100
	v_dual_add_nc_u32 v102, 1, v102 :: v_dual_add_nc_u32 v100, 4, v100
	s_wait_xcnt 0x0
	v_add_nc_u32_e32 v101, 4, v101
	s_delay_alu instid0(VALU_DEP_2)
	v_cmp_lt_u32_e32 vcc_lo, 11, v102
	s_or_b32 s2, vcc_lo, s2
	s_wait_loadcnt_dscnt 0x0
	v_fmac_f32_e32 v99, v103, v104
	s_and_not1_b32 exec_lo, exec_lo, s2
	s_cbranch_execnz .LBB60_715
; %bb.716:
	s_or_b32 exec_lo, exec_lo, s2
.LBB60_717:
	s_delay_alu instid0(SALU_CYCLE_1)
	s_or_b32 exec_lo, exec_lo, s1
	v_mov_b32_e32 v100, 0
	ds_load_b32 v100, v100 offset:52
	s_wait_dscnt 0x0
	v_mul_f32_e32 v99, v99, v100
	scratch_store_b32 off, v99, off offset:52
.LBB60_718:
	s_wait_xcnt 0x0
	s_or_b32 exec_lo, exec_lo, s0
	scratch_load_b32 v99, off, off offset:56
	s_mov_b32 s0, exec_lo
	s_wait_loadcnt 0x0
	ds_store_b32 v1, v99
	s_wait_storecnt_dscnt 0x0
	s_barrier_signal -1
	s_barrier_wait -1
	s_wait_xcnt 0x0
	v_cmpx_gt_u32_e32 14, v0
	s_cbranch_execz .LBB60_728
; %bb.719:
	v_cmp_ne_u32_e32 vcc_lo, 1, v98
	s_cbranch_vccnz .LBB60_721
; %bb.720:
	scratch_load_b32 v99, v7, off
	ds_load_b32 v100, v1
	s_wait_loadcnt_dscnt 0x0
	v_mul_f32_e32 v99, v99, v100
	s_cbranch_execz .LBB60_722
	s_branch .LBB60_723
.LBB60_721:
                                        ; implicit-def: $vgpr99
.LBB60_722:
	ds_load_b32 v99, v1
.LBB60_723:
	s_mov_b32 s1, exec_lo
	v_cmpx_ne_u32_e32 13, v0
	s_cbranch_execz .LBB60_727
; %bb.724:
	v_add_nc_u32_e32 v100, 0x104, v6
	v_add3_u32 v101, 0, v6, 4
	v_mov_b32_e32 v102, v0
	s_mov_b32 s2, 0
.LBB60_725:                             ; =>This Inner Loop Header: Depth=1
	scratch_load_b32 v103, v101, off
	ds_load_b32 v104, v100
	v_dual_add_nc_u32 v102, 1, v102 :: v_dual_add_nc_u32 v100, 4, v100
	s_wait_xcnt 0x0
	v_add_nc_u32_e32 v101, 4, v101
	s_delay_alu instid0(VALU_DEP_2)
	v_cmp_lt_u32_e32 vcc_lo, 12, v102
	s_or_b32 s2, vcc_lo, s2
	s_wait_loadcnt_dscnt 0x0
	v_fmac_f32_e32 v99, v103, v104
	s_and_not1_b32 exec_lo, exec_lo, s2
	s_cbranch_execnz .LBB60_725
; %bb.726:
	s_or_b32 exec_lo, exec_lo, s2
.LBB60_727:
	s_delay_alu instid0(SALU_CYCLE_1)
	s_or_b32 exec_lo, exec_lo, s1
	v_mov_b32_e32 v100, 0
	ds_load_b32 v100, v100 offset:56
	s_wait_dscnt 0x0
	v_mul_f32_e32 v99, v99, v100
	scratch_store_b32 off, v99, off offset:56
.LBB60_728:
	s_wait_xcnt 0x0
	s_or_b32 exec_lo, exec_lo, s0
	scratch_load_b32 v99, off, off offset:60
	s_mov_b32 s0, exec_lo
	s_wait_loadcnt 0x0
	ds_store_b32 v1, v99
	s_wait_storecnt_dscnt 0x0
	s_barrier_signal -1
	s_barrier_wait -1
	s_wait_xcnt 0x0
	v_cmpx_gt_u32_e32 15, v0
	s_cbranch_execz .LBB60_738
; %bb.729:
	v_cmp_ne_u32_e32 vcc_lo, 1, v98
	s_cbranch_vccnz .LBB60_731
; %bb.730:
	scratch_load_b32 v99, v7, off
	ds_load_b32 v100, v1
	s_wait_loadcnt_dscnt 0x0
	v_mul_f32_e32 v99, v99, v100
	s_cbranch_execz .LBB60_732
	s_branch .LBB60_733
.LBB60_731:
                                        ; implicit-def: $vgpr99
.LBB60_732:
	ds_load_b32 v99, v1
.LBB60_733:
	s_mov_b32 s1, exec_lo
	v_cmpx_ne_u32_e32 14, v0
	s_cbranch_execz .LBB60_737
; %bb.734:
	v_add_nc_u32_e32 v100, 0x104, v6
	v_add3_u32 v101, 0, v6, 4
	v_mov_b32_e32 v102, v0
	s_mov_b32 s2, 0
.LBB60_735:                             ; =>This Inner Loop Header: Depth=1
	scratch_load_b32 v103, v101, off
	ds_load_b32 v104, v100
	v_dual_add_nc_u32 v102, 1, v102 :: v_dual_add_nc_u32 v100, 4, v100
	s_wait_xcnt 0x0
	v_add_nc_u32_e32 v101, 4, v101
	s_delay_alu instid0(VALU_DEP_2)
	v_cmp_lt_u32_e32 vcc_lo, 13, v102
	s_or_b32 s2, vcc_lo, s2
	s_wait_loadcnt_dscnt 0x0
	v_fmac_f32_e32 v99, v103, v104
	s_and_not1_b32 exec_lo, exec_lo, s2
	s_cbranch_execnz .LBB60_735
; %bb.736:
	s_or_b32 exec_lo, exec_lo, s2
.LBB60_737:
	s_delay_alu instid0(SALU_CYCLE_1)
	s_or_b32 exec_lo, exec_lo, s1
	v_mov_b32_e32 v100, 0
	ds_load_b32 v100, v100 offset:60
	s_wait_dscnt 0x0
	v_mul_f32_e32 v99, v99, v100
	scratch_store_b32 off, v99, off offset:60
.LBB60_738:
	s_wait_xcnt 0x0
	s_or_b32 exec_lo, exec_lo, s0
	scratch_load_b32 v99, off, off offset:64
	s_mov_b32 s0, exec_lo
	s_wait_loadcnt 0x0
	ds_store_b32 v1, v99
	s_wait_storecnt_dscnt 0x0
	s_barrier_signal -1
	s_barrier_wait -1
	s_wait_xcnt 0x0
	v_cmpx_gt_u32_e32 16, v0
	s_cbranch_execz .LBB60_748
; %bb.739:
	v_cmp_ne_u32_e32 vcc_lo, 1, v98
	s_cbranch_vccnz .LBB60_741
; %bb.740:
	scratch_load_b32 v99, v7, off
	ds_load_b32 v100, v1
	s_wait_loadcnt_dscnt 0x0
	v_mul_f32_e32 v99, v99, v100
	s_cbranch_execz .LBB60_742
	s_branch .LBB60_743
.LBB60_741:
                                        ; implicit-def: $vgpr99
.LBB60_742:
	ds_load_b32 v99, v1
.LBB60_743:
	s_mov_b32 s1, exec_lo
	v_cmpx_ne_u32_e32 15, v0
	s_cbranch_execz .LBB60_747
; %bb.744:
	v_add_nc_u32_e32 v100, 0x104, v6
	v_add3_u32 v101, 0, v6, 4
	v_mov_b32_e32 v102, v0
	s_mov_b32 s2, 0
.LBB60_745:                             ; =>This Inner Loop Header: Depth=1
	scratch_load_b32 v103, v101, off
	ds_load_b32 v104, v100
	v_dual_add_nc_u32 v102, 1, v102 :: v_dual_add_nc_u32 v100, 4, v100
	s_wait_xcnt 0x0
	v_add_nc_u32_e32 v101, 4, v101
	s_delay_alu instid0(VALU_DEP_2)
	v_cmp_lt_u32_e32 vcc_lo, 14, v102
	s_or_b32 s2, vcc_lo, s2
	s_wait_loadcnt_dscnt 0x0
	v_fmac_f32_e32 v99, v103, v104
	s_and_not1_b32 exec_lo, exec_lo, s2
	s_cbranch_execnz .LBB60_745
; %bb.746:
	s_or_b32 exec_lo, exec_lo, s2
.LBB60_747:
	s_delay_alu instid0(SALU_CYCLE_1)
	s_or_b32 exec_lo, exec_lo, s1
	v_mov_b32_e32 v100, 0
	ds_load_b32 v100, v100 offset:64
	s_wait_dscnt 0x0
	v_mul_f32_e32 v99, v99, v100
	scratch_store_b32 off, v99, off offset:64
.LBB60_748:
	s_wait_xcnt 0x0
	s_or_b32 exec_lo, exec_lo, s0
	scratch_load_b32 v99, off, off offset:68
	s_mov_b32 s0, exec_lo
	s_wait_loadcnt 0x0
	ds_store_b32 v1, v99
	s_wait_storecnt_dscnt 0x0
	s_barrier_signal -1
	s_barrier_wait -1
	s_wait_xcnt 0x0
	v_cmpx_gt_u32_e32 17, v0
	s_cbranch_execz .LBB60_758
; %bb.749:
	v_cmp_ne_u32_e32 vcc_lo, 1, v98
	s_cbranch_vccnz .LBB60_751
; %bb.750:
	scratch_load_b32 v99, v7, off
	ds_load_b32 v100, v1
	s_wait_loadcnt_dscnt 0x0
	v_mul_f32_e32 v99, v99, v100
	s_cbranch_execz .LBB60_752
	s_branch .LBB60_753
.LBB60_751:
                                        ; implicit-def: $vgpr99
.LBB60_752:
	ds_load_b32 v99, v1
.LBB60_753:
	s_mov_b32 s1, exec_lo
	v_cmpx_ne_u32_e32 16, v0
	s_cbranch_execz .LBB60_757
; %bb.754:
	v_add_nc_u32_e32 v100, 0x104, v6
	v_add3_u32 v101, 0, v6, 4
	v_mov_b32_e32 v102, v0
	s_mov_b32 s2, 0
.LBB60_755:                             ; =>This Inner Loop Header: Depth=1
	scratch_load_b32 v103, v101, off
	ds_load_b32 v104, v100
	v_dual_add_nc_u32 v102, 1, v102 :: v_dual_add_nc_u32 v100, 4, v100
	s_wait_xcnt 0x0
	v_add_nc_u32_e32 v101, 4, v101
	s_delay_alu instid0(VALU_DEP_2)
	v_cmp_lt_u32_e32 vcc_lo, 15, v102
	s_or_b32 s2, vcc_lo, s2
	s_wait_loadcnt_dscnt 0x0
	v_fmac_f32_e32 v99, v103, v104
	s_and_not1_b32 exec_lo, exec_lo, s2
	s_cbranch_execnz .LBB60_755
; %bb.756:
	s_or_b32 exec_lo, exec_lo, s2
.LBB60_757:
	s_delay_alu instid0(SALU_CYCLE_1)
	s_or_b32 exec_lo, exec_lo, s1
	v_mov_b32_e32 v100, 0
	ds_load_b32 v100, v100 offset:68
	s_wait_dscnt 0x0
	v_mul_f32_e32 v99, v99, v100
	scratch_store_b32 off, v99, off offset:68
.LBB60_758:
	s_wait_xcnt 0x0
	s_or_b32 exec_lo, exec_lo, s0
	scratch_load_b32 v99, off, off offset:72
	s_mov_b32 s0, exec_lo
	s_wait_loadcnt 0x0
	ds_store_b32 v1, v99
	s_wait_storecnt_dscnt 0x0
	s_barrier_signal -1
	s_barrier_wait -1
	s_wait_xcnt 0x0
	v_cmpx_gt_u32_e32 18, v0
	s_cbranch_execz .LBB60_768
; %bb.759:
	v_cmp_ne_u32_e32 vcc_lo, 1, v98
	s_cbranch_vccnz .LBB60_761
; %bb.760:
	scratch_load_b32 v99, v7, off
	ds_load_b32 v100, v1
	s_wait_loadcnt_dscnt 0x0
	v_mul_f32_e32 v99, v99, v100
	s_cbranch_execz .LBB60_762
	s_branch .LBB60_763
.LBB60_761:
                                        ; implicit-def: $vgpr99
.LBB60_762:
	ds_load_b32 v99, v1
.LBB60_763:
	s_mov_b32 s1, exec_lo
	v_cmpx_ne_u32_e32 17, v0
	s_cbranch_execz .LBB60_767
; %bb.764:
	v_add_nc_u32_e32 v100, 0x104, v6
	v_add3_u32 v101, 0, v6, 4
	v_mov_b32_e32 v102, v0
	s_mov_b32 s2, 0
.LBB60_765:                             ; =>This Inner Loop Header: Depth=1
	scratch_load_b32 v103, v101, off
	ds_load_b32 v104, v100
	v_dual_add_nc_u32 v102, 1, v102 :: v_dual_add_nc_u32 v100, 4, v100
	s_wait_xcnt 0x0
	v_add_nc_u32_e32 v101, 4, v101
	s_delay_alu instid0(VALU_DEP_2)
	v_cmp_lt_u32_e32 vcc_lo, 16, v102
	s_or_b32 s2, vcc_lo, s2
	s_wait_loadcnt_dscnt 0x0
	v_fmac_f32_e32 v99, v103, v104
	s_and_not1_b32 exec_lo, exec_lo, s2
	s_cbranch_execnz .LBB60_765
; %bb.766:
	s_or_b32 exec_lo, exec_lo, s2
.LBB60_767:
	s_delay_alu instid0(SALU_CYCLE_1)
	s_or_b32 exec_lo, exec_lo, s1
	v_mov_b32_e32 v100, 0
	ds_load_b32 v100, v100 offset:72
	s_wait_dscnt 0x0
	v_mul_f32_e32 v99, v99, v100
	scratch_store_b32 off, v99, off offset:72
.LBB60_768:
	s_wait_xcnt 0x0
	s_or_b32 exec_lo, exec_lo, s0
	scratch_load_b32 v99, off, off offset:76
	s_mov_b32 s0, exec_lo
	s_wait_loadcnt 0x0
	ds_store_b32 v1, v99
	s_wait_storecnt_dscnt 0x0
	s_barrier_signal -1
	s_barrier_wait -1
	s_wait_xcnt 0x0
	v_cmpx_gt_u32_e32 19, v0
	s_cbranch_execz .LBB60_778
; %bb.769:
	v_cmp_ne_u32_e32 vcc_lo, 1, v98
	s_cbranch_vccnz .LBB60_771
; %bb.770:
	scratch_load_b32 v99, v7, off
	ds_load_b32 v100, v1
	s_wait_loadcnt_dscnt 0x0
	v_mul_f32_e32 v99, v99, v100
	s_cbranch_execz .LBB60_772
	s_branch .LBB60_773
.LBB60_771:
                                        ; implicit-def: $vgpr99
.LBB60_772:
	ds_load_b32 v99, v1
.LBB60_773:
	s_mov_b32 s1, exec_lo
	v_cmpx_ne_u32_e32 18, v0
	s_cbranch_execz .LBB60_777
; %bb.774:
	v_add_nc_u32_e32 v100, 0x104, v6
	v_add3_u32 v101, 0, v6, 4
	v_mov_b32_e32 v102, v0
	s_mov_b32 s2, 0
.LBB60_775:                             ; =>This Inner Loop Header: Depth=1
	scratch_load_b32 v103, v101, off
	ds_load_b32 v104, v100
	v_dual_add_nc_u32 v102, 1, v102 :: v_dual_add_nc_u32 v100, 4, v100
	s_wait_xcnt 0x0
	v_add_nc_u32_e32 v101, 4, v101
	s_delay_alu instid0(VALU_DEP_2)
	v_cmp_lt_u32_e32 vcc_lo, 17, v102
	s_or_b32 s2, vcc_lo, s2
	s_wait_loadcnt_dscnt 0x0
	v_fmac_f32_e32 v99, v103, v104
	s_and_not1_b32 exec_lo, exec_lo, s2
	s_cbranch_execnz .LBB60_775
; %bb.776:
	s_or_b32 exec_lo, exec_lo, s2
.LBB60_777:
	s_delay_alu instid0(SALU_CYCLE_1)
	s_or_b32 exec_lo, exec_lo, s1
	v_mov_b32_e32 v100, 0
	ds_load_b32 v100, v100 offset:76
	s_wait_dscnt 0x0
	v_mul_f32_e32 v99, v99, v100
	scratch_store_b32 off, v99, off offset:76
.LBB60_778:
	s_wait_xcnt 0x0
	s_or_b32 exec_lo, exec_lo, s0
	scratch_load_b32 v99, off, off offset:80
	s_mov_b32 s0, exec_lo
	s_wait_loadcnt 0x0
	ds_store_b32 v1, v99
	s_wait_storecnt_dscnt 0x0
	s_barrier_signal -1
	s_barrier_wait -1
	s_wait_xcnt 0x0
	v_cmpx_gt_u32_e32 20, v0
	s_cbranch_execz .LBB60_788
; %bb.779:
	v_cmp_ne_u32_e32 vcc_lo, 1, v98
	s_cbranch_vccnz .LBB60_781
; %bb.780:
	scratch_load_b32 v99, v7, off
	ds_load_b32 v100, v1
	s_wait_loadcnt_dscnt 0x0
	v_mul_f32_e32 v99, v99, v100
	s_cbranch_execz .LBB60_782
	s_branch .LBB60_783
.LBB60_781:
                                        ; implicit-def: $vgpr99
.LBB60_782:
	ds_load_b32 v99, v1
.LBB60_783:
	s_mov_b32 s1, exec_lo
	v_cmpx_ne_u32_e32 19, v0
	s_cbranch_execz .LBB60_787
; %bb.784:
	v_add_nc_u32_e32 v100, 0x104, v6
	v_add3_u32 v101, 0, v6, 4
	v_mov_b32_e32 v102, v0
	s_mov_b32 s2, 0
.LBB60_785:                             ; =>This Inner Loop Header: Depth=1
	scratch_load_b32 v103, v101, off
	ds_load_b32 v104, v100
	v_dual_add_nc_u32 v102, 1, v102 :: v_dual_add_nc_u32 v100, 4, v100
	s_wait_xcnt 0x0
	v_add_nc_u32_e32 v101, 4, v101
	s_delay_alu instid0(VALU_DEP_2)
	v_cmp_lt_u32_e32 vcc_lo, 18, v102
	s_or_b32 s2, vcc_lo, s2
	s_wait_loadcnt_dscnt 0x0
	v_fmac_f32_e32 v99, v103, v104
	s_and_not1_b32 exec_lo, exec_lo, s2
	s_cbranch_execnz .LBB60_785
; %bb.786:
	s_or_b32 exec_lo, exec_lo, s2
.LBB60_787:
	s_delay_alu instid0(SALU_CYCLE_1)
	s_or_b32 exec_lo, exec_lo, s1
	v_mov_b32_e32 v100, 0
	ds_load_b32 v100, v100 offset:80
	s_wait_dscnt 0x0
	v_mul_f32_e32 v99, v99, v100
	scratch_store_b32 off, v99, off offset:80
.LBB60_788:
	s_wait_xcnt 0x0
	s_or_b32 exec_lo, exec_lo, s0
	scratch_load_b32 v99, off, off offset:84
	s_mov_b32 s0, exec_lo
	s_wait_loadcnt 0x0
	ds_store_b32 v1, v99
	s_wait_storecnt_dscnt 0x0
	s_barrier_signal -1
	s_barrier_wait -1
	s_wait_xcnt 0x0
	v_cmpx_gt_u32_e32 21, v0
	s_cbranch_execz .LBB60_798
; %bb.789:
	v_cmp_ne_u32_e32 vcc_lo, 1, v98
	s_cbranch_vccnz .LBB60_791
; %bb.790:
	scratch_load_b32 v99, v7, off
	ds_load_b32 v100, v1
	s_wait_loadcnt_dscnt 0x0
	v_mul_f32_e32 v99, v99, v100
	s_cbranch_execz .LBB60_792
	s_branch .LBB60_793
.LBB60_791:
                                        ; implicit-def: $vgpr99
.LBB60_792:
	ds_load_b32 v99, v1
.LBB60_793:
	s_mov_b32 s1, exec_lo
	v_cmpx_ne_u32_e32 20, v0
	s_cbranch_execz .LBB60_797
; %bb.794:
	v_add_nc_u32_e32 v100, 0x104, v6
	v_add3_u32 v101, 0, v6, 4
	v_mov_b32_e32 v102, v0
	s_mov_b32 s2, 0
.LBB60_795:                             ; =>This Inner Loop Header: Depth=1
	scratch_load_b32 v103, v101, off
	ds_load_b32 v104, v100
	v_dual_add_nc_u32 v102, 1, v102 :: v_dual_add_nc_u32 v100, 4, v100
	s_wait_xcnt 0x0
	v_add_nc_u32_e32 v101, 4, v101
	s_delay_alu instid0(VALU_DEP_2)
	v_cmp_lt_u32_e32 vcc_lo, 19, v102
	s_or_b32 s2, vcc_lo, s2
	s_wait_loadcnt_dscnt 0x0
	v_fmac_f32_e32 v99, v103, v104
	s_and_not1_b32 exec_lo, exec_lo, s2
	s_cbranch_execnz .LBB60_795
; %bb.796:
	s_or_b32 exec_lo, exec_lo, s2
.LBB60_797:
	s_delay_alu instid0(SALU_CYCLE_1)
	s_or_b32 exec_lo, exec_lo, s1
	v_mov_b32_e32 v100, 0
	ds_load_b32 v100, v100 offset:84
	s_wait_dscnt 0x0
	v_mul_f32_e32 v99, v99, v100
	scratch_store_b32 off, v99, off offset:84
.LBB60_798:
	s_wait_xcnt 0x0
	s_or_b32 exec_lo, exec_lo, s0
	scratch_load_b32 v99, off, off offset:88
	s_mov_b32 s0, exec_lo
	s_wait_loadcnt 0x0
	ds_store_b32 v1, v99
	s_wait_storecnt_dscnt 0x0
	s_barrier_signal -1
	s_barrier_wait -1
	s_wait_xcnt 0x0
	v_cmpx_gt_u32_e32 22, v0
	s_cbranch_execz .LBB60_808
; %bb.799:
	v_cmp_ne_u32_e32 vcc_lo, 1, v98
	s_cbranch_vccnz .LBB60_801
; %bb.800:
	scratch_load_b32 v99, v7, off
	ds_load_b32 v100, v1
	s_wait_loadcnt_dscnt 0x0
	v_mul_f32_e32 v99, v99, v100
	s_cbranch_execz .LBB60_802
	s_branch .LBB60_803
.LBB60_801:
                                        ; implicit-def: $vgpr99
.LBB60_802:
	ds_load_b32 v99, v1
.LBB60_803:
	s_mov_b32 s1, exec_lo
	v_cmpx_ne_u32_e32 21, v0
	s_cbranch_execz .LBB60_807
; %bb.804:
	v_add_nc_u32_e32 v100, 0x104, v6
	v_add3_u32 v101, 0, v6, 4
	v_mov_b32_e32 v102, v0
	s_mov_b32 s2, 0
.LBB60_805:                             ; =>This Inner Loop Header: Depth=1
	scratch_load_b32 v103, v101, off
	ds_load_b32 v104, v100
	v_dual_add_nc_u32 v102, 1, v102 :: v_dual_add_nc_u32 v100, 4, v100
	s_wait_xcnt 0x0
	v_add_nc_u32_e32 v101, 4, v101
	s_delay_alu instid0(VALU_DEP_2)
	v_cmp_lt_u32_e32 vcc_lo, 20, v102
	s_or_b32 s2, vcc_lo, s2
	s_wait_loadcnt_dscnt 0x0
	v_fmac_f32_e32 v99, v103, v104
	s_and_not1_b32 exec_lo, exec_lo, s2
	s_cbranch_execnz .LBB60_805
; %bb.806:
	s_or_b32 exec_lo, exec_lo, s2
.LBB60_807:
	s_delay_alu instid0(SALU_CYCLE_1)
	s_or_b32 exec_lo, exec_lo, s1
	v_mov_b32_e32 v100, 0
	ds_load_b32 v100, v100 offset:88
	s_wait_dscnt 0x0
	v_mul_f32_e32 v99, v99, v100
	scratch_store_b32 off, v99, off offset:88
.LBB60_808:
	s_wait_xcnt 0x0
	s_or_b32 exec_lo, exec_lo, s0
	scratch_load_b32 v99, off, off offset:92
	s_mov_b32 s0, exec_lo
	s_wait_loadcnt 0x0
	ds_store_b32 v1, v99
	s_wait_storecnt_dscnt 0x0
	s_barrier_signal -1
	s_barrier_wait -1
	s_wait_xcnt 0x0
	v_cmpx_gt_u32_e32 23, v0
	s_cbranch_execz .LBB60_818
; %bb.809:
	v_cmp_ne_u32_e32 vcc_lo, 1, v98
	s_cbranch_vccnz .LBB60_811
; %bb.810:
	scratch_load_b32 v99, v7, off
	ds_load_b32 v100, v1
	s_wait_loadcnt_dscnt 0x0
	v_mul_f32_e32 v99, v99, v100
	s_cbranch_execz .LBB60_812
	s_branch .LBB60_813
.LBB60_811:
                                        ; implicit-def: $vgpr99
.LBB60_812:
	ds_load_b32 v99, v1
.LBB60_813:
	s_mov_b32 s1, exec_lo
	v_cmpx_ne_u32_e32 22, v0
	s_cbranch_execz .LBB60_817
; %bb.814:
	v_add_nc_u32_e32 v100, 0x104, v6
	v_add3_u32 v101, 0, v6, 4
	v_mov_b32_e32 v102, v0
	s_mov_b32 s2, 0
.LBB60_815:                             ; =>This Inner Loop Header: Depth=1
	scratch_load_b32 v103, v101, off
	ds_load_b32 v104, v100
	v_dual_add_nc_u32 v102, 1, v102 :: v_dual_add_nc_u32 v100, 4, v100
	s_wait_xcnt 0x0
	v_add_nc_u32_e32 v101, 4, v101
	s_delay_alu instid0(VALU_DEP_2)
	v_cmp_lt_u32_e32 vcc_lo, 21, v102
	s_or_b32 s2, vcc_lo, s2
	s_wait_loadcnt_dscnt 0x0
	v_fmac_f32_e32 v99, v103, v104
	s_and_not1_b32 exec_lo, exec_lo, s2
	s_cbranch_execnz .LBB60_815
; %bb.816:
	s_or_b32 exec_lo, exec_lo, s2
.LBB60_817:
	s_delay_alu instid0(SALU_CYCLE_1)
	s_or_b32 exec_lo, exec_lo, s1
	v_mov_b32_e32 v100, 0
	ds_load_b32 v100, v100 offset:92
	s_wait_dscnt 0x0
	v_mul_f32_e32 v99, v99, v100
	scratch_store_b32 off, v99, off offset:92
.LBB60_818:
	s_wait_xcnt 0x0
	s_or_b32 exec_lo, exec_lo, s0
	scratch_load_b32 v99, off, off offset:96
	s_mov_b32 s0, exec_lo
	s_wait_loadcnt 0x0
	ds_store_b32 v1, v99
	s_wait_storecnt_dscnt 0x0
	s_barrier_signal -1
	s_barrier_wait -1
	s_wait_xcnt 0x0
	v_cmpx_gt_u32_e32 24, v0
	s_cbranch_execz .LBB60_828
; %bb.819:
	v_cmp_ne_u32_e32 vcc_lo, 1, v98
	s_cbranch_vccnz .LBB60_821
; %bb.820:
	scratch_load_b32 v99, v7, off
	ds_load_b32 v100, v1
	s_wait_loadcnt_dscnt 0x0
	v_mul_f32_e32 v99, v99, v100
	s_cbranch_execz .LBB60_822
	s_branch .LBB60_823
.LBB60_821:
                                        ; implicit-def: $vgpr99
.LBB60_822:
	ds_load_b32 v99, v1
.LBB60_823:
	s_mov_b32 s1, exec_lo
	v_cmpx_ne_u32_e32 23, v0
	s_cbranch_execz .LBB60_827
; %bb.824:
	v_add_nc_u32_e32 v100, 0x104, v6
	v_add3_u32 v101, 0, v6, 4
	v_mov_b32_e32 v102, v0
	s_mov_b32 s2, 0
.LBB60_825:                             ; =>This Inner Loop Header: Depth=1
	scratch_load_b32 v103, v101, off
	ds_load_b32 v104, v100
	v_dual_add_nc_u32 v102, 1, v102 :: v_dual_add_nc_u32 v100, 4, v100
	s_wait_xcnt 0x0
	v_add_nc_u32_e32 v101, 4, v101
	s_delay_alu instid0(VALU_DEP_2)
	v_cmp_lt_u32_e32 vcc_lo, 22, v102
	s_or_b32 s2, vcc_lo, s2
	s_wait_loadcnt_dscnt 0x0
	v_fmac_f32_e32 v99, v103, v104
	s_and_not1_b32 exec_lo, exec_lo, s2
	s_cbranch_execnz .LBB60_825
; %bb.826:
	s_or_b32 exec_lo, exec_lo, s2
.LBB60_827:
	s_delay_alu instid0(SALU_CYCLE_1)
	s_or_b32 exec_lo, exec_lo, s1
	v_mov_b32_e32 v100, 0
	ds_load_b32 v100, v100 offset:96
	s_wait_dscnt 0x0
	v_mul_f32_e32 v99, v99, v100
	scratch_store_b32 off, v99, off offset:96
.LBB60_828:
	s_wait_xcnt 0x0
	s_or_b32 exec_lo, exec_lo, s0
	scratch_load_b32 v99, off, off offset:100
	s_mov_b32 s0, exec_lo
	s_wait_loadcnt 0x0
	ds_store_b32 v1, v99
	s_wait_storecnt_dscnt 0x0
	s_barrier_signal -1
	s_barrier_wait -1
	s_wait_xcnt 0x0
	v_cmpx_gt_u32_e32 25, v0
	s_cbranch_execz .LBB60_838
; %bb.829:
	v_cmp_ne_u32_e32 vcc_lo, 1, v98
	s_cbranch_vccnz .LBB60_831
; %bb.830:
	scratch_load_b32 v99, v7, off
	ds_load_b32 v100, v1
	s_wait_loadcnt_dscnt 0x0
	v_mul_f32_e32 v99, v99, v100
	s_cbranch_execz .LBB60_832
	s_branch .LBB60_833
.LBB60_831:
                                        ; implicit-def: $vgpr99
.LBB60_832:
	ds_load_b32 v99, v1
.LBB60_833:
	s_mov_b32 s1, exec_lo
	v_cmpx_ne_u32_e32 24, v0
	s_cbranch_execz .LBB60_837
; %bb.834:
	v_add_nc_u32_e32 v100, 0x104, v6
	v_add3_u32 v101, 0, v6, 4
	v_mov_b32_e32 v102, v0
	s_mov_b32 s2, 0
.LBB60_835:                             ; =>This Inner Loop Header: Depth=1
	scratch_load_b32 v103, v101, off
	ds_load_b32 v104, v100
	v_dual_add_nc_u32 v102, 1, v102 :: v_dual_add_nc_u32 v100, 4, v100
	s_wait_xcnt 0x0
	v_add_nc_u32_e32 v101, 4, v101
	s_delay_alu instid0(VALU_DEP_2)
	v_cmp_lt_u32_e32 vcc_lo, 23, v102
	s_or_b32 s2, vcc_lo, s2
	s_wait_loadcnt_dscnt 0x0
	v_fmac_f32_e32 v99, v103, v104
	s_and_not1_b32 exec_lo, exec_lo, s2
	s_cbranch_execnz .LBB60_835
; %bb.836:
	s_or_b32 exec_lo, exec_lo, s2
.LBB60_837:
	s_delay_alu instid0(SALU_CYCLE_1)
	s_or_b32 exec_lo, exec_lo, s1
	v_mov_b32_e32 v100, 0
	ds_load_b32 v100, v100 offset:100
	s_wait_dscnt 0x0
	v_mul_f32_e32 v99, v99, v100
	scratch_store_b32 off, v99, off offset:100
.LBB60_838:
	s_wait_xcnt 0x0
	s_or_b32 exec_lo, exec_lo, s0
	scratch_load_b32 v99, off, off offset:104
	s_mov_b32 s0, exec_lo
	s_wait_loadcnt 0x0
	ds_store_b32 v1, v99
	s_wait_storecnt_dscnt 0x0
	s_barrier_signal -1
	s_barrier_wait -1
	s_wait_xcnt 0x0
	v_cmpx_gt_u32_e32 26, v0
	s_cbranch_execz .LBB60_848
; %bb.839:
	v_cmp_ne_u32_e32 vcc_lo, 1, v98
	s_cbranch_vccnz .LBB60_841
; %bb.840:
	scratch_load_b32 v99, v7, off
	ds_load_b32 v100, v1
	s_wait_loadcnt_dscnt 0x0
	v_mul_f32_e32 v99, v99, v100
	s_cbranch_execz .LBB60_842
	s_branch .LBB60_843
.LBB60_841:
                                        ; implicit-def: $vgpr99
.LBB60_842:
	ds_load_b32 v99, v1
.LBB60_843:
	s_mov_b32 s1, exec_lo
	v_cmpx_ne_u32_e32 25, v0
	s_cbranch_execz .LBB60_847
; %bb.844:
	v_add_nc_u32_e32 v100, 0x104, v6
	v_add3_u32 v101, 0, v6, 4
	v_mov_b32_e32 v102, v0
	s_mov_b32 s2, 0
.LBB60_845:                             ; =>This Inner Loop Header: Depth=1
	scratch_load_b32 v103, v101, off
	ds_load_b32 v104, v100
	v_dual_add_nc_u32 v102, 1, v102 :: v_dual_add_nc_u32 v100, 4, v100
	s_wait_xcnt 0x0
	v_add_nc_u32_e32 v101, 4, v101
	s_delay_alu instid0(VALU_DEP_2)
	v_cmp_lt_u32_e32 vcc_lo, 24, v102
	s_or_b32 s2, vcc_lo, s2
	s_wait_loadcnt_dscnt 0x0
	v_fmac_f32_e32 v99, v103, v104
	s_and_not1_b32 exec_lo, exec_lo, s2
	s_cbranch_execnz .LBB60_845
; %bb.846:
	s_or_b32 exec_lo, exec_lo, s2
.LBB60_847:
	s_delay_alu instid0(SALU_CYCLE_1)
	s_or_b32 exec_lo, exec_lo, s1
	v_mov_b32_e32 v100, 0
	ds_load_b32 v100, v100 offset:104
	s_wait_dscnt 0x0
	v_mul_f32_e32 v99, v99, v100
	scratch_store_b32 off, v99, off offset:104
.LBB60_848:
	s_wait_xcnt 0x0
	s_or_b32 exec_lo, exec_lo, s0
	scratch_load_b32 v99, off, off offset:108
	s_mov_b32 s0, exec_lo
	s_wait_loadcnt 0x0
	ds_store_b32 v1, v99
	s_wait_storecnt_dscnt 0x0
	s_barrier_signal -1
	s_barrier_wait -1
	s_wait_xcnt 0x0
	v_cmpx_gt_u32_e32 27, v0
	s_cbranch_execz .LBB60_858
; %bb.849:
	v_cmp_ne_u32_e32 vcc_lo, 1, v98
	s_cbranch_vccnz .LBB60_851
; %bb.850:
	scratch_load_b32 v99, v7, off
	ds_load_b32 v100, v1
	s_wait_loadcnt_dscnt 0x0
	v_mul_f32_e32 v99, v99, v100
	s_cbranch_execz .LBB60_852
	s_branch .LBB60_853
.LBB60_851:
                                        ; implicit-def: $vgpr99
.LBB60_852:
	ds_load_b32 v99, v1
.LBB60_853:
	s_mov_b32 s1, exec_lo
	v_cmpx_ne_u32_e32 26, v0
	s_cbranch_execz .LBB60_857
; %bb.854:
	v_add_nc_u32_e32 v100, 0x104, v6
	v_add3_u32 v101, 0, v6, 4
	v_mov_b32_e32 v102, v0
	s_mov_b32 s2, 0
.LBB60_855:                             ; =>This Inner Loop Header: Depth=1
	scratch_load_b32 v103, v101, off
	ds_load_b32 v104, v100
	v_dual_add_nc_u32 v102, 1, v102 :: v_dual_add_nc_u32 v100, 4, v100
	s_wait_xcnt 0x0
	v_add_nc_u32_e32 v101, 4, v101
	s_delay_alu instid0(VALU_DEP_2)
	v_cmp_lt_u32_e32 vcc_lo, 25, v102
	s_or_b32 s2, vcc_lo, s2
	s_wait_loadcnt_dscnt 0x0
	v_fmac_f32_e32 v99, v103, v104
	s_and_not1_b32 exec_lo, exec_lo, s2
	s_cbranch_execnz .LBB60_855
; %bb.856:
	s_or_b32 exec_lo, exec_lo, s2
.LBB60_857:
	s_delay_alu instid0(SALU_CYCLE_1)
	s_or_b32 exec_lo, exec_lo, s1
	v_mov_b32_e32 v100, 0
	ds_load_b32 v100, v100 offset:108
	s_wait_dscnt 0x0
	v_mul_f32_e32 v99, v99, v100
	scratch_store_b32 off, v99, off offset:108
.LBB60_858:
	s_wait_xcnt 0x0
	s_or_b32 exec_lo, exec_lo, s0
	scratch_load_b32 v99, off, off offset:112
	s_mov_b32 s0, exec_lo
	s_wait_loadcnt 0x0
	ds_store_b32 v1, v99
	s_wait_storecnt_dscnt 0x0
	s_barrier_signal -1
	s_barrier_wait -1
	s_wait_xcnt 0x0
	v_cmpx_gt_u32_e32 28, v0
	s_cbranch_execz .LBB60_868
; %bb.859:
	v_cmp_ne_u32_e32 vcc_lo, 1, v98
	s_cbranch_vccnz .LBB60_861
; %bb.860:
	scratch_load_b32 v99, v7, off
	ds_load_b32 v100, v1
	s_wait_loadcnt_dscnt 0x0
	v_mul_f32_e32 v99, v99, v100
	s_cbranch_execz .LBB60_862
	s_branch .LBB60_863
.LBB60_861:
                                        ; implicit-def: $vgpr99
.LBB60_862:
	ds_load_b32 v99, v1
.LBB60_863:
	s_mov_b32 s1, exec_lo
	v_cmpx_ne_u32_e32 27, v0
	s_cbranch_execz .LBB60_867
; %bb.864:
	v_add_nc_u32_e32 v100, 0x104, v6
	v_add3_u32 v101, 0, v6, 4
	v_mov_b32_e32 v102, v0
	s_mov_b32 s2, 0
.LBB60_865:                             ; =>This Inner Loop Header: Depth=1
	scratch_load_b32 v103, v101, off
	ds_load_b32 v104, v100
	v_dual_add_nc_u32 v102, 1, v102 :: v_dual_add_nc_u32 v100, 4, v100
	s_wait_xcnt 0x0
	v_add_nc_u32_e32 v101, 4, v101
	s_delay_alu instid0(VALU_DEP_2)
	v_cmp_lt_u32_e32 vcc_lo, 26, v102
	s_or_b32 s2, vcc_lo, s2
	s_wait_loadcnt_dscnt 0x0
	v_fmac_f32_e32 v99, v103, v104
	s_and_not1_b32 exec_lo, exec_lo, s2
	s_cbranch_execnz .LBB60_865
; %bb.866:
	s_or_b32 exec_lo, exec_lo, s2
.LBB60_867:
	s_delay_alu instid0(SALU_CYCLE_1)
	s_or_b32 exec_lo, exec_lo, s1
	v_mov_b32_e32 v100, 0
	ds_load_b32 v100, v100 offset:112
	s_wait_dscnt 0x0
	v_mul_f32_e32 v99, v99, v100
	scratch_store_b32 off, v99, off offset:112
.LBB60_868:
	s_wait_xcnt 0x0
	s_or_b32 exec_lo, exec_lo, s0
	scratch_load_b32 v99, off, off offset:116
	s_mov_b32 s0, exec_lo
	s_wait_loadcnt 0x0
	ds_store_b32 v1, v99
	s_wait_storecnt_dscnt 0x0
	s_barrier_signal -1
	s_barrier_wait -1
	s_wait_xcnt 0x0
	v_cmpx_gt_u32_e32 29, v0
	s_cbranch_execz .LBB60_878
; %bb.869:
	v_cmp_ne_u32_e32 vcc_lo, 1, v98
	s_cbranch_vccnz .LBB60_871
; %bb.870:
	scratch_load_b32 v99, v7, off
	ds_load_b32 v100, v1
	s_wait_loadcnt_dscnt 0x0
	v_mul_f32_e32 v99, v99, v100
	s_cbranch_execz .LBB60_872
	s_branch .LBB60_873
.LBB60_871:
                                        ; implicit-def: $vgpr99
.LBB60_872:
	ds_load_b32 v99, v1
.LBB60_873:
	s_mov_b32 s1, exec_lo
	v_cmpx_ne_u32_e32 28, v0
	s_cbranch_execz .LBB60_877
; %bb.874:
	v_add_nc_u32_e32 v100, 0x104, v6
	v_add3_u32 v101, 0, v6, 4
	v_mov_b32_e32 v102, v0
	s_mov_b32 s2, 0
.LBB60_875:                             ; =>This Inner Loop Header: Depth=1
	scratch_load_b32 v103, v101, off
	ds_load_b32 v104, v100
	v_dual_add_nc_u32 v102, 1, v102 :: v_dual_add_nc_u32 v100, 4, v100
	s_wait_xcnt 0x0
	v_add_nc_u32_e32 v101, 4, v101
	s_delay_alu instid0(VALU_DEP_2)
	v_cmp_lt_u32_e32 vcc_lo, 27, v102
	s_or_b32 s2, vcc_lo, s2
	s_wait_loadcnt_dscnt 0x0
	v_fmac_f32_e32 v99, v103, v104
	s_and_not1_b32 exec_lo, exec_lo, s2
	s_cbranch_execnz .LBB60_875
; %bb.876:
	s_or_b32 exec_lo, exec_lo, s2
.LBB60_877:
	s_delay_alu instid0(SALU_CYCLE_1)
	s_or_b32 exec_lo, exec_lo, s1
	v_mov_b32_e32 v100, 0
	ds_load_b32 v100, v100 offset:116
	s_wait_dscnt 0x0
	v_mul_f32_e32 v99, v99, v100
	scratch_store_b32 off, v99, off offset:116
.LBB60_878:
	s_wait_xcnt 0x0
	s_or_b32 exec_lo, exec_lo, s0
	scratch_load_b32 v99, off, off offset:120
	s_mov_b32 s0, exec_lo
	s_wait_loadcnt 0x0
	ds_store_b32 v1, v99
	s_wait_storecnt_dscnt 0x0
	s_barrier_signal -1
	s_barrier_wait -1
	s_wait_xcnt 0x0
	v_cmpx_gt_u32_e32 30, v0
	s_cbranch_execz .LBB60_888
; %bb.879:
	v_cmp_ne_u32_e32 vcc_lo, 1, v98
	s_cbranch_vccnz .LBB60_881
; %bb.880:
	scratch_load_b32 v99, v7, off
	ds_load_b32 v100, v1
	s_wait_loadcnt_dscnt 0x0
	v_mul_f32_e32 v99, v99, v100
	s_cbranch_execz .LBB60_882
	s_branch .LBB60_883
.LBB60_881:
                                        ; implicit-def: $vgpr99
.LBB60_882:
	ds_load_b32 v99, v1
.LBB60_883:
	s_mov_b32 s1, exec_lo
	v_cmpx_ne_u32_e32 29, v0
	s_cbranch_execz .LBB60_887
; %bb.884:
	v_add_nc_u32_e32 v100, 0x104, v6
	v_add3_u32 v101, 0, v6, 4
	v_mov_b32_e32 v102, v0
	s_mov_b32 s2, 0
.LBB60_885:                             ; =>This Inner Loop Header: Depth=1
	scratch_load_b32 v103, v101, off
	ds_load_b32 v104, v100
	v_dual_add_nc_u32 v102, 1, v102 :: v_dual_add_nc_u32 v100, 4, v100
	s_wait_xcnt 0x0
	v_add_nc_u32_e32 v101, 4, v101
	s_delay_alu instid0(VALU_DEP_2)
	v_cmp_lt_u32_e32 vcc_lo, 28, v102
	s_or_b32 s2, vcc_lo, s2
	s_wait_loadcnt_dscnt 0x0
	v_fmac_f32_e32 v99, v103, v104
	s_and_not1_b32 exec_lo, exec_lo, s2
	s_cbranch_execnz .LBB60_885
; %bb.886:
	s_or_b32 exec_lo, exec_lo, s2
.LBB60_887:
	s_delay_alu instid0(SALU_CYCLE_1)
	s_or_b32 exec_lo, exec_lo, s1
	v_mov_b32_e32 v100, 0
	ds_load_b32 v100, v100 offset:120
	s_wait_dscnt 0x0
	v_mul_f32_e32 v99, v99, v100
	scratch_store_b32 off, v99, off offset:120
.LBB60_888:
	s_wait_xcnt 0x0
	s_or_b32 exec_lo, exec_lo, s0
	scratch_load_b32 v99, off, off offset:124
	s_mov_b32 s0, exec_lo
	s_wait_loadcnt 0x0
	ds_store_b32 v1, v99
	s_wait_storecnt_dscnt 0x0
	s_barrier_signal -1
	s_barrier_wait -1
	s_wait_xcnt 0x0
	v_cmpx_gt_u32_e32 31, v0
	s_cbranch_execz .LBB60_898
; %bb.889:
	v_cmp_ne_u32_e32 vcc_lo, 1, v98
	s_cbranch_vccnz .LBB60_891
; %bb.890:
	scratch_load_b32 v99, v7, off
	ds_load_b32 v100, v1
	s_wait_loadcnt_dscnt 0x0
	v_mul_f32_e32 v99, v99, v100
	s_cbranch_execz .LBB60_892
	s_branch .LBB60_893
.LBB60_891:
                                        ; implicit-def: $vgpr99
.LBB60_892:
	ds_load_b32 v99, v1
.LBB60_893:
	s_mov_b32 s1, exec_lo
	v_cmpx_ne_u32_e32 30, v0
	s_cbranch_execz .LBB60_897
; %bb.894:
	v_add_nc_u32_e32 v100, 0x104, v6
	v_add3_u32 v101, 0, v6, 4
	v_mov_b32_e32 v102, v0
	s_mov_b32 s2, 0
.LBB60_895:                             ; =>This Inner Loop Header: Depth=1
	scratch_load_b32 v103, v101, off
	ds_load_b32 v104, v100
	v_dual_add_nc_u32 v102, 1, v102 :: v_dual_add_nc_u32 v100, 4, v100
	s_wait_xcnt 0x0
	v_add_nc_u32_e32 v101, 4, v101
	s_delay_alu instid0(VALU_DEP_2)
	v_cmp_lt_u32_e32 vcc_lo, 29, v102
	s_or_b32 s2, vcc_lo, s2
	s_wait_loadcnt_dscnt 0x0
	v_fmac_f32_e32 v99, v103, v104
	s_and_not1_b32 exec_lo, exec_lo, s2
	s_cbranch_execnz .LBB60_895
; %bb.896:
	s_or_b32 exec_lo, exec_lo, s2
.LBB60_897:
	s_delay_alu instid0(SALU_CYCLE_1)
	s_or_b32 exec_lo, exec_lo, s1
	v_mov_b32_e32 v100, 0
	ds_load_b32 v100, v100 offset:124
	s_wait_dscnt 0x0
	v_mul_f32_e32 v99, v99, v100
	scratch_store_b32 off, v99, off offset:124
.LBB60_898:
	s_wait_xcnt 0x0
	s_or_b32 exec_lo, exec_lo, s0
	scratch_load_b32 v99, off, off offset:128
	s_mov_b32 s0, exec_lo
	s_wait_loadcnt 0x0
	ds_store_b32 v1, v99
	s_wait_storecnt_dscnt 0x0
	s_barrier_signal -1
	s_barrier_wait -1
	s_wait_xcnt 0x0
	v_cmpx_gt_u32_e32 32, v0
	s_cbranch_execz .LBB60_908
; %bb.899:
	v_cmp_ne_u32_e32 vcc_lo, 1, v98
	s_cbranch_vccnz .LBB60_901
; %bb.900:
	scratch_load_b32 v99, v7, off
	ds_load_b32 v100, v1
	s_wait_loadcnt_dscnt 0x0
	v_mul_f32_e32 v99, v99, v100
	s_cbranch_execz .LBB60_902
	s_branch .LBB60_903
.LBB60_901:
                                        ; implicit-def: $vgpr99
.LBB60_902:
	ds_load_b32 v99, v1
.LBB60_903:
	s_mov_b32 s1, exec_lo
	v_cmpx_ne_u32_e32 31, v0
	s_cbranch_execz .LBB60_907
; %bb.904:
	v_add_nc_u32_e32 v100, 0x104, v6
	v_add3_u32 v101, 0, v6, 4
	v_mov_b32_e32 v102, v0
	s_mov_b32 s2, 0
.LBB60_905:                             ; =>This Inner Loop Header: Depth=1
	scratch_load_b32 v103, v101, off
	ds_load_b32 v104, v100
	v_dual_add_nc_u32 v102, 1, v102 :: v_dual_add_nc_u32 v100, 4, v100
	s_wait_xcnt 0x0
	v_add_nc_u32_e32 v101, 4, v101
	s_delay_alu instid0(VALU_DEP_2)
	v_cmp_lt_u32_e32 vcc_lo, 30, v102
	s_or_b32 s2, vcc_lo, s2
	s_wait_loadcnt_dscnt 0x0
	v_fmac_f32_e32 v99, v103, v104
	s_and_not1_b32 exec_lo, exec_lo, s2
	s_cbranch_execnz .LBB60_905
; %bb.906:
	s_or_b32 exec_lo, exec_lo, s2
.LBB60_907:
	s_delay_alu instid0(SALU_CYCLE_1)
	s_or_b32 exec_lo, exec_lo, s1
	v_mov_b32_e32 v100, 0
	ds_load_b32 v100, v100 offset:128
	s_wait_dscnt 0x0
	v_mul_f32_e32 v99, v99, v100
	scratch_store_b32 off, v99, off offset:128
.LBB60_908:
	s_wait_xcnt 0x0
	s_or_b32 exec_lo, exec_lo, s0
	scratch_load_b32 v99, off, off offset:132
	s_mov_b32 s0, exec_lo
	s_wait_loadcnt 0x0
	ds_store_b32 v1, v99
	s_wait_storecnt_dscnt 0x0
	s_barrier_signal -1
	s_barrier_wait -1
	s_wait_xcnt 0x0
	v_cmpx_gt_u32_e32 33, v0
	s_cbranch_execz .LBB60_918
; %bb.909:
	v_cmp_ne_u32_e32 vcc_lo, 1, v98
	s_cbranch_vccnz .LBB60_911
; %bb.910:
	scratch_load_b32 v99, v7, off
	ds_load_b32 v100, v1
	s_wait_loadcnt_dscnt 0x0
	v_mul_f32_e32 v99, v99, v100
	s_cbranch_execz .LBB60_912
	s_branch .LBB60_913
.LBB60_911:
                                        ; implicit-def: $vgpr99
.LBB60_912:
	ds_load_b32 v99, v1
.LBB60_913:
	s_mov_b32 s1, exec_lo
	v_cmpx_ne_u32_e32 32, v0
	s_cbranch_execz .LBB60_917
; %bb.914:
	v_add_nc_u32_e32 v100, 0x104, v6
	v_add3_u32 v101, 0, v6, 4
	v_mov_b32_e32 v102, v0
	s_mov_b32 s2, 0
.LBB60_915:                             ; =>This Inner Loop Header: Depth=1
	scratch_load_b32 v103, v101, off
	ds_load_b32 v104, v100
	v_dual_add_nc_u32 v102, 1, v102 :: v_dual_add_nc_u32 v100, 4, v100
	s_wait_xcnt 0x0
	v_add_nc_u32_e32 v101, 4, v101
	s_delay_alu instid0(VALU_DEP_2)
	v_cmp_lt_u32_e32 vcc_lo, 31, v102
	s_or_b32 s2, vcc_lo, s2
	s_wait_loadcnt_dscnt 0x0
	v_fmac_f32_e32 v99, v103, v104
	s_and_not1_b32 exec_lo, exec_lo, s2
	s_cbranch_execnz .LBB60_915
; %bb.916:
	s_or_b32 exec_lo, exec_lo, s2
.LBB60_917:
	s_delay_alu instid0(SALU_CYCLE_1)
	s_or_b32 exec_lo, exec_lo, s1
	v_mov_b32_e32 v100, 0
	ds_load_b32 v100, v100 offset:132
	s_wait_dscnt 0x0
	v_mul_f32_e32 v99, v99, v100
	scratch_store_b32 off, v99, off offset:132
.LBB60_918:
	s_wait_xcnt 0x0
	s_or_b32 exec_lo, exec_lo, s0
	scratch_load_b32 v99, off, off offset:136
	s_mov_b32 s0, exec_lo
	s_wait_loadcnt 0x0
	ds_store_b32 v1, v99
	s_wait_storecnt_dscnt 0x0
	s_barrier_signal -1
	s_barrier_wait -1
	s_wait_xcnt 0x0
	v_cmpx_gt_u32_e32 34, v0
	s_cbranch_execz .LBB60_928
; %bb.919:
	v_cmp_ne_u32_e32 vcc_lo, 1, v98
	s_cbranch_vccnz .LBB60_921
; %bb.920:
	scratch_load_b32 v99, v7, off
	ds_load_b32 v100, v1
	s_wait_loadcnt_dscnt 0x0
	v_mul_f32_e32 v99, v99, v100
	s_cbranch_execz .LBB60_922
	s_branch .LBB60_923
.LBB60_921:
                                        ; implicit-def: $vgpr99
.LBB60_922:
	ds_load_b32 v99, v1
.LBB60_923:
	s_mov_b32 s1, exec_lo
	v_cmpx_ne_u32_e32 33, v0
	s_cbranch_execz .LBB60_927
; %bb.924:
	v_add_nc_u32_e32 v100, 0x104, v6
	v_add3_u32 v101, 0, v6, 4
	v_mov_b32_e32 v102, v0
	s_mov_b32 s2, 0
.LBB60_925:                             ; =>This Inner Loop Header: Depth=1
	scratch_load_b32 v103, v101, off
	ds_load_b32 v104, v100
	v_dual_add_nc_u32 v102, 1, v102 :: v_dual_add_nc_u32 v100, 4, v100
	s_wait_xcnt 0x0
	v_add_nc_u32_e32 v101, 4, v101
	s_delay_alu instid0(VALU_DEP_2)
	v_cmp_lt_u32_e32 vcc_lo, 32, v102
	s_or_b32 s2, vcc_lo, s2
	s_wait_loadcnt_dscnt 0x0
	v_fmac_f32_e32 v99, v103, v104
	s_and_not1_b32 exec_lo, exec_lo, s2
	s_cbranch_execnz .LBB60_925
; %bb.926:
	s_or_b32 exec_lo, exec_lo, s2
.LBB60_927:
	s_delay_alu instid0(SALU_CYCLE_1)
	s_or_b32 exec_lo, exec_lo, s1
	v_mov_b32_e32 v100, 0
	ds_load_b32 v100, v100 offset:136
	s_wait_dscnt 0x0
	v_mul_f32_e32 v99, v99, v100
	scratch_store_b32 off, v99, off offset:136
.LBB60_928:
	s_wait_xcnt 0x0
	s_or_b32 exec_lo, exec_lo, s0
	scratch_load_b32 v99, off, off offset:140
	s_mov_b32 s0, exec_lo
	s_wait_loadcnt 0x0
	ds_store_b32 v1, v99
	s_wait_storecnt_dscnt 0x0
	s_barrier_signal -1
	s_barrier_wait -1
	s_wait_xcnt 0x0
	v_cmpx_gt_u32_e32 35, v0
	s_cbranch_execz .LBB60_938
; %bb.929:
	v_cmp_ne_u32_e32 vcc_lo, 1, v98
	s_cbranch_vccnz .LBB60_931
; %bb.930:
	scratch_load_b32 v99, v7, off
	ds_load_b32 v100, v1
	s_wait_loadcnt_dscnt 0x0
	v_mul_f32_e32 v99, v99, v100
	s_cbranch_execz .LBB60_932
	s_branch .LBB60_933
.LBB60_931:
                                        ; implicit-def: $vgpr99
.LBB60_932:
	ds_load_b32 v99, v1
.LBB60_933:
	s_mov_b32 s1, exec_lo
	v_cmpx_ne_u32_e32 34, v0
	s_cbranch_execz .LBB60_937
; %bb.934:
	v_add_nc_u32_e32 v100, 0x104, v6
	v_add3_u32 v101, 0, v6, 4
	v_mov_b32_e32 v102, v0
	s_mov_b32 s2, 0
.LBB60_935:                             ; =>This Inner Loop Header: Depth=1
	scratch_load_b32 v103, v101, off
	ds_load_b32 v104, v100
	v_dual_add_nc_u32 v102, 1, v102 :: v_dual_add_nc_u32 v100, 4, v100
	s_wait_xcnt 0x0
	v_add_nc_u32_e32 v101, 4, v101
	s_delay_alu instid0(VALU_DEP_2)
	v_cmp_lt_u32_e32 vcc_lo, 33, v102
	s_or_b32 s2, vcc_lo, s2
	s_wait_loadcnt_dscnt 0x0
	v_fmac_f32_e32 v99, v103, v104
	s_and_not1_b32 exec_lo, exec_lo, s2
	s_cbranch_execnz .LBB60_935
; %bb.936:
	s_or_b32 exec_lo, exec_lo, s2
.LBB60_937:
	s_delay_alu instid0(SALU_CYCLE_1)
	s_or_b32 exec_lo, exec_lo, s1
	v_mov_b32_e32 v100, 0
	ds_load_b32 v100, v100 offset:140
	s_wait_dscnt 0x0
	v_mul_f32_e32 v99, v99, v100
	scratch_store_b32 off, v99, off offset:140
.LBB60_938:
	s_wait_xcnt 0x0
	s_or_b32 exec_lo, exec_lo, s0
	scratch_load_b32 v99, off, off offset:144
	s_mov_b32 s0, exec_lo
	s_wait_loadcnt 0x0
	ds_store_b32 v1, v99
	s_wait_storecnt_dscnt 0x0
	s_barrier_signal -1
	s_barrier_wait -1
	s_wait_xcnt 0x0
	v_cmpx_gt_u32_e32 36, v0
	s_cbranch_execz .LBB60_948
; %bb.939:
	v_cmp_ne_u32_e32 vcc_lo, 1, v98
	s_cbranch_vccnz .LBB60_941
; %bb.940:
	scratch_load_b32 v99, v7, off
	ds_load_b32 v100, v1
	s_wait_loadcnt_dscnt 0x0
	v_mul_f32_e32 v99, v99, v100
	s_cbranch_execz .LBB60_942
	s_branch .LBB60_943
.LBB60_941:
                                        ; implicit-def: $vgpr99
.LBB60_942:
	ds_load_b32 v99, v1
.LBB60_943:
	s_mov_b32 s1, exec_lo
	v_cmpx_ne_u32_e32 35, v0
	s_cbranch_execz .LBB60_947
; %bb.944:
	v_add_nc_u32_e32 v100, 0x104, v6
	v_add3_u32 v101, 0, v6, 4
	v_mov_b32_e32 v102, v0
	s_mov_b32 s2, 0
.LBB60_945:                             ; =>This Inner Loop Header: Depth=1
	scratch_load_b32 v103, v101, off
	ds_load_b32 v104, v100
	v_dual_add_nc_u32 v102, 1, v102 :: v_dual_add_nc_u32 v100, 4, v100
	s_wait_xcnt 0x0
	v_add_nc_u32_e32 v101, 4, v101
	s_delay_alu instid0(VALU_DEP_2)
	v_cmp_lt_u32_e32 vcc_lo, 34, v102
	s_or_b32 s2, vcc_lo, s2
	s_wait_loadcnt_dscnt 0x0
	v_fmac_f32_e32 v99, v103, v104
	s_and_not1_b32 exec_lo, exec_lo, s2
	s_cbranch_execnz .LBB60_945
; %bb.946:
	s_or_b32 exec_lo, exec_lo, s2
.LBB60_947:
	s_delay_alu instid0(SALU_CYCLE_1)
	s_or_b32 exec_lo, exec_lo, s1
	v_mov_b32_e32 v100, 0
	ds_load_b32 v100, v100 offset:144
	s_wait_dscnt 0x0
	v_mul_f32_e32 v99, v99, v100
	scratch_store_b32 off, v99, off offset:144
.LBB60_948:
	s_wait_xcnt 0x0
	s_or_b32 exec_lo, exec_lo, s0
	scratch_load_b32 v99, off, off offset:148
	s_mov_b32 s0, exec_lo
	s_wait_loadcnt 0x0
	ds_store_b32 v1, v99
	s_wait_storecnt_dscnt 0x0
	s_barrier_signal -1
	s_barrier_wait -1
	s_wait_xcnt 0x0
	v_cmpx_gt_u32_e32 37, v0
	s_cbranch_execz .LBB60_958
; %bb.949:
	v_cmp_ne_u32_e32 vcc_lo, 1, v98
	s_cbranch_vccnz .LBB60_951
; %bb.950:
	scratch_load_b32 v99, v7, off
	ds_load_b32 v100, v1
	s_wait_loadcnt_dscnt 0x0
	v_mul_f32_e32 v99, v99, v100
	s_cbranch_execz .LBB60_952
	s_branch .LBB60_953
.LBB60_951:
                                        ; implicit-def: $vgpr99
.LBB60_952:
	ds_load_b32 v99, v1
.LBB60_953:
	s_mov_b32 s1, exec_lo
	v_cmpx_ne_u32_e32 36, v0
	s_cbranch_execz .LBB60_957
; %bb.954:
	v_add_nc_u32_e32 v100, 0x104, v6
	v_add3_u32 v101, 0, v6, 4
	v_mov_b32_e32 v102, v0
	s_mov_b32 s2, 0
.LBB60_955:                             ; =>This Inner Loop Header: Depth=1
	scratch_load_b32 v103, v101, off
	ds_load_b32 v104, v100
	v_dual_add_nc_u32 v102, 1, v102 :: v_dual_add_nc_u32 v100, 4, v100
	s_wait_xcnt 0x0
	v_add_nc_u32_e32 v101, 4, v101
	s_delay_alu instid0(VALU_DEP_2)
	v_cmp_lt_u32_e32 vcc_lo, 35, v102
	s_or_b32 s2, vcc_lo, s2
	s_wait_loadcnt_dscnt 0x0
	v_fmac_f32_e32 v99, v103, v104
	s_and_not1_b32 exec_lo, exec_lo, s2
	s_cbranch_execnz .LBB60_955
; %bb.956:
	s_or_b32 exec_lo, exec_lo, s2
.LBB60_957:
	s_delay_alu instid0(SALU_CYCLE_1)
	s_or_b32 exec_lo, exec_lo, s1
	v_mov_b32_e32 v100, 0
	ds_load_b32 v100, v100 offset:148
	s_wait_dscnt 0x0
	v_mul_f32_e32 v99, v99, v100
	scratch_store_b32 off, v99, off offset:148
.LBB60_958:
	s_wait_xcnt 0x0
	s_or_b32 exec_lo, exec_lo, s0
	scratch_load_b32 v99, off, off offset:152
	s_mov_b32 s0, exec_lo
	s_wait_loadcnt 0x0
	ds_store_b32 v1, v99
	s_wait_storecnt_dscnt 0x0
	s_barrier_signal -1
	s_barrier_wait -1
	s_wait_xcnt 0x0
	v_cmpx_gt_u32_e32 38, v0
	s_cbranch_execz .LBB60_968
; %bb.959:
	v_cmp_ne_u32_e32 vcc_lo, 1, v98
	s_cbranch_vccnz .LBB60_961
; %bb.960:
	scratch_load_b32 v99, v7, off
	ds_load_b32 v100, v1
	s_wait_loadcnt_dscnt 0x0
	v_mul_f32_e32 v99, v99, v100
	s_cbranch_execz .LBB60_962
	s_branch .LBB60_963
.LBB60_961:
                                        ; implicit-def: $vgpr99
.LBB60_962:
	ds_load_b32 v99, v1
.LBB60_963:
	s_mov_b32 s1, exec_lo
	v_cmpx_ne_u32_e32 37, v0
	s_cbranch_execz .LBB60_967
; %bb.964:
	v_add_nc_u32_e32 v100, 0x104, v6
	v_add3_u32 v101, 0, v6, 4
	v_mov_b32_e32 v102, v0
	s_mov_b32 s2, 0
.LBB60_965:                             ; =>This Inner Loop Header: Depth=1
	scratch_load_b32 v103, v101, off
	ds_load_b32 v104, v100
	v_dual_add_nc_u32 v102, 1, v102 :: v_dual_add_nc_u32 v100, 4, v100
	s_wait_xcnt 0x0
	v_add_nc_u32_e32 v101, 4, v101
	s_delay_alu instid0(VALU_DEP_2)
	v_cmp_lt_u32_e32 vcc_lo, 36, v102
	s_or_b32 s2, vcc_lo, s2
	s_wait_loadcnt_dscnt 0x0
	v_fmac_f32_e32 v99, v103, v104
	s_and_not1_b32 exec_lo, exec_lo, s2
	s_cbranch_execnz .LBB60_965
; %bb.966:
	s_or_b32 exec_lo, exec_lo, s2
.LBB60_967:
	s_delay_alu instid0(SALU_CYCLE_1)
	s_or_b32 exec_lo, exec_lo, s1
	v_mov_b32_e32 v100, 0
	ds_load_b32 v100, v100 offset:152
	s_wait_dscnt 0x0
	v_mul_f32_e32 v99, v99, v100
	scratch_store_b32 off, v99, off offset:152
.LBB60_968:
	s_wait_xcnt 0x0
	s_or_b32 exec_lo, exec_lo, s0
	scratch_load_b32 v99, off, off offset:156
	s_mov_b32 s0, exec_lo
	s_wait_loadcnt 0x0
	ds_store_b32 v1, v99
	s_wait_storecnt_dscnt 0x0
	s_barrier_signal -1
	s_barrier_wait -1
	s_wait_xcnt 0x0
	v_cmpx_gt_u32_e32 39, v0
	s_cbranch_execz .LBB60_978
; %bb.969:
	v_cmp_ne_u32_e32 vcc_lo, 1, v98
	s_cbranch_vccnz .LBB60_971
; %bb.970:
	scratch_load_b32 v99, v7, off
	ds_load_b32 v100, v1
	s_wait_loadcnt_dscnt 0x0
	v_mul_f32_e32 v99, v99, v100
	s_cbranch_execz .LBB60_972
	s_branch .LBB60_973
.LBB60_971:
                                        ; implicit-def: $vgpr99
.LBB60_972:
	ds_load_b32 v99, v1
.LBB60_973:
	s_mov_b32 s1, exec_lo
	v_cmpx_ne_u32_e32 38, v0
	s_cbranch_execz .LBB60_977
; %bb.974:
	v_add_nc_u32_e32 v100, 0x104, v6
	v_add3_u32 v101, 0, v6, 4
	v_mov_b32_e32 v102, v0
	s_mov_b32 s2, 0
.LBB60_975:                             ; =>This Inner Loop Header: Depth=1
	scratch_load_b32 v103, v101, off
	ds_load_b32 v104, v100
	v_dual_add_nc_u32 v102, 1, v102 :: v_dual_add_nc_u32 v100, 4, v100
	s_wait_xcnt 0x0
	v_add_nc_u32_e32 v101, 4, v101
	s_delay_alu instid0(VALU_DEP_2)
	v_cmp_lt_u32_e32 vcc_lo, 37, v102
	s_or_b32 s2, vcc_lo, s2
	s_wait_loadcnt_dscnt 0x0
	v_fmac_f32_e32 v99, v103, v104
	s_and_not1_b32 exec_lo, exec_lo, s2
	s_cbranch_execnz .LBB60_975
; %bb.976:
	s_or_b32 exec_lo, exec_lo, s2
.LBB60_977:
	s_delay_alu instid0(SALU_CYCLE_1)
	s_or_b32 exec_lo, exec_lo, s1
	v_mov_b32_e32 v100, 0
	ds_load_b32 v100, v100 offset:156
	s_wait_dscnt 0x0
	v_mul_f32_e32 v99, v99, v100
	scratch_store_b32 off, v99, off offset:156
.LBB60_978:
	s_wait_xcnt 0x0
	s_or_b32 exec_lo, exec_lo, s0
	scratch_load_b32 v99, off, off offset:160
	s_mov_b32 s0, exec_lo
	s_wait_loadcnt 0x0
	ds_store_b32 v1, v99
	s_wait_storecnt_dscnt 0x0
	s_barrier_signal -1
	s_barrier_wait -1
	s_wait_xcnt 0x0
	v_cmpx_gt_u32_e32 40, v0
	s_cbranch_execz .LBB60_988
; %bb.979:
	v_cmp_ne_u32_e32 vcc_lo, 1, v98
	s_cbranch_vccnz .LBB60_981
; %bb.980:
	scratch_load_b32 v99, v7, off
	ds_load_b32 v100, v1
	s_wait_loadcnt_dscnt 0x0
	v_mul_f32_e32 v99, v99, v100
	s_cbranch_execz .LBB60_982
	s_branch .LBB60_983
.LBB60_981:
                                        ; implicit-def: $vgpr99
.LBB60_982:
	ds_load_b32 v99, v1
.LBB60_983:
	s_mov_b32 s1, exec_lo
	v_cmpx_ne_u32_e32 39, v0
	s_cbranch_execz .LBB60_987
; %bb.984:
	v_add_nc_u32_e32 v100, 0x104, v6
	v_add3_u32 v101, 0, v6, 4
	v_mov_b32_e32 v102, v0
	s_mov_b32 s2, 0
.LBB60_985:                             ; =>This Inner Loop Header: Depth=1
	scratch_load_b32 v103, v101, off
	ds_load_b32 v104, v100
	v_dual_add_nc_u32 v102, 1, v102 :: v_dual_add_nc_u32 v100, 4, v100
	s_wait_xcnt 0x0
	v_add_nc_u32_e32 v101, 4, v101
	s_delay_alu instid0(VALU_DEP_2)
	v_cmp_lt_u32_e32 vcc_lo, 38, v102
	s_or_b32 s2, vcc_lo, s2
	s_wait_loadcnt_dscnt 0x0
	v_fmac_f32_e32 v99, v103, v104
	s_and_not1_b32 exec_lo, exec_lo, s2
	s_cbranch_execnz .LBB60_985
; %bb.986:
	s_or_b32 exec_lo, exec_lo, s2
.LBB60_987:
	s_delay_alu instid0(SALU_CYCLE_1)
	s_or_b32 exec_lo, exec_lo, s1
	v_mov_b32_e32 v100, 0
	ds_load_b32 v100, v100 offset:160
	s_wait_dscnt 0x0
	v_mul_f32_e32 v99, v99, v100
	scratch_store_b32 off, v99, off offset:160
.LBB60_988:
	s_wait_xcnt 0x0
	s_or_b32 exec_lo, exec_lo, s0
	scratch_load_b32 v99, off, off offset:164
	s_mov_b32 s0, exec_lo
	s_wait_loadcnt 0x0
	ds_store_b32 v1, v99
	s_wait_storecnt_dscnt 0x0
	s_barrier_signal -1
	s_barrier_wait -1
	s_wait_xcnt 0x0
	v_cmpx_gt_u32_e32 41, v0
	s_cbranch_execz .LBB60_998
; %bb.989:
	v_cmp_ne_u32_e32 vcc_lo, 1, v98
	s_cbranch_vccnz .LBB60_991
; %bb.990:
	scratch_load_b32 v99, v7, off
	ds_load_b32 v100, v1
	s_wait_loadcnt_dscnt 0x0
	v_mul_f32_e32 v99, v99, v100
	s_cbranch_execz .LBB60_992
	s_branch .LBB60_993
.LBB60_991:
                                        ; implicit-def: $vgpr99
.LBB60_992:
	ds_load_b32 v99, v1
.LBB60_993:
	s_mov_b32 s1, exec_lo
	v_cmpx_ne_u32_e32 40, v0
	s_cbranch_execz .LBB60_997
; %bb.994:
	v_add_nc_u32_e32 v100, 0x104, v6
	v_add3_u32 v101, 0, v6, 4
	v_mov_b32_e32 v102, v0
	s_mov_b32 s2, 0
.LBB60_995:                             ; =>This Inner Loop Header: Depth=1
	scratch_load_b32 v103, v101, off
	ds_load_b32 v104, v100
	v_dual_add_nc_u32 v102, 1, v102 :: v_dual_add_nc_u32 v100, 4, v100
	s_wait_xcnt 0x0
	v_add_nc_u32_e32 v101, 4, v101
	s_delay_alu instid0(VALU_DEP_2)
	v_cmp_lt_u32_e32 vcc_lo, 39, v102
	s_or_b32 s2, vcc_lo, s2
	s_wait_loadcnt_dscnt 0x0
	v_fmac_f32_e32 v99, v103, v104
	s_and_not1_b32 exec_lo, exec_lo, s2
	s_cbranch_execnz .LBB60_995
; %bb.996:
	s_or_b32 exec_lo, exec_lo, s2
.LBB60_997:
	s_delay_alu instid0(SALU_CYCLE_1)
	s_or_b32 exec_lo, exec_lo, s1
	v_mov_b32_e32 v100, 0
	ds_load_b32 v100, v100 offset:164
	s_wait_dscnt 0x0
	v_mul_f32_e32 v99, v99, v100
	scratch_store_b32 off, v99, off offset:164
.LBB60_998:
	s_wait_xcnt 0x0
	s_or_b32 exec_lo, exec_lo, s0
	scratch_load_b32 v99, off, off offset:168
	s_mov_b32 s0, exec_lo
	s_wait_loadcnt 0x0
	ds_store_b32 v1, v99
	s_wait_storecnt_dscnt 0x0
	s_barrier_signal -1
	s_barrier_wait -1
	s_wait_xcnt 0x0
	v_cmpx_gt_u32_e32 42, v0
	s_cbranch_execz .LBB60_1008
; %bb.999:
	v_cmp_ne_u32_e32 vcc_lo, 1, v98
	s_cbranch_vccnz .LBB60_1001
; %bb.1000:
	scratch_load_b32 v99, v7, off
	ds_load_b32 v100, v1
	s_wait_loadcnt_dscnt 0x0
	v_mul_f32_e32 v99, v99, v100
	s_cbranch_execz .LBB60_1002
	s_branch .LBB60_1003
.LBB60_1001:
                                        ; implicit-def: $vgpr99
.LBB60_1002:
	ds_load_b32 v99, v1
.LBB60_1003:
	s_mov_b32 s1, exec_lo
	v_cmpx_ne_u32_e32 41, v0
	s_cbranch_execz .LBB60_1007
; %bb.1004:
	v_add_nc_u32_e32 v100, 0x104, v6
	v_add3_u32 v101, 0, v6, 4
	v_mov_b32_e32 v102, v0
	s_mov_b32 s2, 0
.LBB60_1005:                            ; =>This Inner Loop Header: Depth=1
	scratch_load_b32 v103, v101, off
	ds_load_b32 v104, v100
	v_dual_add_nc_u32 v102, 1, v102 :: v_dual_add_nc_u32 v100, 4, v100
	s_wait_xcnt 0x0
	v_add_nc_u32_e32 v101, 4, v101
	s_delay_alu instid0(VALU_DEP_2)
	v_cmp_lt_u32_e32 vcc_lo, 40, v102
	s_or_b32 s2, vcc_lo, s2
	s_wait_loadcnt_dscnt 0x0
	v_fmac_f32_e32 v99, v103, v104
	s_and_not1_b32 exec_lo, exec_lo, s2
	s_cbranch_execnz .LBB60_1005
; %bb.1006:
	s_or_b32 exec_lo, exec_lo, s2
.LBB60_1007:
	s_delay_alu instid0(SALU_CYCLE_1)
	s_or_b32 exec_lo, exec_lo, s1
	v_mov_b32_e32 v100, 0
	ds_load_b32 v100, v100 offset:168
	s_wait_dscnt 0x0
	v_mul_f32_e32 v99, v99, v100
	scratch_store_b32 off, v99, off offset:168
.LBB60_1008:
	s_wait_xcnt 0x0
	s_or_b32 exec_lo, exec_lo, s0
	scratch_load_b32 v99, off, off offset:172
	s_mov_b32 s0, exec_lo
	s_wait_loadcnt 0x0
	ds_store_b32 v1, v99
	s_wait_storecnt_dscnt 0x0
	s_barrier_signal -1
	s_barrier_wait -1
	s_wait_xcnt 0x0
	v_cmpx_gt_u32_e32 43, v0
	s_cbranch_execz .LBB60_1018
; %bb.1009:
	v_cmp_ne_u32_e32 vcc_lo, 1, v98
	s_cbranch_vccnz .LBB60_1011
; %bb.1010:
	scratch_load_b32 v99, v7, off
	ds_load_b32 v100, v1
	s_wait_loadcnt_dscnt 0x0
	v_mul_f32_e32 v99, v99, v100
	s_cbranch_execz .LBB60_1012
	s_branch .LBB60_1013
.LBB60_1011:
                                        ; implicit-def: $vgpr99
.LBB60_1012:
	ds_load_b32 v99, v1
.LBB60_1013:
	s_mov_b32 s1, exec_lo
	v_cmpx_ne_u32_e32 42, v0
	s_cbranch_execz .LBB60_1017
; %bb.1014:
	v_add_nc_u32_e32 v100, 0x104, v6
	v_add3_u32 v101, 0, v6, 4
	v_mov_b32_e32 v102, v0
	s_mov_b32 s2, 0
.LBB60_1015:                            ; =>This Inner Loop Header: Depth=1
	scratch_load_b32 v103, v101, off
	ds_load_b32 v104, v100
	v_dual_add_nc_u32 v102, 1, v102 :: v_dual_add_nc_u32 v100, 4, v100
	s_wait_xcnt 0x0
	v_add_nc_u32_e32 v101, 4, v101
	s_delay_alu instid0(VALU_DEP_2)
	v_cmp_lt_u32_e32 vcc_lo, 41, v102
	s_or_b32 s2, vcc_lo, s2
	s_wait_loadcnt_dscnt 0x0
	v_fmac_f32_e32 v99, v103, v104
	s_and_not1_b32 exec_lo, exec_lo, s2
	s_cbranch_execnz .LBB60_1015
; %bb.1016:
	s_or_b32 exec_lo, exec_lo, s2
.LBB60_1017:
	s_delay_alu instid0(SALU_CYCLE_1)
	s_or_b32 exec_lo, exec_lo, s1
	v_mov_b32_e32 v100, 0
	ds_load_b32 v100, v100 offset:172
	s_wait_dscnt 0x0
	v_mul_f32_e32 v99, v99, v100
	scratch_store_b32 off, v99, off offset:172
.LBB60_1018:
	;; [unrolled: 59-line block ×17, first 2 shown]
	s_wait_xcnt 0x0
	s_or_b32 exec_lo, exec_lo, s0
	scratch_load_b32 v99, off, off offset:236
	v_cmp_gt_u32_e64 s0, 59, v0
	s_wait_loadcnt 0x0
	ds_store_b32 v1, v99
	s_wait_storecnt_dscnt 0x0
	s_barrier_signal -1
	s_barrier_wait -1
	s_wait_xcnt 0x0
	s_and_saveexec_b32 s1, s0
	s_cbranch_execz .LBB60_1178
; %bb.1169:
	v_cmp_ne_u32_e32 vcc_lo, 1, v98
	s_cbranch_vccnz .LBB60_1171
; %bb.1170:
	scratch_load_b32 v99, v7, off
	ds_load_b32 v100, v1
	s_wait_loadcnt_dscnt 0x0
	v_mul_f32_e32 v99, v99, v100
	s_cbranch_execz .LBB60_1172
	s_branch .LBB60_1173
.LBB60_1171:
                                        ; implicit-def: $vgpr99
.LBB60_1172:
	ds_load_b32 v99, v1
.LBB60_1173:
	s_mov_b32 s2, exec_lo
	v_cmpx_ne_u32_e32 58, v0
	s_cbranch_execz .LBB60_1177
; %bb.1174:
	v_add_nc_u32_e32 v100, 0x104, v6
	v_add3_u32 v101, 0, v6, 4
	v_mov_b32_e32 v102, v0
	s_mov_b32 s3, 0
.LBB60_1175:                            ; =>This Inner Loop Header: Depth=1
	scratch_load_b32 v103, v101, off
	ds_load_b32 v104, v100
	v_dual_add_nc_u32 v102, 1, v102 :: v_dual_add_nc_u32 v100, 4, v100
	s_wait_xcnt 0x0
	v_add_nc_u32_e32 v101, 4, v101
	s_delay_alu instid0(VALU_DEP_2)
	v_cmp_lt_u32_e32 vcc_lo, 57, v102
	s_or_b32 s3, vcc_lo, s3
	s_wait_loadcnt_dscnt 0x0
	v_fmac_f32_e32 v99, v103, v104
	s_and_not1_b32 exec_lo, exec_lo, s3
	s_cbranch_execnz .LBB60_1175
; %bb.1176:
	s_or_b32 exec_lo, exec_lo, s3
.LBB60_1177:
	s_delay_alu instid0(SALU_CYCLE_1)
	s_or_b32 exec_lo, exec_lo, s2
	v_mov_b32_e32 v100, 0
	ds_load_b32 v100, v100 offset:236
	s_wait_dscnt 0x0
	v_mul_f32_e32 v99, v99, v100
	scratch_store_b32 off, v99, off offset:236
.LBB60_1178:
	s_wait_xcnt 0x0
	s_or_b32 exec_lo, exec_lo, s1
	scratch_load_b32 v99, off, off offset:240
	s_mov_b32 s1, exec_lo
	s_wait_loadcnt 0x0
	ds_store_b32 v1, v99
	s_wait_storecnt_dscnt 0x0
	s_barrier_signal -1
	s_barrier_wait -1
	s_wait_xcnt 0x0
	v_cmpx_ne_u32_e32 60, v0
	s_cbranch_execz .LBB60_1188
; %bb.1179:
	v_cmp_ne_u32_e32 vcc_lo, 1, v98
	s_cbranch_vccnz .LBB60_1181
; %bb.1180:
	scratch_load_b32 v7, v7, off
	ds_load_b32 v98, v1
	s_wait_loadcnt_dscnt 0x0
	v_mul_f32_e32 v7, v7, v98
	s_cbranch_execz .LBB60_1182
	s_branch .LBB60_1183
.LBB60_1181:
                                        ; implicit-def: $vgpr7
.LBB60_1182:
	ds_load_b32 v7, v1
.LBB60_1183:
	s_and_saveexec_b32 s2, s0
	s_cbranch_execz .LBB60_1187
; %bb.1184:
	v_add_nc_u32_e32 v1, 0x104, v6
	v_add3_u32 v6, 0, v6, 4
	s_mov_b32 s0, 0
.LBB60_1185:                            ; =>This Inner Loop Header: Depth=1
	scratch_load_b32 v98, v6, off
	ds_load_b32 v99, v1
	v_dual_add_nc_u32 v0, 1, v0 :: v_dual_add_nc_u32 v1, 4, v1
	s_wait_xcnt 0x0
	v_add_nc_u32_e32 v6, 4, v6
	s_delay_alu instid0(VALU_DEP_2)
	v_cmp_lt_u32_e32 vcc_lo, 58, v0
	s_or_b32 s0, vcc_lo, s0
	s_wait_loadcnt_dscnt 0x0
	v_fmac_f32_e32 v7, v98, v99
	s_and_not1_b32 exec_lo, exec_lo, s0
	s_cbranch_execnz .LBB60_1185
; %bb.1186:
	s_or_b32 exec_lo, exec_lo, s0
.LBB60_1187:
	s_delay_alu instid0(SALU_CYCLE_1)
	s_or_b32 exec_lo, exec_lo, s2
	v_mov_b32_e32 v0, 0
	ds_load_b32 v0, v0 offset:240
	s_wait_dscnt 0x0
	v_mul_f32_e32 v0, v7, v0
	scratch_store_b32 off, v0, off offset:240
.LBB60_1188:
	s_wait_xcnt 0x0
	s_or_b32 exec_lo, exec_lo, s1
.LBB60_1189:
	s_clause 0x3
	scratch_load_b128 v[98:101], off, off
	scratch_load_b128 v[102:105], off, off offset:16
	scratch_load_b128 v[106:109], off, off offset:32
	;; [unrolled: 1-line block ×3, first 2 shown]
	s_wait_loadcnt 0x3
	global_store_b32 v[2:3], v98, off
	scratch_load_b128 v[0:3], off, off offset:64
	s_clause 0x1
	global_store_b32 v[4:5], v99, off
	global_store_b32 v[152:153], v100, off
	scratch_load_b128 v[4:7], off, off offset:80
	global_store_b32 v[150:151], v101, off
	s_clause 0x1
	scratch_load_b128 v[98:101], off, off offset:96
	scratch_load_b128 v[114:117], off, off offset:112
	s_wait_loadcnt 0x6
	s_clause 0x2
	global_store_b32 v[148:149], v102, off
	global_store_b32 v[144:145], v103, off
	;; [unrolled: 1-line block ×3, first 2 shown]
	scratch_load_b128 v[118:121], off, off offset:128
	global_store_b32 v[142:143], v105, off
	s_clause 0x1
	scratch_load_b128 v[102:105], off, off offset:144
	scratch_load_b128 v[122:125], off, off offset:160
	s_wait_loadcnt 0x8
	s_clause 0x2
	global_store_b32 v[140:141], v106, off
	global_store_b32 v[136:137], v107, off
	;; [unrolled: 1-line block ×3, first 2 shown]
	scratch_load_b128 v[136:139], off, off offset:176
	global_store_b32 v[134:135], v109, off
	scratch_load_b128 v[106:109], off, off offset:192
	s_wait_loadcnt 0x9
	global_store_b32 v[132:133], v110, off
	scratch_load_b128 v[132:135], off, off offset:208
	s_clause 0x1
	global_store_b32 v[128:129], v111, off
	global_store_b32 v[130:131], v112, off
	s_clause 0x1
	scratch_load_b128 v[128:131], off, off offset:224
	scratch_load_b32 v110, off, off offset:240
	global_store_b32 v[126:127], v113, off
	s_wait_loadcnt 0xb
	s_clause 0x3
	global_store_b32 v[8:9], v0, off
	global_store_b32 v[10:11], v1, off
	global_store_b32 v[12:13], v2, off
	global_store_b32 v[14:15], v3, off
	s_wait_loadcnt 0xa
	s_clause 0x3
	global_store_b32 v[16:17], v4, off
	global_store_b32 v[18:19], v5, off
	global_store_b32 v[20:21], v6, off
	;; [unrolled: 6-line block ×11, first 2 shown]
	global_store_b32 v[94:95], v131, off
	s_wait_loadcnt 0x0
	global_store_b32 v[96:97], v110, off
.LBB60_1190:
	s_sendmsg sendmsg(MSG_DEALLOC_VGPRS)
	s_endpgm
	.section	.rodata,"a",@progbits
	.p2align	6, 0x0
	.amdhsa_kernel _ZN9rocsolver6v33100L18trti2_kernel_smallILi61EfPfEEv13rocblas_fill_17rocblas_diagonal_T1_iil
		.amdhsa_group_segment_fixed_size 500
		.amdhsa_private_segment_fixed_size 256
		.amdhsa_kernarg_size 32
		.amdhsa_user_sgpr_count 2
		.amdhsa_user_sgpr_dispatch_ptr 0
		.amdhsa_user_sgpr_queue_ptr 0
		.amdhsa_user_sgpr_kernarg_segment_ptr 1
		.amdhsa_user_sgpr_dispatch_id 0
		.amdhsa_user_sgpr_kernarg_preload_length 0
		.amdhsa_user_sgpr_kernarg_preload_offset 0
		.amdhsa_user_sgpr_private_segment_size 0
		.amdhsa_wavefront_size32 1
		.amdhsa_uses_dynamic_stack 0
		.amdhsa_enable_private_segment 1
		.amdhsa_system_sgpr_workgroup_id_x 1
		.amdhsa_system_sgpr_workgroup_id_y 0
		.amdhsa_system_sgpr_workgroup_id_z 0
		.amdhsa_system_sgpr_workgroup_info 0
		.amdhsa_system_vgpr_workitem_id 0
		.amdhsa_next_free_vgpr 154
		.amdhsa_next_free_sgpr 23
		.amdhsa_named_barrier_count 0
		.amdhsa_reserve_vcc 1
		.amdhsa_float_round_mode_32 0
		.amdhsa_float_round_mode_16_64 0
		.amdhsa_float_denorm_mode_32 3
		.amdhsa_float_denorm_mode_16_64 3
		.amdhsa_fp16_overflow 0
		.amdhsa_memory_ordered 1
		.amdhsa_forward_progress 1
		.amdhsa_inst_pref_size 255
		.amdhsa_round_robin_scheduling 0
		.amdhsa_exception_fp_ieee_invalid_op 0
		.amdhsa_exception_fp_denorm_src 0
		.amdhsa_exception_fp_ieee_div_zero 0
		.amdhsa_exception_fp_ieee_overflow 0
		.amdhsa_exception_fp_ieee_underflow 0
		.amdhsa_exception_fp_ieee_inexact 0
		.amdhsa_exception_int_div_zero 0
	.end_amdhsa_kernel
	.section	.text._ZN9rocsolver6v33100L18trti2_kernel_smallILi61EfPfEEv13rocblas_fill_17rocblas_diagonal_T1_iil,"axG",@progbits,_ZN9rocsolver6v33100L18trti2_kernel_smallILi61EfPfEEv13rocblas_fill_17rocblas_diagonal_T1_iil,comdat
.Lfunc_end60:
	.size	_ZN9rocsolver6v33100L18trti2_kernel_smallILi61EfPfEEv13rocblas_fill_17rocblas_diagonal_T1_iil, .Lfunc_end60-_ZN9rocsolver6v33100L18trti2_kernel_smallILi61EfPfEEv13rocblas_fill_17rocblas_diagonal_T1_iil
                                        ; -- End function
	.set _ZN9rocsolver6v33100L18trti2_kernel_smallILi61EfPfEEv13rocblas_fill_17rocblas_diagonal_T1_iil.num_vgpr, 154
	.set _ZN9rocsolver6v33100L18trti2_kernel_smallILi61EfPfEEv13rocblas_fill_17rocblas_diagonal_T1_iil.num_agpr, 0
	.set _ZN9rocsolver6v33100L18trti2_kernel_smallILi61EfPfEEv13rocblas_fill_17rocblas_diagonal_T1_iil.numbered_sgpr, 23
	.set _ZN9rocsolver6v33100L18trti2_kernel_smallILi61EfPfEEv13rocblas_fill_17rocblas_diagonal_T1_iil.num_named_barrier, 0
	.set _ZN9rocsolver6v33100L18trti2_kernel_smallILi61EfPfEEv13rocblas_fill_17rocblas_diagonal_T1_iil.private_seg_size, 256
	.set _ZN9rocsolver6v33100L18trti2_kernel_smallILi61EfPfEEv13rocblas_fill_17rocblas_diagonal_T1_iil.uses_vcc, 1
	.set _ZN9rocsolver6v33100L18trti2_kernel_smallILi61EfPfEEv13rocblas_fill_17rocblas_diagonal_T1_iil.uses_flat_scratch, 1
	.set _ZN9rocsolver6v33100L18trti2_kernel_smallILi61EfPfEEv13rocblas_fill_17rocblas_diagonal_T1_iil.has_dyn_sized_stack, 0
	.set _ZN9rocsolver6v33100L18trti2_kernel_smallILi61EfPfEEv13rocblas_fill_17rocblas_diagonal_T1_iil.has_recursion, 0
	.set _ZN9rocsolver6v33100L18trti2_kernel_smallILi61EfPfEEv13rocblas_fill_17rocblas_diagonal_T1_iil.has_indirect_call, 0
	.section	.AMDGPU.csdata,"",@progbits
; Kernel info:
; codeLenInByte = 34004
; TotalNumSgprs: 25
; NumVgprs: 154
; ScratchSize: 256
; MemoryBound: 0
; FloatMode: 240
; IeeeMode: 1
; LDSByteSize: 500 bytes/workgroup (compile time only)
; SGPRBlocks: 0
; VGPRBlocks: 9
; NumSGPRsForWavesPerEU: 25
; NumVGPRsForWavesPerEU: 154
; NamedBarCnt: 0
; Occupancy: 6
; WaveLimiterHint : 0
; COMPUTE_PGM_RSRC2:SCRATCH_EN: 1
; COMPUTE_PGM_RSRC2:USER_SGPR: 2
; COMPUTE_PGM_RSRC2:TRAP_HANDLER: 0
; COMPUTE_PGM_RSRC2:TGID_X_EN: 1
; COMPUTE_PGM_RSRC2:TGID_Y_EN: 0
; COMPUTE_PGM_RSRC2:TGID_Z_EN: 0
; COMPUTE_PGM_RSRC2:TIDIG_COMP_CNT: 0
	.section	.text._ZN9rocsolver6v33100L18trti2_kernel_smallILi62EfPfEEv13rocblas_fill_17rocblas_diagonal_T1_iil,"axG",@progbits,_ZN9rocsolver6v33100L18trti2_kernel_smallILi62EfPfEEv13rocblas_fill_17rocblas_diagonal_T1_iil,comdat
	.globl	_ZN9rocsolver6v33100L18trti2_kernel_smallILi62EfPfEEv13rocblas_fill_17rocblas_diagonal_T1_iil ; -- Begin function _ZN9rocsolver6v33100L18trti2_kernel_smallILi62EfPfEEv13rocblas_fill_17rocblas_diagonal_T1_iil
	.p2align	8
	.type	_ZN9rocsolver6v33100L18trti2_kernel_smallILi62EfPfEEv13rocblas_fill_17rocblas_diagonal_T1_iil,@function
_ZN9rocsolver6v33100L18trti2_kernel_smallILi62EfPfEEv13rocblas_fill_17rocblas_diagonal_T1_iil: ; @_ZN9rocsolver6v33100L18trti2_kernel_smallILi62EfPfEEv13rocblas_fill_17rocblas_diagonal_T1_iil
; %bb.0:
	s_mov_b32 s2, exec_lo
	v_cmpx_gt_u32_e32 62, v0
	s_cbranch_execz .LBB61_1210
; %bb.1:
	s_load_b256 s[4:11], s[0:1], 0x0
	s_wait_xcnt 0x0
	s_bfe_u32 s0, ttmp6, 0x4000c
	s_and_b32 s1, ttmp6, 15
	s_add_co_i32 s0, s0, 1
	s_getreg_b32 s2, hwreg(HW_REG_IB_STS2, 6, 4)
	s_mul_i32 s0, ttmp9, s0
	v_mov_b32_e32 v7, 0
	s_add_co_i32 s0, s1, s0
	v_lshlrev_b32_e32 v6, 2, v0
	s_wait_kmcnt 0x0
	v_add3_u32 v8, s9, s9, v0
	s_ashr_i32 s1, s8, 31
	s_cmp_eq_u32 s2, 0
	s_cselect_b32 s2, ttmp9, s0
	s_delay_alu instid0(VALU_DEP_1)
	v_add_nc_u32_e32 v10, s9, v8
	s_ashr_i32 s3, s2, 31
	s_mov_b32 s0, s8
	s_mul_u64 s[2:3], s[10:11], s[2:3]
	s_lshl_b64 s[0:1], s[0:1], 2
	v_add_nc_u32_e32 v12, s9, v10
	s_lshl_b64 s[2:3], s[2:3], 2
	v_ashrrev_i32_e32 v9, 31, v8
	s_add_nc_u64 s[2:3], s[6:7], s[2:3]
	s_delay_alu instid0(VALU_DEP_2)
	v_add_nc_u32_e32 v14, s9, v12
	s_add_nc_u64 s[6:7], s[2:3], s[0:1]
	s_mov_b32 s0, s9
	v_add_nc_u64_e32 v[2:3], s[6:7], v[6:7]
	s_ashr_i32 s1, s9, 31
	v_add_nc_u32_e32 v16, s9, v14
	v_ashrrev_i32_e32 v11, 31, v10
	s_cmp_lg_u32 s5, 0x84
	s_cselect_b32 s3, -1, 0
	s_delay_alu instid0(VALU_DEP_2) | instskip(SKIP_3) | instid1(VALU_DEP_3)
	v_add_nc_u32_e32 v18, s9, v16
	v_lshl_add_u64 v[4:5], s[0:1], 2, v[2:3]
	v_ashrrev_i32_e32 v13, 31, v12
	s_cmp_eq_u32 s5, 0x84
	v_add_nc_u32_e32 v20, s9, v18
	s_clause 0x7
	global_load_b32 v104, v0, s[6:7] scale_offset
	global_load_b32 v105, v[4:5], off
	global_load_b32 v106, v8, s[6:7] scale_offset
	global_load_b32 v107, v10, s[6:7] scale_offset
	;; [unrolled: 1-line block ×6, first 2 shown]
	v_ashrrev_i32_e32 v19, 31, v18
	v_dual_ashrrev_i32 v15, 31, v14 :: v_dual_add_nc_u32 v22, s9, v20
	s_delay_alu instid0(VALU_DEP_1) | instskip(SKIP_1) | instid1(VALU_DEP_1)
	v_dual_ashrrev_i32 v17, 31, v16 :: v_dual_ashrrev_i32 v23, 31, v22
	v_add_nc_u32_e32 v24, s9, v22
	v_add_nc_u32_e32 v26, s9, v24
	s_delay_alu instid0(VALU_DEP_1) | instskip(NEXT) | instid1(VALU_DEP_1)
	v_add_nc_u32_e32 v28, s9, v26
	v_add_nc_u32_e32 v30, s9, v28
	s_delay_alu instid0(VALU_DEP_1) | instskip(NEXT) | instid1(VALU_DEP_1)
	v_dual_add_nc_u32 v32, s9, v30 :: v_dual_ashrrev_i32 v21, 31, v20
	v_dual_ashrrev_i32 v27, 31, v26 :: v_dual_add_nc_u32 v34, s9, v32
	s_delay_alu instid0(VALU_DEP_1)
	v_dual_ashrrev_i32 v29, 31, v28 :: v_dual_ashrrev_i32 v35, 31, v34
	v_add_nc_u32_e32 v36, s9, v34
	s_clause 0x7
	global_load_b32 v112, v20, s[6:7] scale_offset
	global_load_b32 v113, v22, s[6:7] scale_offset
	;; [unrolled: 1-line block ×8, first 2 shown]
	v_dual_ashrrev_i32 v25, 31, v24 :: v_dual_ashrrev_i32 v31, 31, v30
	v_add_nc_u32_e32 v38, s9, v36
	s_delay_alu instid0(VALU_DEP_1) | instskip(NEXT) | instid1(VALU_DEP_1)
	v_add_nc_u32_e32 v40, s9, v38
	v_add_nc_u32_e32 v42, s9, v40
	s_delay_alu instid0(VALU_DEP_1) | instskip(NEXT) | instid1(VALU_DEP_1)
	v_dual_add_nc_u32 v44, s9, v42 :: v_dual_ashrrev_i32 v33, 31, v32
	v_dual_ashrrev_i32 v39, 31, v38 :: v_dual_add_nc_u32 v46, s9, v44
	s_delay_alu instid0(VALU_DEP_1)
	v_dual_ashrrev_i32 v41, 31, v40 :: v_dual_ashrrev_i32 v47, 31, v46
	v_add_nc_u32_e32 v48, s9, v46
	s_clause 0x3
	global_load_b32 v120, v36, s[6:7] scale_offset
	global_load_b32 v121, v38, s[6:7] scale_offset
	;; [unrolled: 1-line block ×4, first 2 shown]
	v_dual_ashrrev_i32 v37, 31, v36 :: v_dual_ashrrev_i32 v43, 31, v42
	v_add_nc_u32_e32 v50, s9, v48
	s_delay_alu instid0(VALU_DEP_1) | instskip(NEXT) | instid1(VALU_DEP_1)
	v_add_nc_u32_e32 v52, s9, v50
	v_add_nc_u32_e32 v54, s9, v52
	s_delay_alu instid0(VALU_DEP_1)
	v_add_nc_u32_e32 v56, s9, v54
	s_clause 0x3
	global_load_b32 v124, v44, s[6:7] scale_offset
	global_load_b32 v125, v46, s[6:7] scale_offset
	;; [unrolled: 1-line block ×4, first 2 shown]
	v_dual_ashrrev_i32 v45, 31, v44 :: v_dual_ashrrev_i32 v51, 31, v50
	v_add_nc_u32_e32 v58, s9, v56
	s_delay_alu instid0(VALU_DEP_1)
	v_dual_ashrrev_i32 v53, 31, v52 :: v_dual_ashrrev_i32 v59, 31, v58
	v_add_nc_u32_e32 v60, s9, v58
	s_clause 0x3
	global_load_b32 v128, v52, s[6:7] scale_offset
	global_load_b32 v129, v54, s[6:7] scale_offset
	;; [unrolled: 1-line block ×4, first 2 shown]
	v_dual_ashrrev_i32 v49, 31, v48 :: v_dual_ashrrev_i32 v55, 31, v54
	v_add_nc_u32_e32 v62, s9, v60
	s_delay_alu instid0(VALU_DEP_1) | instskip(NEXT) | instid1(VALU_DEP_1)
	v_add_nc_u32_e32 v64, s9, v62
	v_add_nc_u32_e32 v66, s9, v64
	s_delay_alu instid0(VALU_DEP_1) | instskip(NEXT) | instid1(VALU_DEP_1)
	v_dual_add_nc_u32 v68, s9, v66 :: v_dual_ashrrev_i32 v57, 31, v56
	v_dual_ashrrev_i32 v63, 31, v62 :: v_dual_add_nc_u32 v70, s9, v68
	s_delay_alu instid0(VALU_DEP_1)
	v_dual_ashrrev_i32 v65, 31, v64 :: v_dual_ashrrev_i32 v71, 31, v70
	v_add_nc_u32_e32 v72, s9, v70
	s_clause 0x3
	global_load_b32 v132, v60, s[6:7] scale_offset
	global_load_b32 v133, v62, s[6:7] scale_offset
	;; [unrolled: 1-line block ×4, first 2 shown]
	v_dual_ashrrev_i32 v61, 31, v60 :: v_dual_ashrrev_i32 v67, 31, v66
	v_add_nc_u32_e32 v74, s9, v72
	s_delay_alu instid0(VALU_DEP_1) | instskip(NEXT) | instid1(VALU_DEP_1)
	v_add_nc_u32_e32 v76, s9, v74
	v_add_nc_u32_e32 v78, s9, v76
	s_delay_alu instid0(VALU_DEP_1)
	v_add_nc_u32_e32 v80, s9, v78
	s_clause 0x3
	global_load_b32 v136, v68, s[6:7] scale_offset
	global_load_b32 v137, v70, s[6:7] scale_offset
	;; [unrolled: 1-line block ×4, first 2 shown]
	v_dual_ashrrev_i32 v69, 31, v68 :: v_dual_ashrrev_i32 v75, 31, v74
	v_add_nc_u32_e32 v82, s9, v80
	s_delay_alu instid0(VALU_DEP_1) | instskip(SKIP_1) | instid1(VALU_DEP_1)
	v_dual_ashrrev_i32 v77, 31, v76 :: v_dual_ashrrev_i32 v83, 31, v82
	v_dual_add_nc_u32 v84, s9, v82 :: v_dual_ashrrev_i32 v73, 31, v72
	v_dual_ashrrev_i32 v79, 31, v78 :: v_dual_add_nc_u32 v86, s9, v84
	s_delay_alu instid0(VALU_DEP_1) | instskip(NEXT) | instid1(VALU_DEP_1)
	v_add_nc_u32_e32 v88, s9, v86
	v_add_nc_u32_e32 v90, s9, v88
	s_delay_alu instid0(VALU_DEP_1) | instskip(NEXT) | instid1(VALU_DEP_1)
	v_dual_add_nc_u32 v92, s9, v90 :: v_dual_ashrrev_i32 v81, 31, v80
	v_dual_ashrrev_i32 v87, 31, v86 :: v_dual_add_nc_u32 v94, s9, v92
	s_delay_alu instid0(VALU_DEP_1) | instskip(SKIP_1) | instid1(VALU_DEP_1)
	v_dual_ashrrev_i32 v89, 31, v88 :: v_dual_ashrrev_i32 v95, 31, v94
	v_dual_add_nc_u32 v96, s9, v94 :: v_dual_ashrrev_i32 v85, 31, v84
	v_dual_ashrrev_i32 v91, 31, v90 :: v_dual_add_nc_u32 v98, s9, v96
	s_delay_alu instid0(VALU_DEP_1) | instskip(NEXT) | instid1(VALU_DEP_1)
	v_add_nc_u32_e32 v100, s9, v98
	v_add_nc_u32_e32 v102, s9, v100
	s_wait_loadcnt 0x20
	scratch_store_b128 off, v[104:107], off
	s_wait_xcnt 0x0
	v_add_nc_u32_e32 v104, s9, v102
	s_clause 0x3
	global_load_b32 v140, v76, s[6:7] scale_offset
	global_load_b32 v141, v78, s[6:7] scale_offset
	;; [unrolled: 1-line block ×4, first 2 shown]
	v_dual_ashrrev_i32 v93, 31, v92 :: v_dual_ashrrev_i32 v99, 31, v98
	s_wait_loadcnt 0x20
	scratch_store_b128 off, v[108:111], off offset:16
	v_add_nc_u32_e32 v106, s9, v104
	s_wait_loadcnt 0x1c
	scratch_store_b128 off, v[112:115], off offset:32
	s_wait_loadcnt 0x18
	scratch_store_b128 off, v[116:119], off offset:48
	s_clause 0x7
	global_load_b32 v144, v84, s[6:7] scale_offset
	global_load_b32 v145, v86, s[6:7] scale_offset
	;; [unrolled: 1-line block ×8, first 2 shown]
	s_wait_xcnt 0xa
	v_dual_add_nc_u32 v108, s9, v106 :: v_dual_ashrrev_i32 v97, 31, v96
	v_dual_ashrrev_i32 v103, 31, v102 :: v_dual_ashrrev_i32 v101, 31, v100
	s_delay_alu instid0(VALU_DEP_2) | instskip(SKIP_1) | instid1(VALU_DEP_1)
	v_dual_ashrrev_i32 v107, 31, v106 :: v_dual_add_nc_u32 v110, s9, v108
	s_wait_xcnt 0x9
	v_add_nc_u32_e32 v112, s9, v110
	s_delay_alu instid0(VALU_DEP_1) | instskip(SKIP_1) | instid1(VALU_DEP_1)
	v_add_nc_u32_e32 v114, s9, v112
	s_wait_xcnt 0x8
	v_dual_add_nc_u32 v116, s9, v114 :: v_dual_ashrrev_i32 v105, 31, v104
	s_delay_alu instid0(VALU_DEP_1)
	v_dual_ashrrev_i32 v111, 31, v110 :: v_dual_add_nc_u32 v118, s9, v116
	v_ashrrev_i32_e32 v113, 31, v112
	s_wait_loadcnt 0x1c
	scratch_store_b128 off, v[120:123], off offset:64
	s_clause 0x3
	global_load_b32 v152, v100, s[6:7] scale_offset
	global_load_b32 v153, v102, s[6:7] scale_offset
	;; [unrolled: 1-line block ×4, first 2 shown]
	s_wait_xcnt 0x4
	v_dual_add_nc_u32 v120, s9, v118 :: v_dual_ashrrev_i32 v109, 31, v108
	v_ashrrev_i32_e32 v115, 31, v114
	s_delay_alu instid0(VALU_DEP_2) | instskip(NEXT) | instid1(VALU_DEP_1)
	v_dual_ashrrev_i32 v119, 31, v118 :: v_dual_add_nc_u32 v122, s9, v120
	v_dual_ashrrev_i32 v117, 31, v116 :: v_dual_ashrrev_i32 v123, 31, v122
	s_wait_loadcnt 0x1c
	scratch_store_b128 off, v[124:127], off offset:80
	s_wait_xcnt 0x0
	v_add_nc_u32_e32 v124, s9, v122
	s_delay_alu instid0(VALU_DEP_1)
	v_add_nc_u32_e32 v126, s9, v124
	v_ashrrev_i32_e32 v121, 31, v120
	v_ashrrev_i32_e32 v125, 31, v124
	s_wait_loadcnt 0x18
	scratch_store_b128 off, v[128:131], off offset:96
	v_ashrrev_i32_e32 v127, 31, v126
	s_wait_loadcnt 0x14
	scratch_store_b128 off, v[132:135], off offset:112
	s_wait_loadcnt 0x10
	scratch_store_b128 off, v[136:139], off offset:128
	s_clause 0x3
	global_load_b32 v128, v108, s[6:7] scale_offset
	global_load_b32 v129, v110, s[6:7] scale_offset
	;; [unrolled: 1-line block ×4, first 2 shown]
	s_wait_loadcnt 0x10
	scratch_store_b128 off, v[140:143], off offset:144
	s_wait_loadcnt 0xc
	scratch_store_b128 off, v[144:147], off offset:160
	;; [unrolled: 2-line block ×4, first 2 shown]
	s_clause 0x5
	global_load_b32 v132, v116, s[6:7] scale_offset
	global_load_b32 v133, v118, s[6:7] scale_offset
	;; [unrolled: 1-line block ×6, first 2 shown]
	s_wait_loadcnt 0x6
	scratch_store_b128 off, v[128:131], off offset:208
	s_wait_xcnt 0x0
	v_mov_b32_e32 v128, -1.0
	s_wait_loadcnt 0x2
	scratch_store_b128 off, v[132:135], off offset:224
	s_wait_loadcnt 0x0
	scratch_store_b64 off, v[136:137], off offset:240
	s_cbranch_scc1 .LBB61_3
; %bb.2:
	scratch_load_b32 v1, v0, off scale_offset
	s_wait_loadcnt 0x0
	v_div_scale_f32 v7, null, v1, v1, 1.0
	s_delay_alu instid0(VALU_DEP_1) | instskip(SKIP_1) | instid1(TRANS32_DEP_1)
	v_rcp_f32_e32 v128, v7
	v_nop
	v_fma_f32 v129, -v7, v128, 1.0
	s_delay_alu instid0(VALU_DEP_1) | instskip(SKIP_1) | instid1(VALU_DEP_1)
	v_fmac_f32_e32 v128, v129, v128
	v_div_scale_f32 v129, vcc_lo, 1.0, v1, 1.0
	v_mul_f32_e32 v130, v129, v128
	s_delay_alu instid0(VALU_DEP_1) | instskip(NEXT) | instid1(VALU_DEP_1)
	v_fma_f32 v131, -v7, v130, v129
	v_fmac_f32_e32 v130, v131, v128
	s_delay_alu instid0(VALU_DEP_1) | instskip(NEXT) | instid1(VALU_DEP_1)
	v_fma_f32 v7, -v7, v130, v129
	v_div_fmas_f32 v7, v7, v128, v130
	s_delay_alu instid0(VALU_DEP_1) | instskip(NEXT) | instid1(VALU_DEP_1)
	v_div_fixup_f32 v1, v7, v1, 1.0
	v_xor_b32_e32 v128, 0x80000000, v1
	scratch_store_b32 v0, v1, off scale_offset
.LBB61_3:
	s_wait_xcnt 0x0
	v_or_b32_e32 v1, 0x100, v6
	v_mov_b32_e32 v7, v6
	s_cmp_eq_u32 s4, 0x79
	s_mov_b32 s1, -1
	ds_store_b32 v6, v128
	s_cbranch_scc1 .LBB61_607
; %bb.4:
	scratch_load_b32 v128, off, off offset:240
	v_cmp_eq_u32_e64 s0, 61, v0
	s_movk_i32 s1, 0x50
	s_movk_i32 s10, 0x60
	;; [unrolled: 1-line block ×10, first 2 shown]
	s_wait_loadcnt 0x0
	ds_store_b32 v1, v128
	s_wait_storecnt_dscnt 0x0
	s_barrier_signal -1
	s_barrier_wait -1
	s_wait_xcnt 0x0
	s_and_saveexec_b32 s2, s0
	s_cbranch_execz .LBB61_10
; %bb.5:
	s_and_b32 vcc_lo, exec_lo, s3
	s_cbranch_vccz .LBB61_7
; %bb.6:
	scratch_load_b32 v128, v7, off
	ds_load_b32 v129, v1
	s_wait_loadcnt_dscnt 0x0
	v_mul_f32_e32 v128, v128, v129
	s_cbranch_execz .LBB61_8
	s_branch .LBB61_9
.LBB61_7:
                                        ; implicit-def: $vgpr128
.LBB61_8:
	ds_load_b32 v128, v1
.LBB61_9:
	v_mov_b32_e32 v129, 0
	ds_load_b32 v129, v129 offset:240
	s_wait_dscnt 0x0
	v_mul_f32_e32 v128, v128, v129
	scratch_store_b32 off, v128, off offset:240
.LBB61_10:
	s_wait_xcnt 0x0
	s_or_b32 exec_lo, exec_lo, s2
	scratch_load_b32 v128, off, off offset:236
	s_mov_b32 s9, s1
	v_cmp_lt_u32_e64 s1, 59, v0
	s_mov_b32 s4, 16
	s_mov_b32 s2, 32
	;; [unrolled: 1-line block ×4, first 2 shown]
	s_wait_loadcnt 0x0
	ds_store_b32 v1, v128
	s_wait_storecnt_dscnt 0x0
	s_barrier_signal -1
	s_barrier_wait -1
	s_wait_xcnt 0x0
	s_and_saveexec_b32 s19, s1
	s_cbranch_execz .LBB61_16
; %bb.11:
	s_and_not1_b32 vcc_lo, exec_lo, s3
	s_cbranch_vccnz .LBB61_13
; %bb.12:
	scratch_load_b32 v128, v7, off
	ds_load_b32 v129, v1
	s_wait_loadcnt_dscnt 0x0
	v_mul_f32_e32 v128, v128, v129
	s_cbranch_execz .LBB61_14
	s_branch .LBB61_15
.LBB61_13:
                                        ; implicit-def: $vgpr128
.LBB61_14:
	ds_load_b32 v128, v1
.LBB61_15:
	scratch_load_b32 v129, off, off offset:240
	v_mov_b32_e32 v130, 0
	ds_load_2addr_b32 v[130:131], v130 offset0:59 offset1:124
	s_wait_loadcnt_dscnt 0x0
	v_fma_f32 v129, v129, v131, v128
	s_delay_alu instid0(VALU_DEP_1) | instskip(NEXT) | instid1(VALU_DEP_1)
	v_cndmask_b32_e64 v128, v128, v129, s0
	v_mul_f32_e32 v128, v128, v130
	scratch_store_b32 off, v128, off offset:236
.LBB61_16:
	s_wait_xcnt 0x0
	s_or_b32 exec_lo, exec_lo, s19
	scratch_load_b32 v128, off, off offset:232
	v_cmp_lt_u32_e64 s0, 58, v0
	s_wait_loadcnt 0x0
	ds_store_b32 v1, v128
	s_wait_storecnt_dscnt 0x0
	s_barrier_signal -1
	s_barrier_wait -1
	s_wait_xcnt 0x0
	s_and_saveexec_b32 s19, s0
	s_cbranch_execz .LBB61_26
; %bb.17:
	s_and_not1_b32 vcc_lo, exec_lo, s3
	s_cbranch_vccnz .LBB61_19
; %bb.18:
	scratch_load_b32 v128, v7, off
	ds_load_b32 v129, v1
	s_wait_loadcnt_dscnt 0x0
	v_mul_f32_e32 v128, v128, v129
	s_cbranch_execz .LBB61_20
	s_branch .LBB61_21
.LBB61_19:
                                        ; implicit-def: $vgpr128
.LBB61_20:
	ds_load_b32 v128, v1
.LBB61_21:
	s_and_saveexec_b32 s20, s1
	s_cbranch_execz .LBB61_25
; %bb.22:
	v_subrev_nc_u32_e32 v129, 59, v0
	s_movk_i32 s1, 0xec
	s_movk_i32 s22, 0x1ec
	s_mov_b32 s21, 0
.LBB61_23:                              ; =>This Inner Loop Header: Depth=1
	scratch_load_b32 v130, off, s1
	v_dual_mov_b32 v131, s22 :: v_dual_add_nc_u32 v129, -1, v129
	s_add_co_i32 s22, s22, 4
	s_wait_xcnt 0x0
	s_add_co_i32 s1, s1, 4
	ds_load_b32 v131, v131
	v_cmp_eq_u32_e32 vcc_lo, 0, v129
	s_or_b32 s21, vcc_lo, s21
	s_wait_loadcnt_dscnt 0x0
	v_fmac_f32_e32 v128, v130, v131
	s_and_not1_b32 exec_lo, exec_lo, s21
	s_cbranch_execnz .LBB61_23
; %bb.24:
	s_or_b32 exec_lo, exec_lo, s21
.LBB61_25:
	s_delay_alu instid0(SALU_CYCLE_1)
	s_or_b32 exec_lo, exec_lo, s20
	v_mov_b32_e32 v129, 0
	ds_load_b32 v129, v129 offset:232
	s_wait_dscnt 0x0
	v_mul_f32_e32 v128, v128, v129
	scratch_store_b32 off, v128, off offset:232
.LBB61_26:
	s_wait_xcnt 0x0
	s_or_b32 exec_lo, exec_lo, s19
	scratch_load_b32 v128, off, off offset:228
	v_cmp_lt_u32_e64 s1, 57, v0
	s_wait_loadcnt 0x0
	ds_store_b32 v1, v128
	s_wait_storecnt_dscnt 0x0
	s_barrier_signal -1
	s_barrier_wait -1
	s_wait_xcnt 0x0
	s_and_saveexec_b32 s19, s1
	s_cbranch_execz .LBB61_36
; %bb.27:
	s_and_not1_b32 vcc_lo, exec_lo, s3
	s_cbranch_vccnz .LBB61_29
; %bb.28:
	scratch_load_b32 v128, v7, off
	ds_load_b32 v129, v1
	s_wait_loadcnt_dscnt 0x0
	v_mul_f32_e32 v128, v128, v129
	s_cbranch_execz .LBB61_30
	s_branch .LBB61_31
.LBB61_29:
                                        ; implicit-def: $vgpr128
.LBB61_30:
	ds_load_b32 v128, v1
.LBB61_31:
	s_and_saveexec_b32 s20, s0
	s_cbranch_execz .LBB61_35
; %bb.32:
	v_subrev_nc_u32_e32 v129, 58, v0
	s_movk_i32 s0, 0xe8
	s_movk_i32 s22, 0x1e8
	s_mov_b32 s21, 0
.LBB61_33:                              ; =>This Inner Loop Header: Depth=1
	scratch_load_b32 v130, off, s0
	v_dual_mov_b32 v131, s22 :: v_dual_add_nc_u32 v129, -1, v129
	s_add_co_i32 s22, s22, 4
	s_wait_xcnt 0x0
	s_add_co_i32 s0, s0, 4
	ds_load_b32 v131, v131
	v_cmp_eq_u32_e32 vcc_lo, 0, v129
	s_or_b32 s21, vcc_lo, s21
	s_wait_loadcnt_dscnt 0x0
	v_fmac_f32_e32 v128, v130, v131
	s_and_not1_b32 exec_lo, exec_lo, s21
	s_cbranch_execnz .LBB61_33
; %bb.34:
	s_or_b32 exec_lo, exec_lo, s21
.LBB61_35:
	s_delay_alu instid0(SALU_CYCLE_1)
	s_or_b32 exec_lo, exec_lo, s20
	v_mov_b32_e32 v129, 0
	ds_load_b32 v129, v129 offset:228
	s_wait_dscnt 0x0
	v_mul_f32_e32 v128, v128, v129
	scratch_store_b32 off, v128, off offset:228
.LBB61_36:
	;; [unrolled: 58-line block ×3, first 2 shown]
	s_wait_xcnt 0x0
	s_or_b32 exec_lo, exec_lo, s19
	scratch_load_b32 v128, off, off offset:220
	v_cmp_lt_u32_e64 s1, 55, v0
	s_wait_loadcnt 0x0
	ds_store_b32 v1, v128
	s_wait_storecnt_dscnt 0x0
	s_barrier_signal -1
	s_barrier_wait -1
	s_wait_xcnt 0x0
	s_and_saveexec_b32 s19, s1
	s_cbranch_execz .LBB61_56
; %bb.47:
	s_and_not1_b32 vcc_lo, exec_lo, s3
	s_cbranch_vccnz .LBB61_49
; %bb.48:
	scratch_load_b32 v128, v7, off
	ds_load_b32 v129, v1
	s_wait_loadcnt_dscnt 0x0
	v_mul_f32_e32 v128, v128, v129
	s_cbranch_execz .LBB61_50
	s_branch .LBB61_51
.LBB61_49:
                                        ; implicit-def: $vgpr128
.LBB61_50:
	ds_load_b32 v128, v1
.LBB61_51:
	s_and_saveexec_b32 s20, s0
	s_cbranch_execz .LBB61_55
; %bb.52:
	v_subrev_nc_u32_e32 v129, 56, v0
	s_movk_i32 s21, 0x1e0
	s_mov_b32 s0, 0
.LBB61_53:                              ; =>This Inner Loop Header: Depth=1
	scratch_load_b32 v130, off, s18
	v_dual_mov_b32 v131, s21 :: v_dual_add_nc_u32 v129, -1, v129
	s_add_co_i32 s21, s21, 4
	s_wait_xcnt 0x0
	s_add_co_i32 s18, s18, 4
	ds_load_b32 v131, v131
	v_cmp_eq_u32_e32 vcc_lo, 0, v129
	s_or_b32 s0, vcc_lo, s0
	s_wait_loadcnt_dscnt 0x0
	v_fmac_f32_e32 v128, v130, v131
	s_and_not1_b32 exec_lo, exec_lo, s0
	s_cbranch_execnz .LBB61_53
; %bb.54:
	s_or_b32 exec_lo, exec_lo, s0
.LBB61_55:
	s_delay_alu instid0(SALU_CYCLE_1)
	s_or_b32 exec_lo, exec_lo, s20
	v_mov_b32_e32 v129, 0
	ds_load_b32 v129, v129 offset:220
	s_wait_dscnt 0x0
	v_mul_f32_e32 v128, v128, v129
	scratch_store_b32 off, v128, off offset:220
.LBB61_56:
	s_wait_xcnt 0x0
	s_or_b32 exec_lo, exec_lo, s19
	scratch_load_b32 v128, off, off offset:216
	v_cmp_lt_u32_e64 s0, 54, v0
	s_wait_loadcnt 0x0
	ds_store_b32 v1, v128
	s_wait_storecnt_dscnt 0x0
	s_barrier_signal -1
	s_barrier_wait -1
	s_wait_xcnt 0x0
	s_and_saveexec_b32 s18, s0
	s_cbranch_execz .LBB61_66
; %bb.57:
	s_and_not1_b32 vcc_lo, exec_lo, s3
	s_cbranch_vccnz .LBB61_59
; %bb.58:
	scratch_load_b32 v128, v7, off
	ds_load_b32 v129, v1
	s_wait_loadcnt_dscnt 0x0
	v_mul_f32_e32 v128, v128, v129
	s_cbranch_execz .LBB61_60
	s_branch .LBB61_61
.LBB61_59:
                                        ; implicit-def: $vgpr128
.LBB61_60:
	ds_load_b32 v128, v1
.LBB61_61:
	s_and_saveexec_b32 s19, s1
	s_cbranch_execz .LBB61_65
; %bb.62:
	v_subrev_nc_u32_e32 v129, 55, v0
	s_movk_i32 s1, 0xdc
	s_movk_i32 s21, 0x1dc
	s_mov_b32 s20, 0
.LBB61_63:                              ; =>This Inner Loop Header: Depth=1
	scratch_load_b32 v130, off, s1
	v_dual_mov_b32 v131, s21 :: v_dual_add_nc_u32 v129, -1, v129
	s_add_co_i32 s21, s21, 4
	s_wait_xcnt 0x0
	s_add_co_i32 s1, s1, 4
	ds_load_b32 v131, v131
	v_cmp_eq_u32_e32 vcc_lo, 0, v129
	s_or_b32 s20, vcc_lo, s20
	s_wait_loadcnt_dscnt 0x0
	v_fmac_f32_e32 v128, v130, v131
	s_and_not1_b32 exec_lo, exec_lo, s20
	s_cbranch_execnz .LBB61_63
; %bb.64:
	s_or_b32 exec_lo, exec_lo, s20
.LBB61_65:
	s_delay_alu instid0(SALU_CYCLE_1)
	s_or_b32 exec_lo, exec_lo, s19
	v_mov_b32_e32 v129, 0
	ds_load_b32 v129, v129 offset:216
	s_wait_dscnt 0x0
	v_mul_f32_e32 v128, v128, v129
	scratch_store_b32 off, v128, off offset:216
.LBB61_66:
	s_wait_xcnt 0x0
	s_or_b32 exec_lo, exec_lo, s18
	scratch_load_b32 v128, off, off offset:212
	v_cmp_lt_u32_e64 s1, 53, v0
	s_wait_loadcnt 0x0
	ds_store_b32 v1, v128
	s_wait_storecnt_dscnt 0x0
	s_barrier_signal -1
	s_barrier_wait -1
	s_wait_xcnt 0x0
	s_and_saveexec_b32 s18, s1
	s_cbranch_execz .LBB61_76
; %bb.67:
	s_and_not1_b32 vcc_lo, exec_lo, s3
	s_cbranch_vccnz .LBB61_69
; %bb.68:
	scratch_load_b32 v128, v7, off
	ds_load_b32 v129, v1
	s_wait_loadcnt_dscnt 0x0
	v_mul_f32_e32 v128, v128, v129
	s_cbranch_execz .LBB61_70
	s_branch .LBB61_71
.LBB61_69:
                                        ; implicit-def: $vgpr128
.LBB61_70:
	ds_load_b32 v128, v1
.LBB61_71:
	s_and_saveexec_b32 s19, s0
	s_cbranch_execz .LBB61_75
; %bb.72:
	v_subrev_nc_u32_e32 v129, 54, v0
	s_movk_i32 s0, 0xd8
	s_movk_i32 s21, 0x1d8
	s_mov_b32 s20, 0
.LBB61_73:                              ; =>This Inner Loop Header: Depth=1
	scratch_load_b32 v130, off, s0
	v_dual_mov_b32 v131, s21 :: v_dual_add_nc_u32 v129, -1, v129
	s_add_co_i32 s21, s21, 4
	s_wait_xcnt 0x0
	s_add_co_i32 s0, s0, 4
	ds_load_b32 v131, v131
	v_cmp_eq_u32_e32 vcc_lo, 0, v129
	s_or_b32 s20, vcc_lo, s20
	s_wait_loadcnt_dscnt 0x0
	v_fmac_f32_e32 v128, v130, v131
	s_and_not1_b32 exec_lo, exec_lo, s20
	s_cbranch_execnz .LBB61_73
; %bb.74:
	s_or_b32 exec_lo, exec_lo, s20
.LBB61_75:
	s_delay_alu instid0(SALU_CYCLE_1)
	s_or_b32 exec_lo, exec_lo, s19
	v_mov_b32_e32 v129, 0
	ds_load_b32 v129, v129 offset:212
	s_wait_dscnt 0x0
	v_mul_f32_e32 v128, v128, v129
	scratch_store_b32 off, v128, off offset:212
.LBB61_76:
	;; [unrolled: 58-line block ×3, first 2 shown]
	s_wait_xcnt 0x0
	s_or_b32 exec_lo, exec_lo, s18
	scratch_load_b32 v128, off, off offset:204
	v_cmp_lt_u32_e64 s1, 51, v0
	s_wait_loadcnt 0x0
	ds_store_b32 v1, v128
	s_wait_storecnt_dscnt 0x0
	s_barrier_signal -1
	s_barrier_wait -1
	s_wait_xcnt 0x0
	s_and_saveexec_b32 s18, s1
	s_cbranch_execz .LBB61_96
; %bb.87:
	s_and_not1_b32 vcc_lo, exec_lo, s3
	s_cbranch_vccnz .LBB61_89
; %bb.88:
	scratch_load_b32 v128, v7, off
	ds_load_b32 v129, v1
	s_wait_loadcnt_dscnt 0x0
	v_mul_f32_e32 v128, v128, v129
	s_cbranch_execz .LBB61_90
	s_branch .LBB61_91
.LBB61_89:
                                        ; implicit-def: $vgpr128
.LBB61_90:
	ds_load_b32 v128, v1
.LBB61_91:
	s_and_saveexec_b32 s19, s0
	s_cbranch_execz .LBB61_95
; %bb.92:
	v_subrev_nc_u32_e32 v129, 52, v0
	s_movk_i32 s20, 0x1d0
	s_mov_b32 s0, 0
.LBB61_93:                              ; =>This Inner Loop Header: Depth=1
	scratch_load_b32 v130, off, s17
	v_dual_mov_b32 v131, s20 :: v_dual_add_nc_u32 v129, -1, v129
	s_add_co_i32 s20, s20, 4
	s_wait_xcnt 0x0
	s_add_co_i32 s17, s17, 4
	ds_load_b32 v131, v131
	v_cmp_eq_u32_e32 vcc_lo, 0, v129
	s_or_b32 s0, vcc_lo, s0
	s_wait_loadcnt_dscnt 0x0
	v_fmac_f32_e32 v128, v130, v131
	s_and_not1_b32 exec_lo, exec_lo, s0
	s_cbranch_execnz .LBB61_93
; %bb.94:
	s_or_b32 exec_lo, exec_lo, s0
.LBB61_95:
	s_delay_alu instid0(SALU_CYCLE_1)
	s_or_b32 exec_lo, exec_lo, s19
	v_mov_b32_e32 v129, 0
	ds_load_b32 v129, v129 offset:204
	s_wait_dscnt 0x0
	v_mul_f32_e32 v128, v128, v129
	scratch_store_b32 off, v128, off offset:204
.LBB61_96:
	s_wait_xcnt 0x0
	s_or_b32 exec_lo, exec_lo, s18
	scratch_load_b32 v128, off, off offset:200
	v_cmp_lt_u32_e64 s0, 50, v0
	s_wait_loadcnt 0x0
	ds_store_b32 v1, v128
	s_wait_storecnt_dscnt 0x0
	s_barrier_signal -1
	s_barrier_wait -1
	s_wait_xcnt 0x0
	s_and_saveexec_b32 s17, s0
	s_cbranch_execz .LBB61_106
; %bb.97:
	s_and_not1_b32 vcc_lo, exec_lo, s3
	s_cbranch_vccnz .LBB61_99
; %bb.98:
	scratch_load_b32 v128, v7, off
	ds_load_b32 v129, v1
	s_wait_loadcnt_dscnt 0x0
	v_mul_f32_e32 v128, v128, v129
	s_cbranch_execz .LBB61_100
	s_branch .LBB61_101
.LBB61_99:
                                        ; implicit-def: $vgpr128
.LBB61_100:
	ds_load_b32 v128, v1
.LBB61_101:
	s_and_saveexec_b32 s18, s1
	s_cbranch_execz .LBB61_105
; %bb.102:
	v_subrev_nc_u32_e32 v129, 51, v0
	s_movk_i32 s1, 0xcc
	s_movk_i32 s20, 0x1cc
	s_mov_b32 s19, 0
.LBB61_103:                             ; =>This Inner Loop Header: Depth=1
	scratch_load_b32 v130, off, s1
	v_dual_mov_b32 v131, s20 :: v_dual_add_nc_u32 v129, -1, v129
	s_add_co_i32 s20, s20, 4
	s_wait_xcnt 0x0
	s_add_co_i32 s1, s1, 4
	ds_load_b32 v131, v131
	v_cmp_eq_u32_e32 vcc_lo, 0, v129
	s_or_b32 s19, vcc_lo, s19
	s_wait_loadcnt_dscnt 0x0
	v_fmac_f32_e32 v128, v130, v131
	s_and_not1_b32 exec_lo, exec_lo, s19
	s_cbranch_execnz .LBB61_103
; %bb.104:
	s_or_b32 exec_lo, exec_lo, s19
.LBB61_105:
	s_delay_alu instid0(SALU_CYCLE_1)
	s_or_b32 exec_lo, exec_lo, s18
	v_mov_b32_e32 v129, 0
	ds_load_b32 v129, v129 offset:200
	s_wait_dscnt 0x0
	v_mul_f32_e32 v128, v128, v129
	scratch_store_b32 off, v128, off offset:200
.LBB61_106:
	s_wait_xcnt 0x0
	s_or_b32 exec_lo, exec_lo, s17
	scratch_load_b32 v128, off, off offset:196
	v_cmp_lt_u32_e64 s1, 49, v0
	s_wait_loadcnt 0x0
	ds_store_b32 v1, v128
	s_wait_storecnt_dscnt 0x0
	s_barrier_signal -1
	s_barrier_wait -1
	s_wait_xcnt 0x0
	s_and_saveexec_b32 s17, s1
	s_cbranch_execz .LBB61_116
; %bb.107:
	s_and_not1_b32 vcc_lo, exec_lo, s3
	s_cbranch_vccnz .LBB61_109
; %bb.108:
	scratch_load_b32 v128, v7, off
	ds_load_b32 v129, v1
	s_wait_loadcnt_dscnt 0x0
	v_mul_f32_e32 v128, v128, v129
	s_cbranch_execz .LBB61_110
	s_branch .LBB61_111
.LBB61_109:
                                        ; implicit-def: $vgpr128
.LBB61_110:
	ds_load_b32 v128, v1
.LBB61_111:
	s_and_saveexec_b32 s18, s0
	s_cbranch_execz .LBB61_115
; %bb.112:
	v_subrev_nc_u32_e32 v129, 50, v0
	s_movk_i32 s0, 0xc8
	s_movk_i32 s20, 0x1c8
	s_mov_b32 s19, 0
.LBB61_113:                             ; =>This Inner Loop Header: Depth=1
	scratch_load_b32 v130, off, s0
	v_dual_mov_b32 v131, s20 :: v_dual_add_nc_u32 v129, -1, v129
	s_add_co_i32 s20, s20, 4
	s_wait_xcnt 0x0
	s_add_co_i32 s0, s0, 4
	ds_load_b32 v131, v131
	v_cmp_eq_u32_e32 vcc_lo, 0, v129
	s_or_b32 s19, vcc_lo, s19
	s_wait_loadcnt_dscnt 0x0
	v_fmac_f32_e32 v128, v130, v131
	s_and_not1_b32 exec_lo, exec_lo, s19
	s_cbranch_execnz .LBB61_113
; %bb.114:
	s_or_b32 exec_lo, exec_lo, s19
.LBB61_115:
	s_delay_alu instid0(SALU_CYCLE_1)
	s_or_b32 exec_lo, exec_lo, s18
	v_mov_b32_e32 v129, 0
	ds_load_b32 v129, v129 offset:196
	s_wait_dscnt 0x0
	v_mul_f32_e32 v128, v128, v129
	scratch_store_b32 off, v128, off offset:196
.LBB61_116:
	;; [unrolled: 58-line block ×3, first 2 shown]
	s_wait_xcnt 0x0
	s_or_b32 exec_lo, exec_lo, s17
	scratch_load_b32 v128, off, off offset:188
	v_cmp_lt_u32_e64 s1, 47, v0
	s_wait_loadcnt 0x0
	ds_store_b32 v1, v128
	s_wait_storecnt_dscnt 0x0
	s_barrier_signal -1
	s_barrier_wait -1
	s_wait_xcnt 0x0
	s_and_saveexec_b32 s17, s1
	s_cbranch_execz .LBB61_136
; %bb.127:
	s_and_not1_b32 vcc_lo, exec_lo, s3
	s_cbranch_vccnz .LBB61_129
; %bb.128:
	scratch_load_b32 v128, v7, off
	ds_load_b32 v129, v1
	s_wait_loadcnt_dscnt 0x0
	v_mul_f32_e32 v128, v128, v129
	s_cbranch_execz .LBB61_130
	s_branch .LBB61_131
.LBB61_129:
                                        ; implicit-def: $vgpr128
.LBB61_130:
	ds_load_b32 v128, v1
.LBB61_131:
	s_and_saveexec_b32 s18, s0
	s_cbranch_execz .LBB61_135
; %bb.132:
	v_subrev_nc_u32_e32 v129, 48, v0
	s_movk_i32 s19, 0x1c0
	s_mov_b32 s0, 0
.LBB61_133:                             ; =>This Inner Loop Header: Depth=1
	scratch_load_b32 v130, off, s16
	v_dual_mov_b32 v131, s19 :: v_dual_add_nc_u32 v129, -1, v129
	s_add_co_i32 s19, s19, 4
	s_wait_xcnt 0x0
	s_add_co_i32 s16, s16, 4
	ds_load_b32 v131, v131
	v_cmp_eq_u32_e32 vcc_lo, 0, v129
	s_or_b32 s0, vcc_lo, s0
	s_wait_loadcnt_dscnt 0x0
	v_fmac_f32_e32 v128, v130, v131
	s_and_not1_b32 exec_lo, exec_lo, s0
	s_cbranch_execnz .LBB61_133
; %bb.134:
	s_or_b32 exec_lo, exec_lo, s0
.LBB61_135:
	s_delay_alu instid0(SALU_CYCLE_1)
	s_or_b32 exec_lo, exec_lo, s18
	v_mov_b32_e32 v129, 0
	ds_load_b32 v129, v129 offset:188
	s_wait_dscnt 0x0
	v_mul_f32_e32 v128, v128, v129
	scratch_store_b32 off, v128, off offset:188
.LBB61_136:
	s_wait_xcnt 0x0
	s_or_b32 exec_lo, exec_lo, s17
	scratch_load_b32 v128, off, off offset:184
	v_cmp_lt_u32_e64 s0, 46, v0
	s_wait_loadcnt 0x0
	ds_store_b32 v1, v128
	s_wait_storecnt_dscnt 0x0
	s_barrier_signal -1
	s_barrier_wait -1
	s_wait_xcnt 0x0
	s_and_saveexec_b32 s16, s0
	s_cbranch_execz .LBB61_146
; %bb.137:
	s_and_not1_b32 vcc_lo, exec_lo, s3
	s_cbranch_vccnz .LBB61_139
; %bb.138:
	scratch_load_b32 v128, v7, off
	ds_load_b32 v129, v1
	s_wait_loadcnt_dscnt 0x0
	v_mul_f32_e32 v128, v128, v129
	s_cbranch_execz .LBB61_140
	s_branch .LBB61_141
.LBB61_139:
                                        ; implicit-def: $vgpr128
.LBB61_140:
	ds_load_b32 v128, v1
.LBB61_141:
	s_and_saveexec_b32 s17, s1
	s_cbranch_execz .LBB61_145
; %bb.142:
	v_subrev_nc_u32_e32 v129, 47, v0
	s_movk_i32 s1, 0xbc
	s_movk_i32 s19, 0x1bc
	s_mov_b32 s18, 0
.LBB61_143:                             ; =>This Inner Loop Header: Depth=1
	scratch_load_b32 v130, off, s1
	v_dual_mov_b32 v131, s19 :: v_dual_add_nc_u32 v129, -1, v129
	s_add_co_i32 s19, s19, 4
	s_wait_xcnt 0x0
	s_add_co_i32 s1, s1, 4
	ds_load_b32 v131, v131
	v_cmp_eq_u32_e32 vcc_lo, 0, v129
	s_or_b32 s18, vcc_lo, s18
	s_wait_loadcnt_dscnt 0x0
	v_fmac_f32_e32 v128, v130, v131
	s_and_not1_b32 exec_lo, exec_lo, s18
	s_cbranch_execnz .LBB61_143
; %bb.144:
	s_or_b32 exec_lo, exec_lo, s18
.LBB61_145:
	s_delay_alu instid0(SALU_CYCLE_1)
	s_or_b32 exec_lo, exec_lo, s17
	v_mov_b32_e32 v129, 0
	ds_load_b32 v129, v129 offset:184
	s_wait_dscnt 0x0
	v_mul_f32_e32 v128, v128, v129
	scratch_store_b32 off, v128, off offset:184
.LBB61_146:
	s_wait_xcnt 0x0
	s_or_b32 exec_lo, exec_lo, s16
	scratch_load_b32 v128, off, off offset:180
	v_cmp_lt_u32_e64 s1, 45, v0
	s_wait_loadcnt 0x0
	ds_store_b32 v1, v128
	s_wait_storecnt_dscnt 0x0
	s_barrier_signal -1
	s_barrier_wait -1
	s_wait_xcnt 0x0
	s_and_saveexec_b32 s16, s1
	s_cbranch_execz .LBB61_156
; %bb.147:
	s_and_not1_b32 vcc_lo, exec_lo, s3
	s_cbranch_vccnz .LBB61_149
; %bb.148:
	scratch_load_b32 v128, v7, off
	ds_load_b32 v129, v1
	s_wait_loadcnt_dscnt 0x0
	v_mul_f32_e32 v128, v128, v129
	s_cbranch_execz .LBB61_150
	s_branch .LBB61_151
.LBB61_149:
                                        ; implicit-def: $vgpr128
.LBB61_150:
	ds_load_b32 v128, v1
.LBB61_151:
	s_and_saveexec_b32 s17, s0
	s_cbranch_execz .LBB61_155
; %bb.152:
	v_subrev_nc_u32_e32 v129, 46, v0
	s_movk_i32 s0, 0xb8
	s_movk_i32 s19, 0x1b8
	s_mov_b32 s18, 0
.LBB61_153:                             ; =>This Inner Loop Header: Depth=1
	scratch_load_b32 v130, off, s0
	v_dual_mov_b32 v131, s19 :: v_dual_add_nc_u32 v129, -1, v129
	s_add_co_i32 s19, s19, 4
	s_wait_xcnt 0x0
	s_add_co_i32 s0, s0, 4
	ds_load_b32 v131, v131
	v_cmp_eq_u32_e32 vcc_lo, 0, v129
	s_or_b32 s18, vcc_lo, s18
	s_wait_loadcnt_dscnt 0x0
	v_fmac_f32_e32 v128, v130, v131
	s_and_not1_b32 exec_lo, exec_lo, s18
	s_cbranch_execnz .LBB61_153
; %bb.154:
	s_or_b32 exec_lo, exec_lo, s18
.LBB61_155:
	s_delay_alu instid0(SALU_CYCLE_1)
	s_or_b32 exec_lo, exec_lo, s17
	v_mov_b32_e32 v129, 0
	ds_load_b32 v129, v129 offset:180
	s_wait_dscnt 0x0
	v_mul_f32_e32 v128, v128, v129
	scratch_store_b32 off, v128, off offset:180
.LBB61_156:
	;; [unrolled: 58-line block ×3, first 2 shown]
	s_wait_xcnt 0x0
	s_or_b32 exec_lo, exec_lo, s16
	scratch_load_b32 v128, off, off offset:172
	v_cmp_lt_u32_e64 s1, 43, v0
	s_wait_loadcnt 0x0
	ds_store_b32 v1, v128
	s_wait_storecnt_dscnt 0x0
	s_barrier_signal -1
	s_barrier_wait -1
	s_wait_xcnt 0x0
	s_and_saveexec_b32 s16, s1
	s_cbranch_execz .LBB61_176
; %bb.167:
	s_and_not1_b32 vcc_lo, exec_lo, s3
	s_cbranch_vccnz .LBB61_169
; %bb.168:
	scratch_load_b32 v128, v7, off
	ds_load_b32 v129, v1
	s_wait_loadcnt_dscnt 0x0
	v_mul_f32_e32 v128, v128, v129
	s_cbranch_execz .LBB61_170
	s_branch .LBB61_171
.LBB61_169:
                                        ; implicit-def: $vgpr128
.LBB61_170:
	ds_load_b32 v128, v1
.LBB61_171:
	s_and_saveexec_b32 s17, s0
	s_cbranch_execz .LBB61_175
; %bb.172:
	v_subrev_nc_u32_e32 v129, 44, v0
	s_movk_i32 s18, 0x1b0
	s_mov_b32 s0, 0
.LBB61_173:                             ; =>This Inner Loop Header: Depth=1
	scratch_load_b32 v130, off, s15
	v_dual_mov_b32 v131, s18 :: v_dual_add_nc_u32 v129, -1, v129
	s_add_co_i32 s18, s18, 4
	s_wait_xcnt 0x0
	s_add_co_i32 s15, s15, 4
	ds_load_b32 v131, v131
	v_cmp_eq_u32_e32 vcc_lo, 0, v129
	s_or_b32 s0, vcc_lo, s0
	s_wait_loadcnt_dscnt 0x0
	v_fmac_f32_e32 v128, v130, v131
	s_and_not1_b32 exec_lo, exec_lo, s0
	s_cbranch_execnz .LBB61_173
; %bb.174:
	s_or_b32 exec_lo, exec_lo, s0
.LBB61_175:
	s_delay_alu instid0(SALU_CYCLE_1)
	s_or_b32 exec_lo, exec_lo, s17
	v_mov_b32_e32 v129, 0
	ds_load_b32 v129, v129 offset:172
	s_wait_dscnt 0x0
	v_mul_f32_e32 v128, v128, v129
	scratch_store_b32 off, v128, off offset:172
.LBB61_176:
	s_wait_xcnt 0x0
	s_or_b32 exec_lo, exec_lo, s16
	scratch_load_b32 v128, off, off offset:168
	v_cmp_lt_u32_e64 s0, 42, v0
	s_wait_loadcnt 0x0
	ds_store_b32 v1, v128
	s_wait_storecnt_dscnt 0x0
	s_barrier_signal -1
	s_barrier_wait -1
	s_wait_xcnt 0x0
	s_and_saveexec_b32 s15, s0
	s_cbranch_execz .LBB61_186
; %bb.177:
	s_and_not1_b32 vcc_lo, exec_lo, s3
	s_cbranch_vccnz .LBB61_179
; %bb.178:
	scratch_load_b32 v128, v7, off
	ds_load_b32 v129, v1
	s_wait_loadcnt_dscnt 0x0
	v_mul_f32_e32 v128, v128, v129
	s_cbranch_execz .LBB61_180
	s_branch .LBB61_181
.LBB61_179:
                                        ; implicit-def: $vgpr128
.LBB61_180:
	ds_load_b32 v128, v1
.LBB61_181:
	s_and_saveexec_b32 s16, s1
	s_cbranch_execz .LBB61_185
; %bb.182:
	v_subrev_nc_u32_e32 v129, 43, v0
	s_movk_i32 s1, 0xac
	s_movk_i32 s18, 0x1ac
	s_mov_b32 s17, 0
.LBB61_183:                             ; =>This Inner Loop Header: Depth=1
	scratch_load_b32 v130, off, s1
	v_dual_mov_b32 v131, s18 :: v_dual_add_nc_u32 v129, -1, v129
	s_add_co_i32 s18, s18, 4
	s_wait_xcnt 0x0
	s_add_co_i32 s1, s1, 4
	ds_load_b32 v131, v131
	v_cmp_eq_u32_e32 vcc_lo, 0, v129
	s_or_b32 s17, vcc_lo, s17
	s_wait_loadcnt_dscnt 0x0
	v_fmac_f32_e32 v128, v130, v131
	s_and_not1_b32 exec_lo, exec_lo, s17
	s_cbranch_execnz .LBB61_183
; %bb.184:
	s_or_b32 exec_lo, exec_lo, s17
.LBB61_185:
	s_delay_alu instid0(SALU_CYCLE_1)
	s_or_b32 exec_lo, exec_lo, s16
	v_mov_b32_e32 v129, 0
	ds_load_b32 v129, v129 offset:168
	s_wait_dscnt 0x0
	v_mul_f32_e32 v128, v128, v129
	scratch_store_b32 off, v128, off offset:168
.LBB61_186:
	s_wait_xcnt 0x0
	s_or_b32 exec_lo, exec_lo, s15
	scratch_load_b32 v128, off, off offset:164
	v_cmp_lt_u32_e64 s1, 41, v0
	s_wait_loadcnt 0x0
	ds_store_b32 v1, v128
	s_wait_storecnt_dscnt 0x0
	s_barrier_signal -1
	s_barrier_wait -1
	s_wait_xcnt 0x0
	s_and_saveexec_b32 s15, s1
	s_cbranch_execz .LBB61_196
; %bb.187:
	s_and_not1_b32 vcc_lo, exec_lo, s3
	s_cbranch_vccnz .LBB61_189
; %bb.188:
	scratch_load_b32 v128, v7, off
	ds_load_b32 v129, v1
	s_wait_loadcnt_dscnt 0x0
	v_mul_f32_e32 v128, v128, v129
	s_cbranch_execz .LBB61_190
	s_branch .LBB61_191
.LBB61_189:
                                        ; implicit-def: $vgpr128
.LBB61_190:
	ds_load_b32 v128, v1
.LBB61_191:
	s_and_saveexec_b32 s16, s0
	s_cbranch_execz .LBB61_195
; %bb.192:
	v_subrev_nc_u32_e32 v129, 42, v0
	s_movk_i32 s0, 0xa8
	s_movk_i32 s18, 0x1a8
	s_mov_b32 s17, 0
.LBB61_193:                             ; =>This Inner Loop Header: Depth=1
	scratch_load_b32 v130, off, s0
	v_dual_mov_b32 v131, s18 :: v_dual_add_nc_u32 v129, -1, v129
	s_add_co_i32 s18, s18, 4
	s_wait_xcnt 0x0
	s_add_co_i32 s0, s0, 4
	ds_load_b32 v131, v131
	v_cmp_eq_u32_e32 vcc_lo, 0, v129
	s_or_b32 s17, vcc_lo, s17
	s_wait_loadcnt_dscnt 0x0
	v_fmac_f32_e32 v128, v130, v131
	s_and_not1_b32 exec_lo, exec_lo, s17
	s_cbranch_execnz .LBB61_193
; %bb.194:
	s_or_b32 exec_lo, exec_lo, s17
.LBB61_195:
	s_delay_alu instid0(SALU_CYCLE_1)
	s_or_b32 exec_lo, exec_lo, s16
	v_mov_b32_e32 v129, 0
	ds_load_b32 v129, v129 offset:164
	s_wait_dscnt 0x0
	v_mul_f32_e32 v128, v128, v129
	scratch_store_b32 off, v128, off offset:164
.LBB61_196:
	;; [unrolled: 58-line block ×3, first 2 shown]
	s_wait_xcnt 0x0
	s_or_b32 exec_lo, exec_lo, s15
	scratch_load_b32 v128, off, off offset:156
	v_cmp_lt_u32_e64 s1, 39, v0
	s_wait_loadcnt 0x0
	ds_store_b32 v1, v128
	s_wait_storecnt_dscnt 0x0
	s_barrier_signal -1
	s_barrier_wait -1
	s_wait_xcnt 0x0
	s_and_saveexec_b32 s15, s1
	s_cbranch_execz .LBB61_216
; %bb.207:
	s_and_not1_b32 vcc_lo, exec_lo, s3
	s_cbranch_vccnz .LBB61_209
; %bb.208:
	scratch_load_b32 v128, v7, off
	ds_load_b32 v129, v1
	s_wait_loadcnt_dscnt 0x0
	v_mul_f32_e32 v128, v128, v129
	s_cbranch_execz .LBB61_210
	s_branch .LBB61_211
.LBB61_209:
                                        ; implicit-def: $vgpr128
.LBB61_210:
	ds_load_b32 v128, v1
.LBB61_211:
	s_and_saveexec_b32 s16, s0
	s_cbranch_execz .LBB61_215
; %bb.212:
	v_subrev_nc_u32_e32 v129, 40, v0
	s_movk_i32 s17, 0x1a0
	s_mov_b32 s0, 0
.LBB61_213:                             ; =>This Inner Loop Header: Depth=1
	scratch_load_b32 v130, off, s14
	v_dual_mov_b32 v131, s17 :: v_dual_add_nc_u32 v129, -1, v129
	s_add_co_i32 s17, s17, 4
	s_wait_xcnt 0x0
	s_add_co_i32 s14, s14, 4
	ds_load_b32 v131, v131
	v_cmp_eq_u32_e32 vcc_lo, 0, v129
	s_or_b32 s0, vcc_lo, s0
	s_wait_loadcnt_dscnt 0x0
	v_fmac_f32_e32 v128, v130, v131
	s_and_not1_b32 exec_lo, exec_lo, s0
	s_cbranch_execnz .LBB61_213
; %bb.214:
	s_or_b32 exec_lo, exec_lo, s0
.LBB61_215:
	s_delay_alu instid0(SALU_CYCLE_1)
	s_or_b32 exec_lo, exec_lo, s16
	v_mov_b32_e32 v129, 0
	ds_load_b32 v129, v129 offset:156
	s_wait_dscnt 0x0
	v_mul_f32_e32 v128, v128, v129
	scratch_store_b32 off, v128, off offset:156
.LBB61_216:
	s_wait_xcnt 0x0
	s_or_b32 exec_lo, exec_lo, s15
	scratch_load_b32 v128, off, off offset:152
	v_cmp_lt_u32_e64 s0, 38, v0
	s_wait_loadcnt 0x0
	ds_store_b32 v1, v128
	s_wait_storecnt_dscnt 0x0
	s_barrier_signal -1
	s_barrier_wait -1
	s_wait_xcnt 0x0
	s_and_saveexec_b32 s14, s0
	s_cbranch_execz .LBB61_226
; %bb.217:
	s_and_not1_b32 vcc_lo, exec_lo, s3
	s_cbranch_vccnz .LBB61_219
; %bb.218:
	scratch_load_b32 v128, v7, off
	ds_load_b32 v129, v1
	s_wait_loadcnt_dscnt 0x0
	v_mul_f32_e32 v128, v128, v129
	s_cbranch_execz .LBB61_220
	s_branch .LBB61_221
.LBB61_219:
                                        ; implicit-def: $vgpr128
.LBB61_220:
	ds_load_b32 v128, v1
.LBB61_221:
	s_and_saveexec_b32 s15, s1
	s_cbranch_execz .LBB61_225
; %bb.222:
	v_subrev_nc_u32_e32 v129, 39, v0
	s_movk_i32 s1, 0x9c
	s_movk_i32 s17, 0x19c
	s_mov_b32 s16, 0
.LBB61_223:                             ; =>This Inner Loop Header: Depth=1
	scratch_load_b32 v130, off, s1
	v_dual_mov_b32 v131, s17 :: v_dual_add_nc_u32 v129, -1, v129
	s_add_co_i32 s17, s17, 4
	s_wait_xcnt 0x0
	s_add_co_i32 s1, s1, 4
	ds_load_b32 v131, v131
	v_cmp_eq_u32_e32 vcc_lo, 0, v129
	s_or_b32 s16, vcc_lo, s16
	s_wait_loadcnt_dscnt 0x0
	v_fmac_f32_e32 v128, v130, v131
	s_and_not1_b32 exec_lo, exec_lo, s16
	s_cbranch_execnz .LBB61_223
; %bb.224:
	s_or_b32 exec_lo, exec_lo, s16
.LBB61_225:
	s_delay_alu instid0(SALU_CYCLE_1)
	s_or_b32 exec_lo, exec_lo, s15
	v_mov_b32_e32 v129, 0
	ds_load_b32 v129, v129 offset:152
	s_wait_dscnt 0x0
	v_mul_f32_e32 v128, v128, v129
	scratch_store_b32 off, v128, off offset:152
.LBB61_226:
	s_wait_xcnt 0x0
	s_or_b32 exec_lo, exec_lo, s14
	scratch_load_b32 v128, off, off offset:148
	v_cmp_lt_u32_e64 s1, 37, v0
	s_wait_loadcnt 0x0
	ds_store_b32 v1, v128
	s_wait_storecnt_dscnt 0x0
	s_barrier_signal -1
	s_barrier_wait -1
	s_wait_xcnt 0x0
	s_and_saveexec_b32 s14, s1
	s_cbranch_execz .LBB61_236
; %bb.227:
	s_and_not1_b32 vcc_lo, exec_lo, s3
	s_cbranch_vccnz .LBB61_229
; %bb.228:
	scratch_load_b32 v128, v7, off
	ds_load_b32 v129, v1
	s_wait_loadcnt_dscnt 0x0
	v_mul_f32_e32 v128, v128, v129
	s_cbranch_execz .LBB61_230
	s_branch .LBB61_231
.LBB61_229:
                                        ; implicit-def: $vgpr128
.LBB61_230:
	ds_load_b32 v128, v1
.LBB61_231:
	s_and_saveexec_b32 s15, s0
	s_cbranch_execz .LBB61_235
; %bb.232:
	v_subrev_nc_u32_e32 v129, 38, v0
	s_movk_i32 s0, 0x98
	s_movk_i32 s17, 0x198
	s_mov_b32 s16, 0
.LBB61_233:                             ; =>This Inner Loop Header: Depth=1
	scratch_load_b32 v130, off, s0
	v_dual_mov_b32 v131, s17 :: v_dual_add_nc_u32 v129, -1, v129
	s_add_co_i32 s17, s17, 4
	s_wait_xcnt 0x0
	s_add_co_i32 s0, s0, 4
	ds_load_b32 v131, v131
	v_cmp_eq_u32_e32 vcc_lo, 0, v129
	s_or_b32 s16, vcc_lo, s16
	s_wait_loadcnt_dscnt 0x0
	v_fmac_f32_e32 v128, v130, v131
	s_and_not1_b32 exec_lo, exec_lo, s16
	s_cbranch_execnz .LBB61_233
; %bb.234:
	s_or_b32 exec_lo, exec_lo, s16
.LBB61_235:
	s_delay_alu instid0(SALU_CYCLE_1)
	s_or_b32 exec_lo, exec_lo, s15
	v_mov_b32_e32 v129, 0
	ds_load_b32 v129, v129 offset:148
	s_wait_dscnt 0x0
	v_mul_f32_e32 v128, v128, v129
	scratch_store_b32 off, v128, off offset:148
.LBB61_236:
	;; [unrolled: 58-line block ×3, first 2 shown]
	s_wait_xcnt 0x0
	s_or_b32 exec_lo, exec_lo, s14
	scratch_load_b32 v128, off, off offset:140
	v_cmp_lt_u32_e64 s1, 35, v0
	s_wait_loadcnt 0x0
	ds_store_b32 v1, v128
	s_wait_storecnt_dscnt 0x0
	s_barrier_signal -1
	s_barrier_wait -1
	s_wait_xcnt 0x0
	s_and_saveexec_b32 s14, s1
	s_cbranch_execz .LBB61_256
; %bb.247:
	s_and_not1_b32 vcc_lo, exec_lo, s3
	s_cbranch_vccnz .LBB61_249
; %bb.248:
	scratch_load_b32 v128, v7, off
	ds_load_b32 v129, v1
	s_wait_loadcnt_dscnt 0x0
	v_mul_f32_e32 v128, v128, v129
	s_cbranch_execz .LBB61_250
	s_branch .LBB61_251
.LBB61_249:
                                        ; implicit-def: $vgpr128
.LBB61_250:
	ds_load_b32 v128, v1
.LBB61_251:
	s_and_saveexec_b32 s15, s0
	s_cbranch_execz .LBB61_255
; %bb.252:
	v_subrev_nc_u32_e32 v129, 36, v0
	s_movk_i32 s16, 0x190
	s_mov_b32 s0, 0
.LBB61_253:                             ; =>This Inner Loop Header: Depth=1
	scratch_load_b32 v130, off, s13
	v_dual_mov_b32 v131, s16 :: v_dual_add_nc_u32 v129, -1, v129
	s_add_co_i32 s16, s16, 4
	s_wait_xcnt 0x0
	s_add_co_i32 s13, s13, 4
	ds_load_b32 v131, v131
	v_cmp_eq_u32_e32 vcc_lo, 0, v129
	s_or_b32 s0, vcc_lo, s0
	s_wait_loadcnt_dscnt 0x0
	v_fmac_f32_e32 v128, v130, v131
	s_and_not1_b32 exec_lo, exec_lo, s0
	s_cbranch_execnz .LBB61_253
; %bb.254:
	s_or_b32 exec_lo, exec_lo, s0
.LBB61_255:
	s_delay_alu instid0(SALU_CYCLE_1)
	s_or_b32 exec_lo, exec_lo, s15
	v_mov_b32_e32 v129, 0
	ds_load_b32 v129, v129 offset:140
	s_wait_dscnt 0x0
	v_mul_f32_e32 v128, v128, v129
	scratch_store_b32 off, v128, off offset:140
.LBB61_256:
	s_wait_xcnt 0x0
	s_or_b32 exec_lo, exec_lo, s14
	scratch_load_b32 v128, off, off offset:136
	v_cmp_lt_u32_e64 s0, 34, v0
	s_wait_loadcnt 0x0
	ds_store_b32 v1, v128
	s_wait_storecnt_dscnt 0x0
	s_barrier_signal -1
	s_barrier_wait -1
	s_wait_xcnt 0x0
	s_and_saveexec_b32 s13, s0
	s_cbranch_execz .LBB61_266
; %bb.257:
	s_and_not1_b32 vcc_lo, exec_lo, s3
	s_cbranch_vccnz .LBB61_259
; %bb.258:
	scratch_load_b32 v128, v7, off
	ds_load_b32 v129, v1
	s_wait_loadcnt_dscnt 0x0
	v_mul_f32_e32 v128, v128, v129
	s_cbranch_execz .LBB61_260
	s_branch .LBB61_261
.LBB61_259:
                                        ; implicit-def: $vgpr128
.LBB61_260:
	ds_load_b32 v128, v1
.LBB61_261:
	s_and_saveexec_b32 s14, s1
	s_cbranch_execz .LBB61_265
; %bb.262:
	v_subrev_nc_u32_e32 v129, 35, v0
	s_movk_i32 s1, 0x8c
	s_movk_i32 s16, 0x18c
	s_mov_b32 s15, 0
.LBB61_263:                             ; =>This Inner Loop Header: Depth=1
	scratch_load_b32 v130, off, s1
	v_dual_mov_b32 v131, s16 :: v_dual_add_nc_u32 v129, -1, v129
	s_add_co_i32 s16, s16, 4
	s_wait_xcnt 0x0
	s_add_co_i32 s1, s1, 4
	ds_load_b32 v131, v131
	v_cmp_eq_u32_e32 vcc_lo, 0, v129
	s_or_b32 s15, vcc_lo, s15
	s_wait_loadcnt_dscnt 0x0
	v_fmac_f32_e32 v128, v130, v131
	s_and_not1_b32 exec_lo, exec_lo, s15
	s_cbranch_execnz .LBB61_263
; %bb.264:
	s_or_b32 exec_lo, exec_lo, s15
.LBB61_265:
	s_delay_alu instid0(SALU_CYCLE_1)
	s_or_b32 exec_lo, exec_lo, s14
	v_mov_b32_e32 v129, 0
	ds_load_b32 v129, v129 offset:136
	s_wait_dscnt 0x0
	v_mul_f32_e32 v128, v128, v129
	scratch_store_b32 off, v128, off offset:136
.LBB61_266:
	s_wait_xcnt 0x0
	s_or_b32 exec_lo, exec_lo, s13
	scratch_load_b32 v128, off, off offset:132
	v_cmp_lt_u32_e64 s1, 33, v0
	s_wait_loadcnt 0x0
	ds_store_b32 v1, v128
	s_wait_storecnt_dscnt 0x0
	s_barrier_signal -1
	s_barrier_wait -1
	s_wait_xcnt 0x0
	s_and_saveexec_b32 s13, s1
	s_cbranch_execz .LBB61_276
; %bb.267:
	s_and_not1_b32 vcc_lo, exec_lo, s3
	s_cbranch_vccnz .LBB61_269
; %bb.268:
	scratch_load_b32 v128, v7, off
	ds_load_b32 v129, v1
	s_wait_loadcnt_dscnt 0x0
	v_mul_f32_e32 v128, v128, v129
	s_cbranch_execz .LBB61_270
	s_branch .LBB61_271
.LBB61_269:
                                        ; implicit-def: $vgpr128
.LBB61_270:
	ds_load_b32 v128, v1
.LBB61_271:
	s_and_saveexec_b32 s14, s0
	s_cbranch_execz .LBB61_275
; %bb.272:
	v_subrev_nc_u32_e32 v129, 34, v0
	s_movk_i32 s0, 0x88
	s_movk_i32 s16, 0x188
	s_mov_b32 s15, 0
.LBB61_273:                             ; =>This Inner Loop Header: Depth=1
	scratch_load_b32 v130, off, s0
	v_dual_mov_b32 v131, s16 :: v_dual_add_nc_u32 v129, -1, v129
	s_add_co_i32 s16, s16, 4
	s_wait_xcnt 0x0
	s_add_co_i32 s0, s0, 4
	ds_load_b32 v131, v131
	v_cmp_eq_u32_e32 vcc_lo, 0, v129
	s_or_b32 s15, vcc_lo, s15
	s_wait_loadcnt_dscnt 0x0
	v_fmac_f32_e32 v128, v130, v131
	s_and_not1_b32 exec_lo, exec_lo, s15
	s_cbranch_execnz .LBB61_273
; %bb.274:
	s_or_b32 exec_lo, exec_lo, s15
.LBB61_275:
	s_delay_alu instid0(SALU_CYCLE_1)
	s_or_b32 exec_lo, exec_lo, s14
	v_mov_b32_e32 v129, 0
	ds_load_b32 v129, v129 offset:132
	s_wait_dscnt 0x0
	v_mul_f32_e32 v128, v128, v129
	scratch_store_b32 off, v128, off offset:132
.LBB61_276:
	;; [unrolled: 58-line block ×3, first 2 shown]
	s_wait_xcnt 0x0
	s_or_b32 exec_lo, exec_lo, s13
	scratch_load_b32 v128, off, off offset:124
	v_cmp_lt_u32_e64 s1, 31, v0
	s_wait_loadcnt 0x0
	ds_store_b32 v1, v128
	s_wait_storecnt_dscnt 0x0
	s_barrier_signal -1
	s_barrier_wait -1
	s_wait_xcnt 0x0
	s_and_saveexec_b32 s13, s1
	s_cbranch_execz .LBB61_296
; %bb.287:
	s_and_not1_b32 vcc_lo, exec_lo, s3
	s_cbranch_vccnz .LBB61_289
; %bb.288:
	scratch_load_b32 v128, v7, off
	ds_load_b32 v129, v1
	s_wait_loadcnt_dscnt 0x0
	v_mul_f32_e32 v128, v128, v129
	s_cbranch_execz .LBB61_290
	s_branch .LBB61_291
.LBB61_289:
                                        ; implicit-def: $vgpr128
.LBB61_290:
	ds_load_b32 v128, v1
.LBB61_291:
	s_and_saveexec_b32 s14, s0
	s_cbranch_execz .LBB61_295
; %bb.292:
	v_subrev_nc_u32_e32 v129, 32, v0
	s_movk_i32 s15, 0x180
	s_mov_b32 s0, 0
.LBB61_293:                             ; =>This Inner Loop Header: Depth=1
	scratch_load_b32 v130, off, s12
	v_dual_mov_b32 v131, s15 :: v_dual_add_nc_u32 v129, -1, v129
	s_add_co_i32 s15, s15, 4
	s_wait_xcnt 0x0
	s_add_co_i32 s12, s12, 4
	ds_load_b32 v131, v131
	v_cmp_eq_u32_e32 vcc_lo, 0, v129
	s_or_b32 s0, vcc_lo, s0
	s_wait_loadcnt_dscnt 0x0
	v_fmac_f32_e32 v128, v130, v131
	s_and_not1_b32 exec_lo, exec_lo, s0
	s_cbranch_execnz .LBB61_293
; %bb.294:
	s_or_b32 exec_lo, exec_lo, s0
.LBB61_295:
	s_delay_alu instid0(SALU_CYCLE_1)
	s_or_b32 exec_lo, exec_lo, s14
	v_mov_b32_e32 v129, 0
	ds_load_b32 v129, v129 offset:124
	s_wait_dscnt 0x0
	v_mul_f32_e32 v128, v128, v129
	scratch_store_b32 off, v128, off offset:124
.LBB61_296:
	s_wait_xcnt 0x0
	s_or_b32 exec_lo, exec_lo, s13
	scratch_load_b32 v128, off, off offset:120
	v_cmp_lt_u32_e64 s0, 30, v0
	s_wait_loadcnt 0x0
	ds_store_b32 v1, v128
	s_wait_storecnt_dscnt 0x0
	s_barrier_signal -1
	s_barrier_wait -1
	s_wait_xcnt 0x0
	s_and_saveexec_b32 s12, s0
	s_cbranch_execz .LBB61_306
; %bb.297:
	s_and_not1_b32 vcc_lo, exec_lo, s3
	s_cbranch_vccnz .LBB61_299
; %bb.298:
	scratch_load_b32 v128, v7, off
	ds_load_b32 v129, v1
	s_wait_loadcnt_dscnt 0x0
	v_mul_f32_e32 v128, v128, v129
	s_cbranch_execz .LBB61_300
	s_branch .LBB61_301
.LBB61_299:
                                        ; implicit-def: $vgpr128
.LBB61_300:
	ds_load_b32 v128, v1
.LBB61_301:
	s_and_saveexec_b32 s13, s1
	s_cbranch_execz .LBB61_305
; %bb.302:
	v_subrev_nc_u32_e32 v129, 31, v0
	s_movk_i32 s1, 0x7c
	s_movk_i32 s15, 0x17c
	s_mov_b32 s14, 0
.LBB61_303:                             ; =>This Inner Loop Header: Depth=1
	scratch_load_b32 v130, off, s1
	v_dual_mov_b32 v131, s15 :: v_dual_add_nc_u32 v129, -1, v129
	s_add_co_i32 s15, s15, 4
	s_wait_xcnt 0x0
	s_add_co_i32 s1, s1, 4
	ds_load_b32 v131, v131
	v_cmp_eq_u32_e32 vcc_lo, 0, v129
	s_or_b32 s14, vcc_lo, s14
	s_wait_loadcnt_dscnt 0x0
	v_fmac_f32_e32 v128, v130, v131
	s_and_not1_b32 exec_lo, exec_lo, s14
	s_cbranch_execnz .LBB61_303
; %bb.304:
	s_or_b32 exec_lo, exec_lo, s14
.LBB61_305:
	s_delay_alu instid0(SALU_CYCLE_1)
	s_or_b32 exec_lo, exec_lo, s13
	v_mov_b32_e32 v129, 0
	ds_load_b32 v129, v129 offset:120
	s_wait_dscnt 0x0
	v_mul_f32_e32 v128, v128, v129
	scratch_store_b32 off, v128, off offset:120
.LBB61_306:
	s_wait_xcnt 0x0
	s_or_b32 exec_lo, exec_lo, s12
	scratch_load_b32 v128, off, off offset:116
	v_cmp_lt_u32_e64 s1, 29, v0
	s_wait_loadcnt 0x0
	ds_store_b32 v1, v128
	s_wait_storecnt_dscnt 0x0
	s_barrier_signal -1
	s_barrier_wait -1
	s_wait_xcnt 0x0
	s_and_saveexec_b32 s12, s1
	s_cbranch_execz .LBB61_316
; %bb.307:
	s_and_not1_b32 vcc_lo, exec_lo, s3
	s_cbranch_vccnz .LBB61_309
; %bb.308:
	scratch_load_b32 v128, v7, off
	ds_load_b32 v129, v1
	s_wait_loadcnt_dscnt 0x0
	v_mul_f32_e32 v128, v128, v129
	s_cbranch_execz .LBB61_310
	s_branch .LBB61_311
.LBB61_309:
                                        ; implicit-def: $vgpr128
.LBB61_310:
	ds_load_b32 v128, v1
.LBB61_311:
	s_and_saveexec_b32 s13, s0
	s_cbranch_execz .LBB61_315
; %bb.312:
	v_subrev_nc_u32_e32 v129, 30, v0
	s_movk_i32 s0, 0x78
	s_movk_i32 s15, 0x178
	s_mov_b32 s14, 0
.LBB61_313:                             ; =>This Inner Loop Header: Depth=1
	scratch_load_b32 v130, off, s0
	v_dual_mov_b32 v131, s15 :: v_dual_add_nc_u32 v129, -1, v129
	s_add_co_i32 s15, s15, 4
	s_wait_xcnt 0x0
	s_add_co_i32 s0, s0, 4
	ds_load_b32 v131, v131
	v_cmp_eq_u32_e32 vcc_lo, 0, v129
	s_or_b32 s14, vcc_lo, s14
	s_wait_loadcnt_dscnt 0x0
	v_fmac_f32_e32 v128, v130, v131
	s_and_not1_b32 exec_lo, exec_lo, s14
	s_cbranch_execnz .LBB61_313
; %bb.314:
	s_or_b32 exec_lo, exec_lo, s14
.LBB61_315:
	s_delay_alu instid0(SALU_CYCLE_1)
	s_or_b32 exec_lo, exec_lo, s13
	v_mov_b32_e32 v129, 0
	ds_load_b32 v129, v129 offset:116
	s_wait_dscnt 0x0
	v_mul_f32_e32 v128, v128, v129
	scratch_store_b32 off, v128, off offset:116
.LBB61_316:
	;; [unrolled: 58-line block ×3, first 2 shown]
	s_wait_xcnt 0x0
	s_or_b32 exec_lo, exec_lo, s12
	scratch_load_b32 v128, off, off offset:108
	v_cmp_lt_u32_e64 s1, 27, v0
	s_wait_loadcnt 0x0
	ds_store_b32 v1, v128
	s_wait_storecnt_dscnt 0x0
	s_barrier_signal -1
	s_barrier_wait -1
	s_wait_xcnt 0x0
	s_and_saveexec_b32 s12, s1
	s_cbranch_execz .LBB61_336
; %bb.327:
	s_and_not1_b32 vcc_lo, exec_lo, s3
	s_cbranch_vccnz .LBB61_329
; %bb.328:
	scratch_load_b32 v128, v7, off
	ds_load_b32 v129, v1
	s_wait_loadcnt_dscnt 0x0
	v_mul_f32_e32 v128, v128, v129
	s_cbranch_execz .LBB61_330
	s_branch .LBB61_331
.LBB61_329:
                                        ; implicit-def: $vgpr128
.LBB61_330:
	ds_load_b32 v128, v1
.LBB61_331:
	s_and_saveexec_b32 s13, s0
	s_cbranch_execz .LBB61_335
; %bb.332:
	v_subrev_nc_u32_e32 v129, 28, v0
	s_movk_i32 s14, 0x170
	s_mov_b32 s0, 0
.LBB61_333:                             ; =>This Inner Loop Header: Depth=1
	scratch_load_b32 v130, off, s11
	v_dual_mov_b32 v131, s14 :: v_dual_add_nc_u32 v129, -1, v129
	s_add_co_i32 s14, s14, 4
	s_wait_xcnt 0x0
	s_add_co_i32 s11, s11, 4
	ds_load_b32 v131, v131
	v_cmp_eq_u32_e32 vcc_lo, 0, v129
	s_or_b32 s0, vcc_lo, s0
	s_wait_loadcnt_dscnt 0x0
	v_fmac_f32_e32 v128, v130, v131
	s_and_not1_b32 exec_lo, exec_lo, s0
	s_cbranch_execnz .LBB61_333
; %bb.334:
	s_or_b32 exec_lo, exec_lo, s0
.LBB61_335:
	s_delay_alu instid0(SALU_CYCLE_1)
	s_or_b32 exec_lo, exec_lo, s13
	v_mov_b32_e32 v129, 0
	ds_load_b32 v129, v129 offset:108
	s_wait_dscnt 0x0
	v_mul_f32_e32 v128, v128, v129
	scratch_store_b32 off, v128, off offset:108
.LBB61_336:
	s_wait_xcnt 0x0
	s_or_b32 exec_lo, exec_lo, s12
	scratch_load_b32 v128, off, off offset:104
	v_cmp_lt_u32_e64 s0, 26, v0
	s_wait_loadcnt 0x0
	ds_store_b32 v1, v128
	s_wait_storecnt_dscnt 0x0
	s_barrier_signal -1
	s_barrier_wait -1
	s_wait_xcnt 0x0
	s_and_saveexec_b32 s11, s0
	s_cbranch_execz .LBB61_346
; %bb.337:
	s_and_not1_b32 vcc_lo, exec_lo, s3
	s_cbranch_vccnz .LBB61_339
; %bb.338:
	scratch_load_b32 v128, v7, off
	ds_load_b32 v129, v1
	s_wait_loadcnt_dscnt 0x0
	v_mul_f32_e32 v128, v128, v129
	s_cbranch_execz .LBB61_340
	s_branch .LBB61_341
.LBB61_339:
                                        ; implicit-def: $vgpr128
.LBB61_340:
	ds_load_b32 v128, v1
.LBB61_341:
	s_and_saveexec_b32 s12, s1
	s_cbranch_execz .LBB61_345
; %bb.342:
	v_subrev_nc_u32_e32 v129, 27, v0
	s_movk_i32 s1, 0x6c
	s_movk_i32 s14, 0x16c
	s_mov_b32 s13, 0
.LBB61_343:                             ; =>This Inner Loop Header: Depth=1
	scratch_load_b32 v130, off, s1
	v_dual_mov_b32 v131, s14 :: v_dual_add_nc_u32 v129, -1, v129
	s_add_co_i32 s14, s14, 4
	s_wait_xcnt 0x0
	s_add_co_i32 s1, s1, 4
	ds_load_b32 v131, v131
	v_cmp_eq_u32_e32 vcc_lo, 0, v129
	s_or_b32 s13, vcc_lo, s13
	s_wait_loadcnt_dscnt 0x0
	v_fmac_f32_e32 v128, v130, v131
	s_and_not1_b32 exec_lo, exec_lo, s13
	s_cbranch_execnz .LBB61_343
; %bb.344:
	s_or_b32 exec_lo, exec_lo, s13
.LBB61_345:
	s_delay_alu instid0(SALU_CYCLE_1)
	s_or_b32 exec_lo, exec_lo, s12
	v_mov_b32_e32 v129, 0
	ds_load_b32 v129, v129 offset:104
	s_wait_dscnt 0x0
	v_mul_f32_e32 v128, v128, v129
	scratch_store_b32 off, v128, off offset:104
.LBB61_346:
	s_wait_xcnt 0x0
	s_or_b32 exec_lo, exec_lo, s11
	scratch_load_b32 v128, off, off offset:100
	v_cmp_lt_u32_e64 s1, 25, v0
	s_wait_loadcnt 0x0
	ds_store_b32 v1, v128
	s_wait_storecnt_dscnt 0x0
	s_barrier_signal -1
	s_barrier_wait -1
	s_wait_xcnt 0x0
	s_and_saveexec_b32 s11, s1
	s_cbranch_execz .LBB61_356
; %bb.347:
	s_and_not1_b32 vcc_lo, exec_lo, s3
	s_cbranch_vccnz .LBB61_349
; %bb.348:
	scratch_load_b32 v128, v7, off
	ds_load_b32 v129, v1
	s_wait_loadcnt_dscnt 0x0
	v_mul_f32_e32 v128, v128, v129
	s_cbranch_execz .LBB61_350
	s_branch .LBB61_351
.LBB61_349:
                                        ; implicit-def: $vgpr128
.LBB61_350:
	ds_load_b32 v128, v1
.LBB61_351:
	s_and_saveexec_b32 s12, s0
	s_cbranch_execz .LBB61_355
; %bb.352:
	v_subrev_nc_u32_e32 v129, 26, v0
	s_movk_i32 s0, 0x68
	s_movk_i32 s14, 0x168
	s_mov_b32 s13, 0
.LBB61_353:                             ; =>This Inner Loop Header: Depth=1
	scratch_load_b32 v130, off, s0
	v_dual_mov_b32 v131, s14 :: v_dual_add_nc_u32 v129, -1, v129
	s_add_co_i32 s14, s14, 4
	s_wait_xcnt 0x0
	s_add_co_i32 s0, s0, 4
	ds_load_b32 v131, v131
	v_cmp_eq_u32_e32 vcc_lo, 0, v129
	s_or_b32 s13, vcc_lo, s13
	s_wait_loadcnt_dscnt 0x0
	v_fmac_f32_e32 v128, v130, v131
	s_and_not1_b32 exec_lo, exec_lo, s13
	s_cbranch_execnz .LBB61_353
; %bb.354:
	s_or_b32 exec_lo, exec_lo, s13
.LBB61_355:
	s_delay_alu instid0(SALU_CYCLE_1)
	s_or_b32 exec_lo, exec_lo, s12
	v_mov_b32_e32 v129, 0
	ds_load_b32 v129, v129 offset:100
	s_wait_dscnt 0x0
	v_mul_f32_e32 v128, v128, v129
	scratch_store_b32 off, v128, off offset:100
.LBB61_356:
	;; [unrolled: 58-line block ×3, first 2 shown]
	s_wait_xcnt 0x0
	s_or_b32 exec_lo, exec_lo, s11
	scratch_load_b32 v128, off, off offset:92
	v_cmp_lt_u32_e64 s1, 23, v0
	s_wait_loadcnt 0x0
	ds_store_b32 v1, v128
	s_wait_storecnt_dscnt 0x0
	s_barrier_signal -1
	s_barrier_wait -1
	s_wait_xcnt 0x0
	s_and_saveexec_b32 s11, s1
	s_cbranch_execz .LBB61_376
; %bb.367:
	s_and_not1_b32 vcc_lo, exec_lo, s3
	s_cbranch_vccnz .LBB61_369
; %bb.368:
	scratch_load_b32 v128, v7, off
	ds_load_b32 v129, v1
	s_wait_loadcnt_dscnt 0x0
	v_mul_f32_e32 v128, v128, v129
	s_cbranch_execz .LBB61_370
	s_branch .LBB61_371
.LBB61_369:
                                        ; implicit-def: $vgpr128
.LBB61_370:
	ds_load_b32 v128, v1
.LBB61_371:
	s_and_saveexec_b32 s12, s0
	s_cbranch_execz .LBB61_375
; %bb.372:
	v_subrev_nc_u32_e32 v129, 24, v0
	s_movk_i32 s13, 0x160
	s_mov_b32 s0, 0
.LBB61_373:                             ; =>This Inner Loop Header: Depth=1
	scratch_load_b32 v130, off, s10
	v_dual_mov_b32 v131, s13 :: v_dual_add_nc_u32 v129, -1, v129
	s_add_co_i32 s13, s13, 4
	s_wait_xcnt 0x0
	s_add_co_i32 s10, s10, 4
	ds_load_b32 v131, v131
	v_cmp_eq_u32_e32 vcc_lo, 0, v129
	s_or_b32 s0, vcc_lo, s0
	s_wait_loadcnt_dscnt 0x0
	v_fmac_f32_e32 v128, v130, v131
	s_and_not1_b32 exec_lo, exec_lo, s0
	s_cbranch_execnz .LBB61_373
; %bb.374:
	s_or_b32 exec_lo, exec_lo, s0
.LBB61_375:
	s_delay_alu instid0(SALU_CYCLE_1)
	s_or_b32 exec_lo, exec_lo, s12
	v_mov_b32_e32 v129, 0
	ds_load_b32 v129, v129 offset:92
	s_wait_dscnt 0x0
	v_mul_f32_e32 v128, v128, v129
	scratch_store_b32 off, v128, off offset:92
.LBB61_376:
	s_wait_xcnt 0x0
	s_or_b32 exec_lo, exec_lo, s11
	scratch_load_b32 v128, off, off offset:88
	v_cmp_lt_u32_e64 s0, 22, v0
	s_wait_loadcnt 0x0
	ds_store_b32 v1, v128
	s_wait_storecnt_dscnt 0x0
	s_barrier_signal -1
	s_barrier_wait -1
	s_wait_xcnt 0x0
	s_and_saveexec_b32 s10, s0
	s_cbranch_execz .LBB61_386
; %bb.377:
	s_and_not1_b32 vcc_lo, exec_lo, s3
	s_cbranch_vccnz .LBB61_379
; %bb.378:
	scratch_load_b32 v128, v7, off
	ds_load_b32 v129, v1
	s_wait_loadcnt_dscnt 0x0
	v_mul_f32_e32 v128, v128, v129
	s_cbranch_execz .LBB61_380
	s_branch .LBB61_381
.LBB61_379:
                                        ; implicit-def: $vgpr128
.LBB61_380:
	ds_load_b32 v128, v1
.LBB61_381:
	s_and_saveexec_b32 s11, s1
	s_cbranch_execz .LBB61_385
; %bb.382:
	v_subrev_nc_u32_e32 v129, 23, v0
	s_movk_i32 s1, 0x5c
	s_movk_i32 s13, 0x15c
	s_mov_b32 s12, 0
.LBB61_383:                             ; =>This Inner Loop Header: Depth=1
	scratch_load_b32 v130, off, s1
	v_dual_mov_b32 v131, s13 :: v_dual_add_nc_u32 v129, -1, v129
	s_add_co_i32 s13, s13, 4
	s_wait_xcnt 0x0
	s_add_co_i32 s1, s1, 4
	ds_load_b32 v131, v131
	v_cmp_eq_u32_e32 vcc_lo, 0, v129
	s_or_b32 s12, vcc_lo, s12
	s_wait_loadcnt_dscnt 0x0
	v_fmac_f32_e32 v128, v130, v131
	s_and_not1_b32 exec_lo, exec_lo, s12
	s_cbranch_execnz .LBB61_383
; %bb.384:
	s_or_b32 exec_lo, exec_lo, s12
.LBB61_385:
	s_delay_alu instid0(SALU_CYCLE_1)
	s_or_b32 exec_lo, exec_lo, s11
	v_mov_b32_e32 v129, 0
	ds_load_b32 v129, v129 offset:88
	s_wait_dscnt 0x0
	v_mul_f32_e32 v128, v128, v129
	scratch_store_b32 off, v128, off offset:88
.LBB61_386:
	s_wait_xcnt 0x0
	s_or_b32 exec_lo, exec_lo, s10
	scratch_load_b32 v128, off, off offset:84
	v_cmp_lt_u32_e64 s1, 21, v0
	s_wait_loadcnt 0x0
	ds_store_b32 v1, v128
	s_wait_storecnt_dscnt 0x0
	s_barrier_signal -1
	s_barrier_wait -1
	s_wait_xcnt 0x0
	s_and_saveexec_b32 s10, s1
	s_cbranch_execz .LBB61_396
; %bb.387:
	s_and_not1_b32 vcc_lo, exec_lo, s3
	s_cbranch_vccnz .LBB61_389
; %bb.388:
	scratch_load_b32 v128, v7, off
	ds_load_b32 v129, v1
	s_wait_loadcnt_dscnt 0x0
	v_mul_f32_e32 v128, v128, v129
	s_cbranch_execz .LBB61_390
	s_branch .LBB61_391
.LBB61_389:
                                        ; implicit-def: $vgpr128
.LBB61_390:
	ds_load_b32 v128, v1
.LBB61_391:
	s_and_saveexec_b32 s11, s0
	s_cbranch_execz .LBB61_395
; %bb.392:
	v_subrev_nc_u32_e32 v129, 22, v0
	s_movk_i32 s0, 0x58
	s_movk_i32 s13, 0x158
	s_mov_b32 s12, 0
.LBB61_393:                             ; =>This Inner Loop Header: Depth=1
	scratch_load_b32 v130, off, s0
	v_dual_mov_b32 v131, s13 :: v_dual_add_nc_u32 v129, -1, v129
	s_add_co_i32 s13, s13, 4
	s_wait_xcnt 0x0
	s_add_co_i32 s0, s0, 4
	ds_load_b32 v131, v131
	v_cmp_eq_u32_e32 vcc_lo, 0, v129
	s_or_b32 s12, vcc_lo, s12
	s_wait_loadcnt_dscnt 0x0
	v_fmac_f32_e32 v128, v130, v131
	s_and_not1_b32 exec_lo, exec_lo, s12
	s_cbranch_execnz .LBB61_393
; %bb.394:
	s_or_b32 exec_lo, exec_lo, s12
.LBB61_395:
	s_delay_alu instid0(SALU_CYCLE_1)
	s_or_b32 exec_lo, exec_lo, s11
	v_mov_b32_e32 v129, 0
	ds_load_b32 v129, v129 offset:84
	s_wait_dscnt 0x0
	v_mul_f32_e32 v128, v128, v129
	scratch_store_b32 off, v128, off offset:84
.LBB61_396:
	;; [unrolled: 58-line block ×3, first 2 shown]
	s_wait_xcnt 0x0
	s_or_b32 exec_lo, exec_lo, s10
	scratch_load_b32 v128, off, off offset:76
	v_cmp_lt_u32_e64 s1, 19, v0
	s_wait_loadcnt 0x0
	ds_store_b32 v1, v128
	s_wait_storecnt_dscnt 0x0
	s_barrier_signal -1
	s_barrier_wait -1
	s_wait_xcnt 0x0
	s_and_saveexec_b32 s10, s1
	s_cbranch_execz .LBB61_416
; %bb.407:
	s_and_not1_b32 vcc_lo, exec_lo, s3
	s_cbranch_vccnz .LBB61_409
; %bb.408:
	scratch_load_b32 v128, v7, off
	ds_load_b32 v129, v1
	s_wait_loadcnt_dscnt 0x0
	v_mul_f32_e32 v128, v128, v129
	s_cbranch_execz .LBB61_410
	s_branch .LBB61_411
.LBB61_409:
                                        ; implicit-def: $vgpr128
.LBB61_410:
	ds_load_b32 v128, v1
.LBB61_411:
	s_and_saveexec_b32 s11, s0
	s_cbranch_execz .LBB61_415
; %bb.412:
	v_subrev_nc_u32_e32 v129, 20, v0
	s_movk_i32 s12, 0x150
	s_mov_b32 s0, 0
.LBB61_413:                             ; =>This Inner Loop Header: Depth=1
	scratch_load_b32 v130, off, s9
	v_dual_mov_b32 v131, s12 :: v_dual_add_nc_u32 v129, -1, v129
	s_add_co_i32 s12, s12, 4
	s_wait_xcnt 0x0
	s_add_co_i32 s9, s9, 4
	ds_load_b32 v131, v131
	v_cmp_eq_u32_e32 vcc_lo, 0, v129
	s_or_b32 s0, vcc_lo, s0
	s_wait_loadcnt_dscnt 0x0
	v_fmac_f32_e32 v128, v130, v131
	s_and_not1_b32 exec_lo, exec_lo, s0
	s_cbranch_execnz .LBB61_413
; %bb.414:
	s_or_b32 exec_lo, exec_lo, s0
.LBB61_415:
	s_delay_alu instid0(SALU_CYCLE_1)
	s_or_b32 exec_lo, exec_lo, s11
	v_mov_b32_e32 v129, 0
	ds_load_b32 v129, v129 offset:76
	s_wait_dscnt 0x0
	v_mul_f32_e32 v128, v128, v129
	scratch_store_b32 off, v128, off offset:76
.LBB61_416:
	s_wait_xcnt 0x0
	s_or_b32 exec_lo, exec_lo, s10
	scratch_load_b32 v128, off, off offset:72
	v_cmp_lt_u32_e64 s0, 18, v0
	s_wait_loadcnt 0x0
	ds_store_b32 v1, v128
	s_wait_storecnt_dscnt 0x0
	s_barrier_signal -1
	s_barrier_wait -1
	s_wait_xcnt 0x0
	s_and_saveexec_b32 s9, s0
	s_cbranch_execz .LBB61_426
; %bb.417:
	s_and_not1_b32 vcc_lo, exec_lo, s3
	s_cbranch_vccnz .LBB61_419
; %bb.418:
	scratch_load_b32 v128, v7, off
	ds_load_b32 v129, v1
	s_wait_loadcnt_dscnt 0x0
	v_mul_f32_e32 v128, v128, v129
	s_cbranch_execz .LBB61_420
	s_branch .LBB61_421
.LBB61_419:
                                        ; implicit-def: $vgpr128
.LBB61_420:
	ds_load_b32 v128, v1
.LBB61_421:
	s_and_saveexec_b32 s10, s1
	s_cbranch_execz .LBB61_425
; %bb.422:
	v_subrev_nc_u32_e32 v129, 19, v0
	s_movk_i32 s1, 0x4c
	s_movk_i32 s12, 0x14c
	s_mov_b32 s11, 0
.LBB61_423:                             ; =>This Inner Loop Header: Depth=1
	scratch_load_b32 v130, off, s1
	v_dual_mov_b32 v131, s12 :: v_dual_add_nc_u32 v129, -1, v129
	s_add_co_i32 s12, s12, 4
	s_wait_xcnt 0x0
	s_add_co_i32 s1, s1, 4
	ds_load_b32 v131, v131
	v_cmp_eq_u32_e32 vcc_lo, 0, v129
	s_or_b32 s11, vcc_lo, s11
	s_wait_loadcnt_dscnt 0x0
	v_fmac_f32_e32 v128, v130, v131
	s_and_not1_b32 exec_lo, exec_lo, s11
	s_cbranch_execnz .LBB61_423
; %bb.424:
	s_or_b32 exec_lo, exec_lo, s11
.LBB61_425:
	s_delay_alu instid0(SALU_CYCLE_1)
	s_or_b32 exec_lo, exec_lo, s10
	v_mov_b32_e32 v129, 0
	ds_load_b32 v129, v129 offset:72
	s_wait_dscnt 0x0
	v_mul_f32_e32 v128, v128, v129
	scratch_store_b32 off, v128, off offset:72
.LBB61_426:
	s_wait_xcnt 0x0
	s_or_b32 exec_lo, exec_lo, s9
	scratch_load_b32 v128, off, off offset:68
	v_cmp_lt_u32_e64 s1, 17, v0
	s_wait_loadcnt 0x0
	ds_store_b32 v1, v128
	s_wait_storecnt_dscnt 0x0
	s_barrier_signal -1
	s_barrier_wait -1
	s_wait_xcnt 0x0
	s_and_saveexec_b32 s9, s1
	s_cbranch_execz .LBB61_436
; %bb.427:
	s_and_not1_b32 vcc_lo, exec_lo, s3
	s_cbranch_vccnz .LBB61_429
; %bb.428:
	scratch_load_b32 v128, v7, off
	ds_load_b32 v129, v1
	s_wait_loadcnt_dscnt 0x0
	v_mul_f32_e32 v128, v128, v129
	s_cbranch_execz .LBB61_430
	s_branch .LBB61_431
.LBB61_429:
                                        ; implicit-def: $vgpr128
.LBB61_430:
	ds_load_b32 v128, v1
.LBB61_431:
	s_and_saveexec_b32 s10, s0
	s_cbranch_execz .LBB61_435
; %bb.432:
	v_subrev_nc_u32_e32 v129, 18, v0
	s_movk_i32 s0, 0x48
	s_movk_i32 s12, 0x148
	s_mov_b32 s11, 0
.LBB61_433:                             ; =>This Inner Loop Header: Depth=1
	scratch_load_b32 v130, off, s0
	v_dual_mov_b32 v131, s12 :: v_dual_add_nc_u32 v129, -1, v129
	s_add_co_i32 s12, s12, 4
	s_wait_xcnt 0x0
	s_add_co_i32 s0, s0, 4
	ds_load_b32 v131, v131
	v_cmp_eq_u32_e32 vcc_lo, 0, v129
	s_or_b32 s11, vcc_lo, s11
	s_wait_loadcnt_dscnt 0x0
	v_fmac_f32_e32 v128, v130, v131
	s_and_not1_b32 exec_lo, exec_lo, s11
	s_cbranch_execnz .LBB61_433
; %bb.434:
	s_or_b32 exec_lo, exec_lo, s11
.LBB61_435:
	s_delay_alu instid0(SALU_CYCLE_1)
	s_or_b32 exec_lo, exec_lo, s10
	v_mov_b32_e32 v129, 0
	ds_load_b32 v129, v129 offset:68
	s_wait_dscnt 0x0
	v_mul_f32_e32 v128, v128, v129
	scratch_store_b32 off, v128, off offset:68
.LBB61_436:
	;; [unrolled: 58-line block ×3, first 2 shown]
	s_wait_xcnt 0x0
	s_or_b32 exec_lo, exec_lo, s9
	scratch_load_b32 v128, off, off offset:60
	v_cmp_lt_u32_e64 s1, 15, v0
	s_wait_loadcnt 0x0
	ds_store_b32 v1, v128
	s_wait_storecnt_dscnt 0x0
	s_barrier_signal -1
	s_barrier_wait -1
	s_wait_xcnt 0x0
	s_and_saveexec_b32 s9, s1
	s_cbranch_execz .LBB61_456
; %bb.447:
	s_and_not1_b32 vcc_lo, exec_lo, s3
	s_cbranch_vccnz .LBB61_449
; %bb.448:
	scratch_load_b32 v128, v7, off
	ds_load_b32 v129, v1
	s_wait_loadcnt_dscnt 0x0
	v_mul_f32_e32 v128, v128, v129
	s_cbranch_execz .LBB61_450
	s_branch .LBB61_451
.LBB61_449:
                                        ; implicit-def: $vgpr128
.LBB61_450:
	ds_load_b32 v128, v1
.LBB61_451:
	s_and_saveexec_b32 s10, s0
	s_cbranch_execz .LBB61_455
; %bb.452:
	v_add_nc_u32_e32 v129, -16, v0
	s_movk_i32 s11, 0x140
	s_mov_b32 s0, 0
.LBB61_453:                             ; =>This Inner Loop Header: Depth=1
	scratch_load_b32 v130, off, s8
	v_dual_mov_b32 v131, s11 :: v_dual_add_nc_u32 v129, -1, v129
	s_add_co_i32 s11, s11, 4
	s_wait_xcnt 0x0
	s_add_co_i32 s8, s8, 4
	ds_load_b32 v131, v131
	v_cmp_eq_u32_e32 vcc_lo, 0, v129
	s_or_b32 s0, vcc_lo, s0
	s_wait_loadcnt_dscnt 0x0
	v_fmac_f32_e32 v128, v130, v131
	s_and_not1_b32 exec_lo, exec_lo, s0
	s_cbranch_execnz .LBB61_453
; %bb.454:
	s_or_b32 exec_lo, exec_lo, s0
.LBB61_455:
	s_delay_alu instid0(SALU_CYCLE_1)
	s_or_b32 exec_lo, exec_lo, s10
	v_mov_b32_e32 v129, 0
	ds_load_b32 v129, v129 offset:60
	s_wait_dscnt 0x0
	v_mul_f32_e32 v128, v128, v129
	scratch_store_b32 off, v128, off offset:60
.LBB61_456:
	s_wait_xcnt 0x0
	s_or_b32 exec_lo, exec_lo, s9
	scratch_load_b32 v128, off, off offset:56
	v_cmp_lt_u32_e64 s0, 14, v0
	s_wait_loadcnt 0x0
	ds_store_b32 v1, v128
	s_wait_storecnt_dscnt 0x0
	s_barrier_signal -1
	s_barrier_wait -1
	s_wait_xcnt 0x0
	s_and_saveexec_b32 s8, s0
	s_cbranch_execz .LBB61_466
; %bb.457:
	s_and_not1_b32 vcc_lo, exec_lo, s3
	s_cbranch_vccnz .LBB61_459
; %bb.458:
	scratch_load_b32 v128, v7, off
	ds_load_b32 v129, v1
	s_wait_loadcnt_dscnt 0x0
	v_mul_f32_e32 v128, v128, v129
	s_cbranch_execz .LBB61_460
	s_branch .LBB61_461
.LBB61_459:
                                        ; implicit-def: $vgpr128
.LBB61_460:
	ds_load_b32 v128, v1
.LBB61_461:
	s_and_saveexec_b32 s9, s1
	s_cbranch_execz .LBB61_465
; %bb.462:
	v_add_nc_u32_e32 v129, -15, v0
	s_mov_b32 s1, 60
	s_movk_i32 s11, 0x13c
	s_mov_b32 s10, 0
.LBB61_463:                             ; =>This Inner Loop Header: Depth=1
	scratch_load_b32 v130, off, s1
	v_dual_mov_b32 v131, s11 :: v_dual_add_nc_u32 v129, -1, v129
	s_add_co_i32 s11, s11, 4
	s_wait_xcnt 0x0
	s_add_co_i32 s1, s1, 4
	ds_load_b32 v131, v131
	v_cmp_eq_u32_e32 vcc_lo, 0, v129
	s_or_b32 s10, vcc_lo, s10
	s_wait_loadcnt_dscnt 0x0
	v_fmac_f32_e32 v128, v130, v131
	s_and_not1_b32 exec_lo, exec_lo, s10
	s_cbranch_execnz .LBB61_463
; %bb.464:
	s_or_b32 exec_lo, exec_lo, s10
.LBB61_465:
	s_delay_alu instid0(SALU_CYCLE_1)
	s_or_b32 exec_lo, exec_lo, s9
	v_mov_b32_e32 v129, 0
	ds_load_b32 v129, v129 offset:56
	s_wait_dscnt 0x0
	v_mul_f32_e32 v128, v128, v129
	scratch_store_b32 off, v128, off offset:56
.LBB61_466:
	s_wait_xcnt 0x0
	s_or_b32 exec_lo, exec_lo, s8
	scratch_load_b32 v128, off, off offset:52
	v_cmp_lt_u32_e64 s1, 13, v0
	s_wait_loadcnt 0x0
	ds_store_b32 v1, v128
	s_wait_storecnt_dscnt 0x0
	s_barrier_signal -1
	s_barrier_wait -1
	s_wait_xcnt 0x0
	s_and_saveexec_b32 s8, s1
	s_cbranch_execz .LBB61_476
; %bb.467:
	s_and_not1_b32 vcc_lo, exec_lo, s3
	s_cbranch_vccnz .LBB61_469
; %bb.468:
	scratch_load_b32 v128, v7, off
	ds_load_b32 v129, v1
	s_wait_loadcnt_dscnt 0x0
	v_mul_f32_e32 v128, v128, v129
	s_cbranch_execz .LBB61_470
	s_branch .LBB61_471
.LBB61_469:
                                        ; implicit-def: $vgpr128
.LBB61_470:
	ds_load_b32 v128, v1
.LBB61_471:
	s_and_saveexec_b32 s9, s0
	s_cbranch_execz .LBB61_475
; %bb.472:
	v_add_nc_u32_e32 v129, -14, v0
	s_mov_b32 s0, 56
	s_movk_i32 s11, 0x138
	s_mov_b32 s10, 0
.LBB61_473:                             ; =>This Inner Loop Header: Depth=1
	scratch_load_b32 v130, off, s0
	v_dual_mov_b32 v131, s11 :: v_dual_add_nc_u32 v129, -1, v129
	s_add_co_i32 s11, s11, 4
	s_wait_xcnt 0x0
	s_add_co_i32 s0, s0, 4
	ds_load_b32 v131, v131
	v_cmp_eq_u32_e32 vcc_lo, 0, v129
	s_or_b32 s10, vcc_lo, s10
	s_wait_loadcnt_dscnt 0x0
	v_fmac_f32_e32 v128, v130, v131
	s_and_not1_b32 exec_lo, exec_lo, s10
	s_cbranch_execnz .LBB61_473
; %bb.474:
	s_or_b32 exec_lo, exec_lo, s10
.LBB61_475:
	s_delay_alu instid0(SALU_CYCLE_1)
	s_or_b32 exec_lo, exec_lo, s9
	v_mov_b32_e32 v129, 0
	ds_load_b32 v129, v129 offset:52
	s_wait_dscnt 0x0
	v_mul_f32_e32 v128, v128, v129
	scratch_store_b32 off, v128, off offset:52
.LBB61_476:
	;; [unrolled: 58-line block ×3, first 2 shown]
	s_wait_xcnt 0x0
	s_or_b32 exec_lo, exec_lo, s8
	scratch_load_b32 v128, off, off offset:44
	v_cmp_lt_u32_e64 s1, 11, v0
	s_wait_loadcnt 0x0
	ds_store_b32 v1, v128
	s_wait_storecnt_dscnt 0x0
	s_barrier_signal -1
	s_barrier_wait -1
	s_wait_xcnt 0x0
	s_and_saveexec_b32 s8, s1
	s_cbranch_execz .LBB61_496
; %bb.487:
	s_and_not1_b32 vcc_lo, exec_lo, s3
	s_cbranch_vccnz .LBB61_489
; %bb.488:
	scratch_load_b32 v128, v7, off
	ds_load_b32 v129, v1
	s_wait_loadcnt_dscnt 0x0
	v_mul_f32_e32 v128, v128, v129
	s_cbranch_execz .LBB61_490
	s_branch .LBB61_491
.LBB61_489:
                                        ; implicit-def: $vgpr128
.LBB61_490:
	ds_load_b32 v128, v1
.LBB61_491:
	s_and_saveexec_b32 s9, s0
	s_cbranch_execz .LBB61_495
; %bb.492:
	v_add_nc_u32_e32 v129, -12, v0
	s_movk_i32 s10, 0x130
	s_mov_b32 s0, 0
.LBB61_493:                             ; =>This Inner Loop Header: Depth=1
	scratch_load_b32 v130, off, s5
	v_dual_mov_b32 v131, s10 :: v_dual_add_nc_u32 v129, -1, v129
	s_add_co_i32 s10, s10, 4
	s_wait_xcnt 0x0
	s_add_co_i32 s5, s5, 4
	ds_load_b32 v131, v131
	v_cmp_eq_u32_e32 vcc_lo, 0, v129
	s_or_b32 s0, vcc_lo, s0
	s_wait_loadcnt_dscnt 0x0
	v_fmac_f32_e32 v128, v130, v131
	s_and_not1_b32 exec_lo, exec_lo, s0
	s_cbranch_execnz .LBB61_493
; %bb.494:
	s_or_b32 exec_lo, exec_lo, s0
.LBB61_495:
	s_delay_alu instid0(SALU_CYCLE_1)
	s_or_b32 exec_lo, exec_lo, s9
	v_mov_b32_e32 v129, 0
	ds_load_b32 v129, v129 offset:44
	s_wait_dscnt 0x0
	v_mul_f32_e32 v128, v128, v129
	scratch_store_b32 off, v128, off offset:44
.LBB61_496:
	s_wait_xcnt 0x0
	s_or_b32 exec_lo, exec_lo, s8
	scratch_load_b32 v128, off, off offset:40
	v_cmp_lt_u32_e64 s0, 10, v0
	s_wait_loadcnt 0x0
	ds_store_b32 v1, v128
	s_wait_storecnt_dscnt 0x0
	s_barrier_signal -1
	s_barrier_wait -1
	s_wait_xcnt 0x0
	s_and_saveexec_b32 s5, s0
	s_cbranch_execz .LBB61_506
; %bb.497:
	s_and_not1_b32 vcc_lo, exec_lo, s3
	s_cbranch_vccnz .LBB61_499
; %bb.498:
	scratch_load_b32 v128, v7, off
	ds_load_b32 v129, v1
	s_wait_loadcnt_dscnt 0x0
	v_mul_f32_e32 v128, v128, v129
	s_cbranch_execz .LBB61_500
	s_branch .LBB61_501
.LBB61_499:
                                        ; implicit-def: $vgpr128
.LBB61_500:
	ds_load_b32 v128, v1
.LBB61_501:
	s_and_saveexec_b32 s8, s1
	s_cbranch_execz .LBB61_505
; %bb.502:
	v_add_nc_u32_e32 v129, -11, v0
	s_mov_b32 s1, 44
	s_movk_i32 s10, 0x12c
	s_mov_b32 s9, 0
.LBB61_503:                             ; =>This Inner Loop Header: Depth=1
	scratch_load_b32 v130, off, s1
	v_dual_mov_b32 v131, s10 :: v_dual_add_nc_u32 v129, -1, v129
	s_add_co_i32 s10, s10, 4
	s_wait_xcnt 0x0
	s_add_co_i32 s1, s1, 4
	ds_load_b32 v131, v131
	v_cmp_eq_u32_e32 vcc_lo, 0, v129
	s_or_b32 s9, vcc_lo, s9
	s_wait_loadcnt_dscnt 0x0
	v_fmac_f32_e32 v128, v130, v131
	s_and_not1_b32 exec_lo, exec_lo, s9
	s_cbranch_execnz .LBB61_503
; %bb.504:
	s_or_b32 exec_lo, exec_lo, s9
.LBB61_505:
	s_delay_alu instid0(SALU_CYCLE_1)
	s_or_b32 exec_lo, exec_lo, s8
	v_mov_b32_e32 v129, 0
	ds_load_b32 v129, v129 offset:40
	s_wait_dscnt 0x0
	v_mul_f32_e32 v128, v128, v129
	scratch_store_b32 off, v128, off offset:40
.LBB61_506:
	s_wait_xcnt 0x0
	s_or_b32 exec_lo, exec_lo, s5
	scratch_load_b32 v128, off, off offset:36
	v_cmp_lt_u32_e64 s1, 9, v0
	s_wait_loadcnt 0x0
	ds_store_b32 v1, v128
	s_wait_storecnt_dscnt 0x0
	s_barrier_signal -1
	s_barrier_wait -1
	s_wait_xcnt 0x0
	s_and_saveexec_b32 s5, s1
	s_cbranch_execz .LBB61_516
; %bb.507:
	s_and_not1_b32 vcc_lo, exec_lo, s3
	s_cbranch_vccnz .LBB61_509
; %bb.508:
	scratch_load_b32 v128, v7, off
	ds_load_b32 v129, v1
	s_wait_loadcnt_dscnt 0x0
	v_mul_f32_e32 v128, v128, v129
	s_cbranch_execz .LBB61_510
	s_branch .LBB61_511
.LBB61_509:
                                        ; implicit-def: $vgpr128
.LBB61_510:
	ds_load_b32 v128, v1
.LBB61_511:
	s_and_saveexec_b32 s8, s0
	s_cbranch_execz .LBB61_515
; %bb.512:
	v_add_nc_u32_e32 v129, -10, v0
	s_mov_b32 s0, 40
	s_movk_i32 s10, 0x128
	s_mov_b32 s9, 0
.LBB61_513:                             ; =>This Inner Loop Header: Depth=1
	scratch_load_b32 v130, off, s0
	v_dual_mov_b32 v131, s10 :: v_dual_add_nc_u32 v129, -1, v129
	s_add_co_i32 s10, s10, 4
	s_wait_xcnt 0x0
	s_add_co_i32 s0, s0, 4
	ds_load_b32 v131, v131
	v_cmp_eq_u32_e32 vcc_lo, 0, v129
	s_or_b32 s9, vcc_lo, s9
	s_wait_loadcnt_dscnt 0x0
	v_fmac_f32_e32 v128, v130, v131
	s_and_not1_b32 exec_lo, exec_lo, s9
	s_cbranch_execnz .LBB61_513
; %bb.514:
	s_or_b32 exec_lo, exec_lo, s9
.LBB61_515:
	s_delay_alu instid0(SALU_CYCLE_1)
	s_or_b32 exec_lo, exec_lo, s8
	v_mov_b32_e32 v129, 0
	ds_load_b32 v129, v129 offset:36
	s_wait_dscnt 0x0
	v_mul_f32_e32 v128, v128, v129
	scratch_store_b32 off, v128, off offset:36
.LBB61_516:
	;; [unrolled: 58-line block ×3, first 2 shown]
	s_wait_xcnt 0x0
	s_or_b32 exec_lo, exec_lo, s5
	scratch_load_b32 v128, off, off offset:28
	v_cmp_lt_u32_e64 s1, 7, v0
	s_wait_loadcnt 0x0
	ds_store_b32 v1, v128
	s_wait_storecnt_dscnt 0x0
	s_barrier_signal -1
	s_barrier_wait -1
	s_wait_xcnt 0x0
	s_and_saveexec_b32 s5, s1
	s_cbranch_execz .LBB61_536
; %bb.527:
	s_and_not1_b32 vcc_lo, exec_lo, s3
	s_cbranch_vccnz .LBB61_529
; %bb.528:
	scratch_load_b32 v128, v7, off
	ds_load_b32 v129, v1
	s_wait_loadcnt_dscnt 0x0
	v_mul_f32_e32 v128, v128, v129
	s_cbranch_execz .LBB61_530
	s_branch .LBB61_531
.LBB61_529:
                                        ; implicit-def: $vgpr128
.LBB61_530:
	ds_load_b32 v128, v1
.LBB61_531:
	s_and_saveexec_b32 s8, s0
	s_cbranch_execz .LBB61_535
; %bb.532:
	v_add_nc_u32_e32 v129, -8, v0
	s_movk_i32 s9, 0x120
	s_mov_b32 s0, 0
.LBB61_533:                             ; =>This Inner Loop Header: Depth=1
	scratch_load_b32 v130, off, s2
	v_dual_mov_b32 v131, s9 :: v_dual_add_nc_u32 v129, -1, v129
	s_add_co_i32 s9, s9, 4
	s_wait_xcnt 0x0
	s_add_co_i32 s2, s2, 4
	ds_load_b32 v131, v131
	v_cmp_eq_u32_e32 vcc_lo, 0, v129
	s_or_b32 s0, vcc_lo, s0
	s_wait_loadcnt_dscnt 0x0
	v_fmac_f32_e32 v128, v130, v131
	s_and_not1_b32 exec_lo, exec_lo, s0
	s_cbranch_execnz .LBB61_533
; %bb.534:
	s_or_b32 exec_lo, exec_lo, s0
.LBB61_535:
	s_delay_alu instid0(SALU_CYCLE_1)
	s_or_b32 exec_lo, exec_lo, s8
	v_mov_b32_e32 v129, 0
	ds_load_b32 v129, v129 offset:28
	s_wait_dscnt 0x0
	v_mul_f32_e32 v128, v128, v129
	scratch_store_b32 off, v128, off offset:28
.LBB61_536:
	s_wait_xcnt 0x0
	s_or_b32 exec_lo, exec_lo, s5
	scratch_load_b32 v128, off, off offset:24
	v_cmp_lt_u32_e64 s0, 6, v0
	s_wait_loadcnt 0x0
	ds_store_b32 v1, v128
	s_wait_storecnt_dscnt 0x0
	s_barrier_signal -1
	s_barrier_wait -1
	s_wait_xcnt 0x0
	s_and_saveexec_b32 s2, s0
	s_cbranch_execz .LBB61_546
; %bb.537:
	s_and_not1_b32 vcc_lo, exec_lo, s3
	s_cbranch_vccnz .LBB61_539
; %bb.538:
	scratch_load_b32 v128, v7, off
	ds_load_b32 v129, v1
	s_wait_loadcnt_dscnt 0x0
	v_mul_f32_e32 v128, v128, v129
	s_cbranch_execz .LBB61_540
	s_branch .LBB61_541
.LBB61_539:
                                        ; implicit-def: $vgpr128
.LBB61_540:
	ds_load_b32 v128, v1
.LBB61_541:
	s_and_saveexec_b32 s5, s1
	s_cbranch_execz .LBB61_545
; %bb.542:
	v_add_nc_u32_e32 v129, -7, v0
	s_mov_b32 s1, 28
	s_movk_i32 s9, 0x11c
	s_mov_b32 s8, 0
.LBB61_543:                             ; =>This Inner Loop Header: Depth=1
	scratch_load_b32 v130, off, s1
	v_dual_mov_b32 v131, s9 :: v_dual_add_nc_u32 v129, -1, v129
	s_add_co_i32 s9, s9, 4
	s_wait_xcnt 0x0
	s_add_co_i32 s1, s1, 4
	ds_load_b32 v131, v131
	v_cmp_eq_u32_e32 vcc_lo, 0, v129
	s_or_b32 s8, vcc_lo, s8
	s_wait_loadcnt_dscnt 0x0
	v_fmac_f32_e32 v128, v130, v131
	s_and_not1_b32 exec_lo, exec_lo, s8
	s_cbranch_execnz .LBB61_543
; %bb.544:
	s_or_b32 exec_lo, exec_lo, s8
.LBB61_545:
	s_delay_alu instid0(SALU_CYCLE_1)
	s_or_b32 exec_lo, exec_lo, s5
	v_mov_b32_e32 v129, 0
	ds_load_b32 v129, v129 offset:24
	s_wait_dscnt 0x0
	v_mul_f32_e32 v128, v128, v129
	scratch_store_b32 off, v128, off offset:24
.LBB61_546:
	s_wait_xcnt 0x0
	s_or_b32 exec_lo, exec_lo, s2
	scratch_load_b32 v128, off, off offset:20
	v_cmp_lt_u32_e64 s1, 5, v0
	s_wait_loadcnt 0x0
	ds_store_b32 v1, v128
	s_wait_storecnt_dscnt 0x0
	s_barrier_signal -1
	s_barrier_wait -1
	s_wait_xcnt 0x0
	s_and_saveexec_b32 s2, s1
	s_cbranch_execz .LBB61_556
; %bb.547:
	s_and_not1_b32 vcc_lo, exec_lo, s3
	s_cbranch_vccnz .LBB61_549
; %bb.548:
	scratch_load_b32 v128, v7, off
	ds_load_b32 v129, v1
	s_wait_loadcnt_dscnt 0x0
	v_mul_f32_e32 v128, v128, v129
	s_cbranch_execz .LBB61_550
	s_branch .LBB61_551
.LBB61_549:
                                        ; implicit-def: $vgpr128
.LBB61_550:
	ds_load_b32 v128, v1
.LBB61_551:
	s_and_saveexec_b32 s5, s0
	s_cbranch_execz .LBB61_555
; %bb.552:
	v_add_nc_u32_e32 v129, -6, v0
	s_mov_b32 s0, 24
	s_movk_i32 s9, 0x118
	s_mov_b32 s8, 0
.LBB61_553:                             ; =>This Inner Loop Header: Depth=1
	scratch_load_b32 v130, off, s0
	v_dual_mov_b32 v131, s9 :: v_dual_add_nc_u32 v129, -1, v129
	s_add_co_i32 s9, s9, 4
	s_wait_xcnt 0x0
	s_add_co_i32 s0, s0, 4
	ds_load_b32 v131, v131
	v_cmp_eq_u32_e32 vcc_lo, 0, v129
	s_or_b32 s8, vcc_lo, s8
	s_wait_loadcnt_dscnt 0x0
	v_fmac_f32_e32 v128, v130, v131
	s_and_not1_b32 exec_lo, exec_lo, s8
	s_cbranch_execnz .LBB61_553
; %bb.554:
	s_or_b32 exec_lo, exec_lo, s8
.LBB61_555:
	s_delay_alu instid0(SALU_CYCLE_1)
	s_or_b32 exec_lo, exec_lo, s5
	v_mov_b32_e32 v129, 0
	ds_load_b32 v129, v129 offset:20
	s_wait_dscnt 0x0
	v_mul_f32_e32 v128, v128, v129
	scratch_store_b32 off, v128, off offset:20
.LBB61_556:
	;; [unrolled: 58-line block ×3, first 2 shown]
	s_wait_xcnt 0x0
	s_or_b32 exec_lo, exec_lo, s2
	scratch_load_b32 v128, off, off offset:12
	v_cmp_lt_u32_e64 s2, 3, v0
	s_wait_loadcnt 0x0
	ds_store_b32 v1, v128
	s_wait_storecnt_dscnt 0x0
	s_barrier_signal -1
	s_barrier_wait -1
	s_wait_xcnt 0x0
	s_and_saveexec_b32 s1, s2
	s_cbranch_execz .LBB61_576
; %bb.567:
	s_and_not1_b32 vcc_lo, exec_lo, s3
	s_cbranch_vccnz .LBB61_569
; %bb.568:
	scratch_load_b32 v128, v7, off
	ds_load_b32 v129, v1
	s_wait_loadcnt_dscnt 0x0
	v_mul_f32_e32 v128, v128, v129
	s_cbranch_execz .LBB61_570
	s_branch .LBB61_571
.LBB61_569:
                                        ; implicit-def: $vgpr128
.LBB61_570:
	ds_load_b32 v128, v1
.LBB61_571:
	s_and_saveexec_b32 s5, s0
	s_cbranch_execz .LBB61_575
; %bb.572:
	v_add_nc_u32_e32 v129, -4, v0
	s_movk_i32 s8, 0x110
	s_mov_b32 s0, 0
.LBB61_573:                             ; =>This Inner Loop Header: Depth=1
	scratch_load_b32 v130, off, s4
	v_dual_mov_b32 v131, s8 :: v_dual_add_nc_u32 v129, -1, v129
	s_add_co_i32 s8, s8, 4
	s_wait_xcnt 0x0
	s_add_co_i32 s4, s4, 4
	ds_load_b32 v131, v131
	v_cmp_eq_u32_e32 vcc_lo, 0, v129
	s_or_b32 s0, vcc_lo, s0
	s_wait_loadcnt_dscnt 0x0
	v_fmac_f32_e32 v128, v130, v131
	s_and_not1_b32 exec_lo, exec_lo, s0
	s_cbranch_execnz .LBB61_573
; %bb.574:
	s_or_b32 exec_lo, exec_lo, s0
.LBB61_575:
	s_delay_alu instid0(SALU_CYCLE_1)
	s_or_b32 exec_lo, exec_lo, s5
	v_mov_b32_e32 v129, 0
	ds_load_b32 v129, v129 offset:12
	s_wait_dscnt 0x0
	v_mul_f32_e32 v128, v128, v129
	scratch_store_b32 off, v128, off offset:12
.LBB61_576:
	s_wait_xcnt 0x0
	s_or_b32 exec_lo, exec_lo, s1
	scratch_load_b32 v128, off, off offset:8
	v_cmp_lt_u32_e64 s1, 2, v0
	s_wait_loadcnt 0x0
	ds_store_b32 v1, v128
	s_wait_storecnt_dscnt 0x0
	s_barrier_signal -1
	s_barrier_wait -1
	s_wait_xcnt 0x0
	s_and_saveexec_b32 s0, s1
	s_cbranch_execz .LBB61_586
; %bb.577:
	s_and_not1_b32 vcc_lo, exec_lo, s3
	s_cbranch_vccnz .LBB61_579
; %bb.578:
	scratch_load_b32 v128, v7, off
	ds_load_b32 v129, v1
	s_wait_loadcnt_dscnt 0x0
	v_mul_f32_e32 v128, v128, v129
	s_cbranch_execz .LBB61_580
	s_branch .LBB61_581
.LBB61_579:
                                        ; implicit-def: $vgpr128
.LBB61_580:
	ds_load_b32 v128, v1
.LBB61_581:
	s_and_saveexec_b32 s4, s2
	s_cbranch_execz .LBB61_585
; %bb.582:
	v_add_nc_u32_e32 v129, -3, v0
	s_or_b32 s2, 0, 12
	s_movk_i32 s8, 0x10c
	s_mov_b32 s5, 0
.LBB61_583:                             ; =>This Inner Loop Header: Depth=1
	scratch_load_b32 v130, off, s2
	v_dual_mov_b32 v131, s8 :: v_dual_add_nc_u32 v129, -1, v129
	s_add_co_i32 s8, s8, 4
	s_wait_xcnt 0x0
	s_add_co_i32 s2, s2, 4
	ds_load_b32 v131, v131
	v_cmp_eq_u32_e32 vcc_lo, 0, v129
	s_or_b32 s5, vcc_lo, s5
	s_wait_loadcnt_dscnt 0x0
	v_fmac_f32_e32 v128, v130, v131
	s_and_not1_b32 exec_lo, exec_lo, s5
	s_cbranch_execnz .LBB61_583
; %bb.584:
	s_or_b32 exec_lo, exec_lo, s5
.LBB61_585:
	s_delay_alu instid0(SALU_CYCLE_1)
	s_or_b32 exec_lo, exec_lo, s4
	v_mov_b32_e32 v129, 0
	ds_load_b32 v129, v129 offset:8
	s_wait_dscnt 0x0
	v_mul_f32_e32 v128, v128, v129
	scratch_store_b32 off, v128, off offset:8
.LBB61_586:
	s_wait_xcnt 0x0
	s_or_b32 exec_lo, exec_lo, s0
	scratch_load_b32 v128, off, off offset:4
	v_cmp_lt_u32_e64 s0, 1, v0
	s_wait_loadcnt 0x0
	ds_store_b32 v1, v128
	s_wait_storecnt_dscnt 0x0
	s_barrier_signal -1
	s_barrier_wait -1
	s_wait_xcnt 0x0
	s_and_saveexec_b32 s2, s0
	s_cbranch_execz .LBB61_596
; %bb.587:
	s_and_not1_b32 vcc_lo, exec_lo, s3
	s_cbranch_vccnz .LBB61_589
; %bb.588:
	scratch_load_b32 v128, v7, off
	ds_load_b32 v129, v1
	s_wait_loadcnt_dscnt 0x0
	v_mul_f32_e32 v128, v128, v129
	s_cbranch_execz .LBB61_590
	s_branch .LBB61_591
.LBB61_589:
                                        ; implicit-def: $vgpr128
.LBB61_590:
	ds_load_b32 v128, v1
.LBB61_591:
	s_and_saveexec_b32 s4, s1
	s_cbranch_execz .LBB61_595
; %bb.592:
	v_add_nc_u32_e32 v129, -2, v0
	s_or_b32 s1, 0, 8
	s_movk_i32 s8, 0x108
	s_mov_b32 s5, 0
.LBB61_593:                             ; =>This Inner Loop Header: Depth=1
	scratch_load_b32 v130, off, s1
	v_dual_mov_b32 v131, s8 :: v_dual_add_nc_u32 v129, -1, v129
	s_add_co_i32 s8, s8, 4
	s_wait_xcnt 0x0
	s_add_co_i32 s1, s1, 4
	ds_load_b32 v131, v131
	v_cmp_eq_u32_e32 vcc_lo, 0, v129
	s_or_b32 s5, vcc_lo, s5
	s_wait_loadcnt_dscnt 0x0
	v_fmac_f32_e32 v128, v130, v131
	s_and_not1_b32 exec_lo, exec_lo, s5
	s_cbranch_execnz .LBB61_593
; %bb.594:
	s_or_b32 exec_lo, exec_lo, s5
.LBB61_595:
	s_delay_alu instid0(SALU_CYCLE_1)
	s_or_b32 exec_lo, exec_lo, s4
	v_mov_b32_e32 v129, 0
	ds_load_b32 v129, v129 offset:4
	s_wait_dscnt 0x0
	v_mul_f32_e32 v128, v128, v129
	scratch_store_b32 off, v128, off offset:4
.LBB61_596:
	s_wait_xcnt 0x0
	s_or_b32 exec_lo, exec_lo, s2
	scratch_load_b32 v128, off, off
	s_mov_b32 s1, 0
	s_mov_b32 s2, exec_lo
	s_wait_loadcnt 0x0
	ds_store_b32 v1, v128
	s_wait_storecnt_dscnt 0x0
	s_barrier_signal -1
	s_barrier_wait -1
	s_wait_xcnt 0x0
	v_cmpx_ne_u32_e32 0, v0
	s_cbranch_execz .LBB61_606
; %bb.597:
	s_and_not1_b32 vcc_lo, exec_lo, s3
	s_cbranch_vccnz .LBB61_599
; %bb.598:
	scratch_load_b32 v128, v7, off
	ds_load_b32 v129, v1
	s_wait_loadcnt_dscnt 0x0
	v_mul_f32_e32 v128, v128, v129
	s_cbranch_execz .LBB61_600
	s_branch .LBB61_601
.LBB61_599:
                                        ; implicit-def: $vgpr128
.LBB61_600:
	ds_load_b32 v128, v1
.LBB61_601:
	s_and_saveexec_b32 s4, s0
	s_cbranch_execz .LBB61_605
; %bb.602:
	v_add_nc_u32_e32 v129, -1, v0
	s_or_b32 s0, 0, 4
	s_movk_i32 s8, 0x104
	s_mov_b32 s5, 0
.LBB61_603:                             ; =>This Inner Loop Header: Depth=1
	scratch_load_b32 v130, off, s0
	v_dual_mov_b32 v131, s8 :: v_dual_add_nc_u32 v129, -1, v129
	s_add_co_i32 s8, s8, 4
	s_wait_xcnt 0x0
	s_add_co_i32 s0, s0, 4
	ds_load_b32 v131, v131
	v_cmp_eq_u32_e32 vcc_lo, 0, v129
	s_or_b32 s5, vcc_lo, s5
	s_wait_loadcnt_dscnt 0x0
	v_fmac_f32_e32 v128, v130, v131
	s_and_not1_b32 exec_lo, exec_lo, s5
	s_cbranch_execnz .LBB61_603
; %bb.604:
	s_or_b32 exec_lo, exec_lo, s5
.LBB61_605:
	s_delay_alu instid0(SALU_CYCLE_1)
	s_or_b32 exec_lo, exec_lo, s4
	v_mov_b32_e32 v129, 0
	ds_load_b32 v129, v129
	s_wait_dscnt 0x0
	v_mul_f32_e32 v128, v128, v129
	scratch_store_b32 off, v128, off
.LBB61_606:
	s_wait_xcnt 0x0
	s_or_b32 exec_lo, exec_lo, s2
.LBB61_607:
	v_lshl_add_u64 v[152:153], v[8:9], 2, s[6:7]
	v_lshl_add_u64 v[154:155], v[10:11], 2, s[6:7]
	v_lshl_add_u64 v[148:149], v[12:13], 2, s[6:7]
	v_lshl_add_u64 v[150:151], v[14:15], 2, s[6:7]
	v_lshl_add_u64 v[144:145], v[16:17], 2, s[6:7]
	v_lshl_add_u64 v[146:147], v[18:19], 2, s[6:7]
	v_lshl_add_u64 v[140:141], v[20:21], 2, s[6:7]
	v_lshl_add_u64 v[142:143], v[22:23], 2, s[6:7]
	v_lshl_add_u64 v[136:137], v[24:25], 2, s[6:7]
	v_lshl_add_u64 v[138:139], v[26:27], 2, s[6:7]
	v_lshl_add_u64 v[132:133], v[28:29], 2, s[6:7]
	v_lshl_add_u64 v[134:135], v[30:31], 2, s[6:7]
	v_lshl_add_u64 v[128:129], v[32:33], 2, s[6:7]
	v_lshl_add_u64 v[130:131], v[34:35], 2, s[6:7]
	v_lshl_add_u64 v[8:9], v[36:37], 2, s[6:7]
	v_lshl_add_u64 v[10:11], v[38:39], 2, s[6:7]
	v_lshl_add_u64 v[12:13], v[40:41], 2, s[6:7]
	v_lshl_add_u64 v[14:15], v[42:43], 2, s[6:7]
	v_lshl_add_u64 v[16:17], v[44:45], 2, s[6:7]
	v_lshl_add_u64 v[18:19], v[46:47], 2, s[6:7]
	v_lshl_add_u64 v[20:21], v[48:49], 2, s[6:7]
	v_lshl_add_u64 v[22:23], v[50:51], 2, s[6:7]
	v_lshl_add_u64 v[24:25], v[52:53], 2, s[6:7]
	v_lshl_add_u64 v[26:27], v[54:55], 2, s[6:7]
	v_lshl_add_u64 v[28:29], v[56:57], 2, s[6:7]
	v_lshl_add_u64 v[30:31], v[58:59], 2, s[6:7]
	v_lshl_add_u64 v[32:33], v[60:61], 2, s[6:7]
	v_lshl_add_u64 v[34:35], v[62:63], 2, s[6:7]
	v_lshl_add_u64 v[36:37], v[64:65], 2, s[6:7]
	v_lshl_add_u64 v[38:39], v[66:67], 2, s[6:7]
	v_lshl_add_u64 v[40:41], v[68:69], 2, s[6:7]
	v_lshl_add_u64 v[42:43], v[70:71], 2, s[6:7]
	v_lshl_add_u64 v[44:45], v[72:73], 2, s[6:7]
	v_lshl_add_u64 v[46:47], v[74:75], 2, s[6:7]
	v_lshl_add_u64 v[48:49], v[76:77], 2, s[6:7]
	v_lshl_add_u64 v[50:51], v[78:79], 2, s[6:7]
	v_lshl_add_u64 v[52:53], v[80:81], 2, s[6:7]
	v_lshl_add_u64 v[54:55], v[82:83], 2, s[6:7]
	v_lshl_add_u64 v[56:57], v[84:85], 2, s[6:7]
	v_lshl_add_u64 v[58:59], v[86:87], 2, s[6:7]
	v_lshl_add_u64 v[60:61], v[88:89], 2, s[6:7]
	v_lshl_add_u64 v[62:63], v[90:91], 2, s[6:7]
	v_lshl_add_u64 v[64:65], v[92:93], 2, s[6:7]
	v_lshl_add_u64 v[66:67], v[94:95], 2, s[6:7]
	v_lshl_add_u64 v[68:69], v[96:97], 2, s[6:7]
	v_lshl_add_u64 v[70:71], v[98:99], 2, s[6:7]
	v_lshl_add_u64 v[72:73], v[100:101], 2, s[6:7]
	v_lshl_add_u64 v[74:75], v[102:103], 2, s[6:7]
	v_lshl_add_u64 v[76:77], v[104:105], 2, s[6:7]
	v_lshl_add_u64 v[78:79], v[106:107], 2, s[6:7]
	v_lshl_add_u64 v[80:81], v[108:109], 2, s[6:7]
	v_lshl_add_u64 v[82:83], v[110:111], 2, s[6:7]
	v_lshl_add_u64 v[84:85], v[112:113], 2, s[6:7]
	v_lshl_add_u64 v[86:87], v[114:115], 2, s[6:7]
	v_lshl_add_u64 v[88:89], v[116:117], 2, s[6:7]
	v_lshl_add_u64 v[90:91], v[118:119], 2, s[6:7]
	v_lshl_add_u64 v[92:93], v[120:121], 2, s[6:7]
	v_lshl_add_u64 v[94:95], v[122:123], 2, s[6:7]
	v_lshl_add_u64 v[96:97], v[124:125], 2, s[6:7]
	v_lshl_add_u64 v[98:99], v[126:127], 2, s[6:7]
	s_and_b32 vcc_lo, exec_lo, s1
	s_cbranch_vccz .LBB61_1209
; %bb.608:
	scratch_load_b32 v100, off, off offset:4
	v_cmp_eq_u32_e64 s0, 0, v0
	s_wait_loadcnt 0x0
	ds_store_b32 v1, v100
	s_wait_storecnt_dscnt 0x0
	s_barrier_signal -1
	s_barrier_wait -1
	s_wait_xcnt 0x0
	s_and_saveexec_b32 s1, s0
	s_cbranch_execz .LBB61_614
; %bb.609:
	s_and_b32 vcc_lo, exec_lo, s3
	s_cbranch_vccz .LBB61_611
; %bb.610:
	scratch_load_b32 v100, v7, off
	ds_load_b32 v101, v1
	s_wait_loadcnt_dscnt 0x0
	v_mul_f32_e32 v100, v100, v101
	s_cbranch_execz .LBB61_612
	s_branch .LBB61_613
.LBB61_611:
                                        ; implicit-def: $vgpr100
.LBB61_612:
	ds_load_b32 v100, v1
.LBB61_613:
	v_mov_b32_e32 v101, 0
	ds_load_b32 v101, v101 offset:4
	s_wait_dscnt 0x0
	v_mul_f32_e32 v100, v100, v101
	scratch_store_b32 off, v100, off offset:4
.LBB61_614:
	s_wait_xcnt 0x0
	s_or_b32 exec_lo, exec_lo, s1
	scratch_load_b32 v101, off, off offset:8
	v_cndmask_b32_e64 v100, 0, 1, s3
	s_mov_b32 s1, exec_lo
	s_wait_loadcnt 0x0
	ds_store_b32 v1, v101
	s_wait_storecnt_dscnt 0x0
	s_barrier_signal -1
	s_barrier_wait -1
	s_wait_xcnt 0x0
	v_cmpx_gt_u32_e32 2, v0
	s_cbranch_execz .LBB61_620
; %bb.615:
	s_and_not1_b32 vcc_lo, exec_lo, s3
	s_cbranch_vccnz .LBB61_617
; %bb.616:
	scratch_load_b32 v101, v7, off
	ds_load_b32 v102, v1
	s_wait_loadcnt_dscnt 0x0
	v_mul_f32_e32 v101, v101, v102
	s_cbranch_execz .LBB61_618
	s_branch .LBB61_619
.LBB61_617:
                                        ; implicit-def: $vgpr101
.LBB61_618:
	ds_load_b32 v101, v1
.LBB61_619:
	scratch_load_b32 v104, off, off offset:4
	v_mov_b32_e32 v102, 0
	ds_load_2addr_b32 v[102:103], v102 offset0:2 offset1:65
	s_wait_loadcnt_dscnt 0x0
	v_fma_f32 v103, v104, v103, v101
	s_delay_alu instid0(VALU_DEP_1) | instskip(NEXT) | instid1(VALU_DEP_1)
	v_cndmask_b32_e64 v101, v101, v103, s0
	v_mul_f32_e32 v101, v101, v102
	scratch_store_b32 off, v101, off offset:8
.LBB61_620:
	s_wait_xcnt 0x0
	s_or_b32 exec_lo, exec_lo, s1
	scratch_load_b32 v101, off, off offset:12
	s_mov_b32 s1, exec_lo
	s_wait_loadcnt 0x0
	ds_store_b32 v1, v101
	s_wait_storecnt_dscnt 0x0
	s_barrier_signal -1
	s_barrier_wait -1
	s_wait_xcnt 0x0
	v_cmpx_gt_u32_e32 3, v0
	s_cbranch_execz .LBB61_628
; %bb.621:
	v_cmp_ne_u32_e32 vcc_lo, 1, v100
	s_cbranch_vccnz .LBB61_623
; %bb.622:
	scratch_load_b32 v101, v7, off
	ds_load_b32 v102, v1
	s_wait_loadcnt_dscnt 0x0
	v_mul_f32_e32 v101, v101, v102
	s_cbranch_execz .LBB61_624
	s_branch .LBB61_625
.LBB61_623:
                                        ; implicit-def: $vgpr101
.LBB61_624:
	ds_load_b32 v101, v1
.LBB61_625:
	s_mov_b32 s2, exec_lo
	v_cmpx_ne_u32_e32 2, v0
	s_cbranch_execz .LBB61_627
; %bb.626:
	scratch_load_b32 v102, v7, off offset:4
	scratch_load_b32 v103, off, off offset:8
	ds_load_b32 v104, v1 offset:4
	v_mov_b32_e32 v105, 0
	ds_load_b32 v105, v105 offset:264
	s_wait_loadcnt_dscnt 0x101
	v_fmac_f32_e32 v101, v102, v104
	s_wait_loadcnt_dscnt 0x0
	s_delay_alu instid0(VALU_DEP_1) | instskip(NEXT) | instid1(VALU_DEP_1)
	v_fma_f32 v102, v103, v105, v101
	v_cndmask_b32_e64 v101, v101, v102, s0
.LBB61_627:
	s_or_b32 exec_lo, exec_lo, s2
	v_mov_b32_e32 v102, 0
	ds_load_b32 v102, v102 offset:12
	s_wait_dscnt 0x0
	v_mul_f32_e32 v101, v101, v102
	scratch_store_b32 off, v101, off offset:12
.LBB61_628:
	s_wait_xcnt 0x0
	s_or_b32 exec_lo, exec_lo, s1
	scratch_load_b32 v101, off, off offset:16
	s_mov_b32 s0, exec_lo
	s_wait_loadcnt 0x0
	ds_store_b32 v1, v101
	s_wait_storecnt_dscnt 0x0
	s_barrier_signal -1
	s_barrier_wait -1
	s_wait_xcnt 0x0
	v_cmpx_gt_u32_e32 4, v0
	s_cbranch_execz .LBB61_638
; %bb.629:
	v_cmp_ne_u32_e32 vcc_lo, 1, v100
	s_cbranch_vccnz .LBB61_631
; %bb.630:
	scratch_load_b32 v101, v7, off
	ds_load_b32 v102, v1
	s_wait_loadcnt_dscnt 0x0
	v_mul_f32_e32 v101, v101, v102
	s_cbranch_execz .LBB61_632
	s_branch .LBB61_633
.LBB61_631:
                                        ; implicit-def: $vgpr101
.LBB61_632:
	ds_load_b32 v101, v1
.LBB61_633:
	s_mov_b32 s1, exec_lo
	v_cmpx_ne_u32_e32 3, v0
	s_cbranch_execz .LBB61_637
; %bb.634:
	v_add_nc_u32_e32 v102, 0x104, v6
	v_add3_u32 v103, 0, v6, 4
	v_mov_b32_e32 v104, v0
	s_mov_b32 s2, 0
.LBB61_635:                             ; =>This Inner Loop Header: Depth=1
	scratch_load_b32 v105, v103, off
	ds_load_b32 v106, v102
	v_dual_add_nc_u32 v104, 1, v104 :: v_dual_add_nc_u32 v102, 4, v102
	s_wait_xcnt 0x0
	v_add_nc_u32_e32 v103, 4, v103
	s_delay_alu instid0(VALU_DEP_2)
	v_cmp_lt_u32_e32 vcc_lo, 2, v104
	s_or_b32 s2, vcc_lo, s2
	s_wait_loadcnt_dscnt 0x0
	v_fmac_f32_e32 v101, v105, v106
	s_and_not1_b32 exec_lo, exec_lo, s2
	s_cbranch_execnz .LBB61_635
; %bb.636:
	s_or_b32 exec_lo, exec_lo, s2
.LBB61_637:
	s_delay_alu instid0(SALU_CYCLE_1)
	s_or_b32 exec_lo, exec_lo, s1
	v_mov_b32_e32 v102, 0
	ds_load_b32 v102, v102 offset:16
	s_wait_dscnt 0x0
	v_mul_f32_e32 v101, v101, v102
	scratch_store_b32 off, v101, off offset:16
.LBB61_638:
	s_wait_xcnt 0x0
	s_or_b32 exec_lo, exec_lo, s0
	scratch_load_b32 v101, off, off offset:20
	s_mov_b32 s0, exec_lo
	s_wait_loadcnt 0x0
	ds_store_b32 v1, v101
	s_wait_storecnt_dscnt 0x0
	s_barrier_signal -1
	s_barrier_wait -1
	s_wait_xcnt 0x0
	v_cmpx_gt_u32_e32 5, v0
	s_cbranch_execz .LBB61_648
; %bb.639:
	v_cmp_ne_u32_e32 vcc_lo, 1, v100
	s_cbranch_vccnz .LBB61_641
; %bb.640:
	scratch_load_b32 v101, v7, off
	ds_load_b32 v102, v1
	s_wait_loadcnt_dscnt 0x0
	v_mul_f32_e32 v101, v101, v102
	s_cbranch_execz .LBB61_642
	s_branch .LBB61_643
.LBB61_641:
                                        ; implicit-def: $vgpr101
.LBB61_642:
	ds_load_b32 v101, v1
.LBB61_643:
	s_mov_b32 s1, exec_lo
	v_cmpx_ne_u32_e32 4, v0
	s_cbranch_execz .LBB61_647
; %bb.644:
	v_add_nc_u32_e32 v102, 0x104, v6
	v_add3_u32 v103, 0, v6, 4
	v_mov_b32_e32 v104, v0
	s_mov_b32 s2, 0
.LBB61_645:                             ; =>This Inner Loop Header: Depth=1
	scratch_load_b32 v105, v103, off
	ds_load_b32 v106, v102
	v_dual_add_nc_u32 v104, 1, v104 :: v_dual_add_nc_u32 v102, 4, v102
	s_wait_xcnt 0x0
	v_add_nc_u32_e32 v103, 4, v103
	s_delay_alu instid0(VALU_DEP_2)
	v_cmp_lt_u32_e32 vcc_lo, 3, v104
	s_or_b32 s2, vcc_lo, s2
	s_wait_loadcnt_dscnt 0x0
	v_fmac_f32_e32 v101, v105, v106
	s_and_not1_b32 exec_lo, exec_lo, s2
	s_cbranch_execnz .LBB61_645
; %bb.646:
	s_or_b32 exec_lo, exec_lo, s2
.LBB61_647:
	s_delay_alu instid0(SALU_CYCLE_1)
	s_or_b32 exec_lo, exec_lo, s1
	v_mov_b32_e32 v102, 0
	ds_load_b32 v102, v102 offset:20
	s_wait_dscnt 0x0
	v_mul_f32_e32 v101, v101, v102
	scratch_store_b32 off, v101, off offset:20
.LBB61_648:
	;; [unrolled: 59-line block ×37, first 2 shown]
	s_wait_xcnt 0x0
	s_or_b32 exec_lo, exec_lo, s0
	scratch_load_b32 v101, off, off offset:164
	s_mov_b32 s0, exec_lo
	s_wait_loadcnt 0x0
	ds_store_b32 v1, v101
	s_wait_storecnt_dscnt 0x0
	s_barrier_signal -1
	s_barrier_wait -1
	s_wait_xcnt 0x0
	v_cmpx_gt_u32_e32 41, v0
	s_cbranch_execz .LBB61_1008
; %bb.999:
	v_cmp_ne_u32_e32 vcc_lo, 1, v100
	s_cbranch_vccnz .LBB61_1001
; %bb.1000:
	scratch_load_b32 v101, v7, off
	ds_load_b32 v102, v1
	s_wait_loadcnt_dscnt 0x0
	v_mul_f32_e32 v101, v101, v102
	s_cbranch_execz .LBB61_1002
	s_branch .LBB61_1003
.LBB61_1001:
                                        ; implicit-def: $vgpr101
.LBB61_1002:
	ds_load_b32 v101, v1
.LBB61_1003:
	s_mov_b32 s1, exec_lo
	v_cmpx_ne_u32_e32 40, v0
	s_cbranch_execz .LBB61_1007
; %bb.1004:
	v_add_nc_u32_e32 v102, 0x104, v6
	v_add3_u32 v103, 0, v6, 4
	v_mov_b32_e32 v104, v0
	s_mov_b32 s2, 0
.LBB61_1005:                            ; =>This Inner Loop Header: Depth=1
	scratch_load_b32 v105, v103, off
	ds_load_b32 v106, v102
	v_dual_add_nc_u32 v104, 1, v104 :: v_dual_add_nc_u32 v102, 4, v102
	s_wait_xcnt 0x0
	v_add_nc_u32_e32 v103, 4, v103
	s_delay_alu instid0(VALU_DEP_2)
	v_cmp_lt_u32_e32 vcc_lo, 39, v104
	s_or_b32 s2, vcc_lo, s2
	s_wait_loadcnt_dscnt 0x0
	v_fmac_f32_e32 v101, v105, v106
	s_and_not1_b32 exec_lo, exec_lo, s2
	s_cbranch_execnz .LBB61_1005
; %bb.1006:
	s_or_b32 exec_lo, exec_lo, s2
.LBB61_1007:
	s_delay_alu instid0(SALU_CYCLE_1)
	s_or_b32 exec_lo, exec_lo, s1
	v_mov_b32_e32 v102, 0
	ds_load_b32 v102, v102 offset:164
	s_wait_dscnt 0x0
	v_mul_f32_e32 v101, v101, v102
	scratch_store_b32 off, v101, off offset:164
.LBB61_1008:
	s_wait_xcnt 0x0
	s_or_b32 exec_lo, exec_lo, s0
	scratch_load_b32 v101, off, off offset:168
	s_mov_b32 s0, exec_lo
	s_wait_loadcnt 0x0
	ds_store_b32 v1, v101
	s_wait_storecnt_dscnt 0x0
	s_barrier_signal -1
	s_barrier_wait -1
	s_wait_xcnt 0x0
	v_cmpx_gt_u32_e32 42, v0
	s_cbranch_execz .LBB61_1018
; %bb.1009:
	v_cmp_ne_u32_e32 vcc_lo, 1, v100
	s_cbranch_vccnz .LBB61_1011
; %bb.1010:
	scratch_load_b32 v101, v7, off
	ds_load_b32 v102, v1
	s_wait_loadcnt_dscnt 0x0
	v_mul_f32_e32 v101, v101, v102
	s_cbranch_execz .LBB61_1012
	s_branch .LBB61_1013
.LBB61_1011:
                                        ; implicit-def: $vgpr101
.LBB61_1012:
	ds_load_b32 v101, v1
.LBB61_1013:
	s_mov_b32 s1, exec_lo
	v_cmpx_ne_u32_e32 41, v0
	s_cbranch_execz .LBB61_1017
; %bb.1014:
	v_add_nc_u32_e32 v102, 0x104, v6
	v_add3_u32 v103, 0, v6, 4
	v_mov_b32_e32 v104, v0
	s_mov_b32 s2, 0
.LBB61_1015:                            ; =>This Inner Loop Header: Depth=1
	scratch_load_b32 v105, v103, off
	ds_load_b32 v106, v102
	v_dual_add_nc_u32 v104, 1, v104 :: v_dual_add_nc_u32 v102, 4, v102
	s_wait_xcnt 0x0
	v_add_nc_u32_e32 v103, 4, v103
	s_delay_alu instid0(VALU_DEP_2)
	v_cmp_lt_u32_e32 vcc_lo, 40, v104
	s_or_b32 s2, vcc_lo, s2
	s_wait_loadcnt_dscnt 0x0
	v_fmac_f32_e32 v101, v105, v106
	s_and_not1_b32 exec_lo, exec_lo, s2
	s_cbranch_execnz .LBB61_1015
; %bb.1016:
	s_or_b32 exec_lo, exec_lo, s2
.LBB61_1017:
	s_delay_alu instid0(SALU_CYCLE_1)
	s_or_b32 exec_lo, exec_lo, s1
	v_mov_b32_e32 v102, 0
	ds_load_b32 v102, v102 offset:168
	s_wait_dscnt 0x0
	v_mul_f32_e32 v101, v101, v102
	scratch_store_b32 off, v101, off offset:168
.LBB61_1018:
	;; [unrolled: 59-line block ×19, first 2 shown]
	s_wait_xcnt 0x0
	s_or_b32 exec_lo, exec_lo, s0
	scratch_load_b32 v101, off, off offset:240
	v_cmp_gt_u32_e64 s0, 60, v0
	s_wait_loadcnt 0x0
	ds_store_b32 v1, v101
	s_wait_storecnt_dscnt 0x0
	s_barrier_signal -1
	s_barrier_wait -1
	s_wait_xcnt 0x0
	s_and_saveexec_b32 s1, s0
	s_cbranch_execz .LBB61_1198
; %bb.1189:
	v_cmp_ne_u32_e32 vcc_lo, 1, v100
	s_cbranch_vccnz .LBB61_1191
; %bb.1190:
	scratch_load_b32 v101, v7, off
	ds_load_b32 v102, v1
	s_wait_loadcnt_dscnt 0x0
	v_mul_f32_e32 v101, v101, v102
	s_cbranch_execz .LBB61_1192
	s_branch .LBB61_1193
.LBB61_1191:
                                        ; implicit-def: $vgpr101
.LBB61_1192:
	ds_load_b32 v101, v1
.LBB61_1193:
	s_mov_b32 s2, exec_lo
	v_cmpx_ne_u32_e32 59, v0
	s_cbranch_execz .LBB61_1197
; %bb.1194:
	v_add_nc_u32_e32 v102, 0x104, v6
	v_add3_u32 v103, 0, v6, 4
	v_mov_b32_e32 v104, v0
	s_mov_b32 s3, 0
.LBB61_1195:                            ; =>This Inner Loop Header: Depth=1
	scratch_load_b32 v105, v103, off
	ds_load_b32 v106, v102
	v_dual_add_nc_u32 v104, 1, v104 :: v_dual_add_nc_u32 v102, 4, v102
	s_wait_xcnt 0x0
	v_add_nc_u32_e32 v103, 4, v103
	s_delay_alu instid0(VALU_DEP_2)
	v_cmp_lt_u32_e32 vcc_lo, 58, v104
	s_or_b32 s3, vcc_lo, s3
	s_wait_loadcnt_dscnt 0x0
	v_fmac_f32_e32 v101, v105, v106
	s_and_not1_b32 exec_lo, exec_lo, s3
	s_cbranch_execnz .LBB61_1195
; %bb.1196:
	s_or_b32 exec_lo, exec_lo, s3
.LBB61_1197:
	s_delay_alu instid0(SALU_CYCLE_1)
	s_or_b32 exec_lo, exec_lo, s2
	v_mov_b32_e32 v102, 0
	ds_load_b32 v102, v102 offset:240
	s_wait_dscnt 0x0
	v_mul_f32_e32 v101, v101, v102
	scratch_store_b32 off, v101, off offset:240
.LBB61_1198:
	s_wait_xcnt 0x0
	s_or_b32 exec_lo, exec_lo, s1
	scratch_load_b32 v101, off, off offset:244
	s_mov_b32 s1, exec_lo
	s_wait_loadcnt 0x0
	ds_store_b32 v1, v101
	s_wait_storecnt_dscnt 0x0
	s_barrier_signal -1
	s_barrier_wait -1
	s_wait_xcnt 0x0
	v_cmpx_ne_u32_e32 61, v0
	s_cbranch_execz .LBB61_1208
; %bb.1199:
	v_cmp_ne_u32_e32 vcc_lo, 1, v100
	s_cbranch_vccnz .LBB61_1201
; %bb.1200:
	scratch_load_b32 v7, v7, off
	ds_load_b32 v100, v1
	s_wait_loadcnt_dscnt 0x0
	v_mul_f32_e32 v7, v7, v100
	s_cbranch_execz .LBB61_1202
	s_branch .LBB61_1203
.LBB61_1201:
                                        ; implicit-def: $vgpr7
.LBB61_1202:
	ds_load_b32 v7, v1
.LBB61_1203:
	s_and_saveexec_b32 s2, s0
	s_cbranch_execz .LBB61_1207
; %bb.1204:
	v_add_nc_u32_e32 v1, 0x104, v6
	v_add3_u32 v6, 0, v6, 4
	s_mov_b32 s0, 0
.LBB61_1205:                            ; =>This Inner Loop Header: Depth=1
	scratch_load_b32 v100, v6, off
	ds_load_b32 v101, v1
	v_dual_add_nc_u32 v0, 1, v0 :: v_dual_add_nc_u32 v1, 4, v1
	s_wait_xcnt 0x0
	v_add_nc_u32_e32 v6, 4, v6
	s_delay_alu instid0(VALU_DEP_2)
	v_cmp_lt_u32_e32 vcc_lo, 59, v0
	s_or_b32 s0, vcc_lo, s0
	s_wait_loadcnt_dscnt 0x0
	v_fmac_f32_e32 v7, v100, v101
	s_and_not1_b32 exec_lo, exec_lo, s0
	s_cbranch_execnz .LBB61_1205
; %bb.1206:
	s_or_b32 exec_lo, exec_lo, s0
.LBB61_1207:
	s_delay_alu instid0(SALU_CYCLE_1)
	s_or_b32 exec_lo, exec_lo, s2
	v_mov_b32_e32 v0, 0
	ds_load_b32 v0, v0 offset:244
	s_wait_dscnt 0x0
	v_mul_f32_e32 v0, v7, v0
	scratch_store_b32 off, v0, off offset:244
.LBB61_1208:
	s_wait_xcnt 0x0
	s_or_b32 exec_lo, exec_lo, s1
.LBB61_1209:
	s_clause 0x3
	scratch_load_b128 v[100:103], off, off
	scratch_load_b128 v[104:107], off, off offset:16
	scratch_load_b128 v[108:111], off, off offset:32
	;; [unrolled: 1-line block ×3, first 2 shown]
	s_wait_loadcnt 0x3
	s_clause 0x1
	global_store_b32 v[2:3], v100, off
	global_store_b32 v[4:5], v101, off
	scratch_load_b128 v[0:3], off, off offset:64
	s_clause 0x1
	global_store_b32 v[152:153], v102, off
	global_store_b32 v[154:155], v103, off
	s_clause 0x1
	scratch_load_b128 v[4:7], off, off offset:80
	scratch_load_b128 v[100:103], off, off offset:96
	s_wait_loadcnt 0x5
	s_clause 0x1
	global_store_b32 v[148:149], v104, off
	global_store_b32 v[150:151], v105, off
	scratch_load_b128 v[116:119], off, off offset:112
	s_clause 0x1
	global_store_b32 v[144:145], v106, off
	global_store_b32 v[146:147], v107, off
	s_clause 0x1
	scratch_load_b128 v[104:107], off, off offset:128
	scratch_load_b128 v[120:123], off, off offset:144
	;; [unrolled: 11-line block ×3, first 2 shown]
	s_wait_loadcnt 0x9
	s_clause 0x1
	global_store_b32 v[132:133], v112, off
	global_store_b32 v[134:135], v113, off
	scratch_load_b128 v[132:135], off, off offset:208
	s_clause 0x1
	global_store_b32 v[128:129], v114, off
	global_store_b32 v[130:131], v115, off
	s_clause 0x1
	scratch_load_b128 v[112:115], off, off offset:224
	scratch_load_b64 v[128:129], off, off offset:240
	s_wait_loadcnt 0xb
	s_clause 0x3
	global_store_b32 v[8:9], v0, off
	global_store_b32 v[10:11], v1, off
	global_store_b32 v[12:13], v2, off
	global_store_b32 v[14:15], v3, off
	s_wait_loadcnt 0xa
	s_clause 0x3
	global_store_b32 v[16:17], v4, off
	global_store_b32 v[18:19], v5, off
	global_store_b32 v[20:21], v6, off
	global_store_b32 v[22:23], v7, off
	;; [unrolled: 6-line block ×11, first 2 shown]
	s_wait_loadcnt 0x0
	s_clause 0x1
	global_store_b32 v[96:97], v128, off
	global_store_b32 v[98:99], v129, off
.LBB61_1210:
	s_sendmsg sendmsg(MSG_DEALLOC_VGPRS)
	s_endpgm
	.section	.rodata,"a",@progbits
	.p2align	6, 0x0
	.amdhsa_kernel _ZN9rocsolver6v33100L18trti2_kernel_smallILi62EfPfEEv13rocblas_fill_17rocblas_diagonal_T1_iil
		.amdhsa_group_segment_fixed_size 504
		.amdhsa_private_segment_fixed_size 256
		.amdhsa_kernarg_size 32
		.amdhsa_user_sgpr_count 2
		.amdhsa_user_sgpr_dispatch_ptr 0
		.amdhsa_user_sgpr_queue_ptr 0
		.amdhsa_user_sgpr_kernarg_segment_ptr 1
		.amdhsa_user_sgpr_dispatch_id 0
		.amdhsa_user_sgpr_kernarg_preload_length 0
		.amdhsa_user_sgpr_kernarg_preload_offset 0
		.amdhsa_user_sgpr_private_segment_size 0
		.amdhsa_wavefront_size32 1
		.amdhsa_uses_dynamic_stack 0
		.amdhsa_enable_private_segment 1
		.amdhsa_system_sgpr_workgroup_id_x 1
		.amdhsa_system_sgpr_workgroup_id_y 0
		.amdhsa_system_sgpr_workgroup_id_z 0
		.amdhsa_system_sgpr_workgroup_info 0
		.amdhsa_system_vgpr_workitem_id 0
		.amdhsa_next_free_vgpr 156
		.amdhsa_next_free_sgpr 23
		.amdhsa_named_barrier_count 0
		.amdhsa_reserve_vcc 1
		.amdhsa_float_round_mode_32 0
		.amdhsa_float_round_mode_16_64 0
		.amdhsa_float_denorm_mode_32 3
		.amdhsa_float_denorm_mode_16_64 3
		.amdhsa_fp16_overflow 0
		.amdhsa_memory_ordered 1
		.amdhsa_forward_progress 1
		.amdhsa_inst_pref_size 255
		.amdhsa_round_robin_scheduling 0
		.amdhsa_exception_fp_ieee_invalid_op 0
		.amdhsa_exception_fp_denorm_src 0
		.amdhsa_exception_fp_ieee_div_zero 0
		.amdhsa_exception_fp_ieee_overflow 0
		.amdhsa_exception_fp_ieee_underflow 0
		.amdhsa_exception_fp_ieee_inexact 0
		.amdhsa_exception_int_div_zero 0
	.end_amdhsa_kernel
	.section	.text._ZN9rocsolver6v33100L18trti2_kernel_smallILi62EfPfEEv13rocblas_fill_17rocblas_diagonal_T1_iil,"axG",@progbits,_ZN9rocsolver6v33100L18trti2_kernel_smallILi62EfPfEEv13rocblas_fill_17rocblas_diagonal_T1_iil,comdat
.Lfunc_end61:
	.size	_ZN9rocsolver6v33100L18trti2_kernel_smallILi62EfPfEEv13rocblas_fill_17rocblas_diagonal_T1_iil, .Lfunc_end61-_ZN9rocsolver6v33100L18trti2_kernel_smallILi62EfPfEEv13rocblas_fill_17rocblas_diagonal_T1_iil
                                        ; -- End function
	.set _ZN9rocsolver6v33100L18trti2_kernel_smallILi62EfPfEEv13rocblas_fill_17rocblas_diagonal_T1_iil.num_vgpr, 156
	.set _ZN9rocsolver6v33100L18trti2_kernel_smallILi62EfPfEEv13rocblas_fill_17rocblas_diagonal_T1_iil.num_agpr, 0
	.set _ZN9rocsolver6v33100L18trti2_kernel_smallILi62EfPfEEv13rocblas_fill_17rocblas_diagonal_T1_iil.numbered_sgpr, 23
	.set _ZN9rocsolver6v33100L18trti2_kernel_smallILi62EfPfEEv13rocblas_fill_17rocblas_diagonal_T1_iil.num_named_barrier, 0
	.set _ZN9rocsolver6v33100L18trti2_kernel_smallILi62EfPfEEv13rocblas_fill_17rocblas_diagonal_T1_iil.private_seg_size, 256
	.set _ZN9rocsolver6v33100L18trti2_kernel_smallILi62EfPfEEv13rocblas_fill_17rocblas_diagonal_T1_iil.uses_vcc, 1
	.set _ZN9rocsolver6v33100L18trti2_kernel_smallILi62EfPfEEv13rocblas_fill_17rocblas_diagonal_T1_iil.uses_flat_scratch, 1
	.set _ZN9rocsolver6v33100L18trti2_kernel_smallILi62EfPfEEv13rocblas_fill_17rocblas_diagonal_T1_iil.has_dyn_sized_stack, 0
	.set _ZN9rocsolver6v33100L18trti2_kernel_smallILi62EfPfEEv13rocblas_fill_17rocblas_diagonal_T1_iil.has_recursion, 0
	.set _ZN9rocsolver6v33100L18trti2_kernel_smallILi62EfPfEEv13rocblas_fill_17rocblas_diagonal_T1_iil.has_indirect_call, 0
	.section	.AMDGPU.csdata,"",@progbits
; Kernel info:
; codeLenInByte = 34576
; TotalNumSgprs: 25
; NumVgprs: 156
; ScratchSize: 256
; MemoryBound: 0
; FloatMode: 240
; IeeeMode: 1
; LDSByteSize: 504 bytes/workgroup (compile time only)
; SGPRBlocks: 0
; VGPRBlocks: 9
; NumSGPRsForWavesPerEU: 25
; NumVGPRsForWavesPerEU: 156
; NamedBarCnt: 0
; Occupancy: 6
; WaveLimiterHint : 0
; COMPUTE_PGM_RSRC2:SCRATCH_EN: 1
; COMPUTE_PGM_RSRC2:USER_SGPR: 2
; COMPUTE_PGM_RSRC2:TRAP_HANDLER: 0
; COMPUTE_PGM_RSRC2:TGID_X_EN: 1
; COMPUTE_PGM_RSRC2:TGID_Y_EN: 0
; COMPUTE_PGM_RSRC2:TGID_Z_EN: 0
; COMPUTE_PGM_RSRC2:TIDIG_COMP_CNT: 0
	.section	.text._ZN9rocsolver6v33100L18trti2_kernel_smallILi63EfPfEEv13rocblas_fill_17rocblas_diagonal_T1_iil,"axG",@progbits,_ZN9rocsolver6v33100L18trti2_kernel_smallILi63EfPfEEv13rocblas_fill_17rocblas_diagonal_T1_iil,comdat
	.globl	_ZN9rocsolver6v33100L18trti2_kernel_smallILi63EfPfEEv13rocblas_fill_17rocblas_diagonal_T1_iil ; -- Begin function _ZN9rocsolver6v33100L18trti2_kernel_smallILi63EfPfEEv13rocblas_fill_17rocblas_diagonal_T1_iil
	.p2align	8
	.type	_ZN9rocsolver6v33100L18trti2_kernel_smallILi63EfPfEEv13rocblas_fill_17rocblas_diagonal_T1_iil,@function
_ZN9rocsolver6v33100L18trti2_kernel_smallILi63EfPfEEv13rocblas_fill_17rocblas_diagonal_T1_iil: ; @_ZN9rocsolver6v33100L18trti2_kernel_smallILi63EfPfEEv13rocblas_fill_17rocblas_diagonal_T1_iil
; %bb.0:
	s_mov_b32 s2, exec_lo
	v_cmpx_gt_u32_e32 63, v0
	s_cbranch_execz .LBB62_1230
; %bb.1:
	s_load_b256 s[4:11], s[0:1], 0x0
	s_wait_xcnt 0x0
	s_bfe_u32 s0, ttmp6, 0x4000c
	s_and_b32 s1, ttmp6, 15
	s_add_co_i32 s0, s0, 1
	s_getreg_b32 s2, hwreg(HW_REG_IB_STS2, 6, 4)
	s_mul_i32 s0, ttmp9, s0
	v_lshlrev_b32_e32 v6, 2, v0
	s_add_co_i32 s0, s1, s0
	v_mov_b32_e32 v7, 0
	s_wait_kmcnt 0x0
	v_add3_u32 v8, s9, s9, v0
	s_ashr_i32 s1, s8, 31
	s_cmp_eq_u32 s2, 0
	s_cselect_b32 s2, ttmp9, s0
	s_delay_alu instid0(VALU_DEP_1)
	v_add_nc_u32_e32 v10, s9, v8
	s_ashr_i32 s3, s2, 31
	s_mov_b32 s0, s8
	s_mul_u64 s[2:3], s[10:11], s[2:3]
	s_lshl_b64 s[0:1], s[0:1], 2
	v_add_nc_u32_e32 v12, s9, v10
	s_lshl_b64 s[2:3], s[2:3], 2
	v_ashrrev_i32_e32 v9, 31, v8
	s_add_nc_u64 s[2:3], s[6:7], s[2:3]
	s_delay_alu instid0(VALU_DEP_2)
	v_add_nc_u32_e32 v14, s9, v12
	s_add_nc_u64 s[6:7], s[2:3], s[0:1]
	s_mov_b32 s0, s9
	v_add_nc_u64_e32 v[2:3], s[6:7], v[6:7]
	s_ashr_i32 s1, s9, 31
	v_add_nc_u32_e32 v16, s9, v14
	v_ashrrev_i32_e32 v11, 31, v10
	s_cmp_lg_u32 s5, 0x84
	s_cselect_b32 s3, -1, 0
	s_delay_alu instid0(VALU_DEP_2) | instskip(SKIP_3) | instid1(VALU_DEP_3)
	v_add_nc_u32_e32 v18, s9, v16
	v_lshl_add_u64 v[4:5], s[0:1], 2, v[2:3]
	v_ashrrev_i32_e32 v17, 31, v16
	s_cmp_eq_u32 s5, 0x84
	v_add_nc_u32_e32 v20, s9, v18
	s_clause 0x7
	global_load_b32 v102, v0, s[6:7] scale_offset
	global_load_b32 v104, v8, s[6:7] scale_offset
	;; [unrolled: 1-line block ×7, first 2 shown]
	global_load_b32 v103, v[4:5], off
	v_dual_ashrrev_i32 v13, 31, v12 :: v_dual_ashrrev_i32 v15, 31, v14
	v_dual_ashrrev_i32 v19, 31, v18 :: v_dual_add_nc_u32 v22, s9, v20
	s_delay_alu instid0(VALU_DEP_1) | instskip(NEXT) | instid1(VALU_DEP_1)
	v_add_nc_u32_e32 v24, s9, v22
	v_dual_add_nc_u32 v26, s9, v24 :: v_dual_ashrrev_i32 v25, 31, v24
	s_delay_alu instid0(VALU_DEP_1) | instskip(SKIP_1) | instid1(VALU_DEP_2)
	v_dual_ashrrev_i32 v27, 31, v26 :: v_dual_add_nc_u32 v28, s9, v26
	v_dual_ashrrev_i32 v21, 31, v20 :: v_dual_ashrrev_i32 v23, 31, v22
	v_add_nc_u32_e32 v30, s9, v28
	s_delay_alu instid0(VALU_DEP_1) | instskip(NEXT) | instid1(VALU_DEP_1)
	v_add_nc_u32_e32 v32, s9, v30
	v_add_nc_u32_e32 v34, s9, v32
	s_delay_alu instid0(VALU_DEP_1) | instskip(NEXT) | instid1(VALU_DEP_1)
	v_dual_add_nc_u32 v36, s9, v34 :: v_dual_ashrrev_i32 v29, 31, v28
	v_dual_ashrrev_i32 v31, 31, v30 :: v_dual_add_nc_u32 v38, s9, v36
	s_delay_alu instid0(VALU_DEP_1)
	v_dual_ashrrev_i32 v37, 31, v36 :: v_dual_ashrrev_i32 v39, 31, v38
	v_add_nc_u32_e32 v40, s9, v38
	s_clause 0x7
	global_load_b32 v110, v20, s[6:7] scale_offset
	global_load_b32 v111, v22, s[6:7] scale_offset
	;; [unrolled: 1-line block ×8, first 2 shown]
	v_dual_ashrrev_i32 v33, 31, v32 :: v_dual_ashrrev_i32 v35, 31, v34
	v_add_nc_u32_e32 v42, s9, v40
	s_delay_alu instid0(VALU_DEP_1) | instskip(NEXT) | instid1(VALU_DEP_1)
	v_add_nc_u32_e32 v44, s9, v42
	v_add_nc_u32_e32 v46, s9, v44
	s_delay_alu instid0(VALU_DEP_1)
	v_add_nc_u32_e32 v48, s9, v46
	s_clause 0x3
	global_load_b32 v118, v36, s[6:7] scale_offset
	global_load_b32 v119, v38, s[6:7] scale_offset
	global_load_b32 v120, v40, s[6:7] scale_offset
	global_load_b32 v121, v42, s[6:7] scale_offset
	v_dual_ashrrev_i32 v41, 31, v40 :: v_dual_ashrrev_i32 v43, 31, v42
	v_dual_add_nc_u32 v50, s9, v48 :: v_dual_ashrrev_i32 v49, 31, v48
	s_delay_alu instid0(VALU_DEP_1)
	v_dual_ashrrev_i32 v51, 31, v50 :: v_dual_add_nc_u32 v52, s9, v50
	s_clause 0x3
	global_load_b32 v122, v44, s[6:7] scale_offset
	global_load_b32 v123, v46, s[6:7] scale_offset
	;; [unrolled: 1-line block ×4, first 2 shown]
	v_dual_ashrrev_i32 v45, 31, v44 :: v_dual_ashrrev_i32 v47, 31, v46
	v_add_nc_u32_e32 v54, s9, v52
	s_delay_alu instid0(VALU_DEP_1) | instskip(NEXT) | instid1(VALU_DEP_1)
	v_add_nc_u32_e32 v56, s9, v54
	v_add_nc_u32_e32 v58, s9, v56
	s_delay_alu instid0(VALU_DEP_1) | instskip(NEXT) | instid1(VALU_DEP_1)
	v_dual_add_nc_u32 v60, s9, v58 :: v_dual_ashrrev_i32 v53, 31, v52
	v_dual_ashrrev_i32 v55, 31, v54 :: v_dual_add_nc_u32 v62, s9, v60
	s_delay_alu instid0(VALU_DEP_1)
	v_dual_ashrrev_i32 v61, 31, v60 :: v_dual_ashrrev_i32 v63, 31, v62
	v_add_nc_u32_e32 v64, s9, v62
	s_clause 0x3
	global_load_b32 v126, v52, s[6:7] scale_offset
	global_load_b32 v127, v54, s[6:7] scale_offset
	;; [unrolled: 1-line block ×4, first 2 shown]
	v_dual_ashrrev_i32 v57, 31, v56 :: v_dual_ashrrev_i32 v59, 31, v58
	v_add_nc_u32_e32 v66, s9, v64
	s_delay_alu instid0(VALU_DEP_1) | instskip(NEXT) | instid1(VALU_DEP_1)
	v_add_nc_u32_e32 v68, s9, v66
	v_add_nc_u32_e32 v70, s9, v68
	s_delay_alu instid0(VALU_DEP_1)
	v_add_nc_u32_e32 v72, s9, v70
	s_clause 0x3
	global_load_b32 v130, v60, s[6:7] scale_offset
	global_load_b32 v131, v62, s[6:7] scale_offset
	;; [unrolled: 1-line block ×4, first 2 shown]
	v_dual_ashrrev_i32 v65, 31, v64 :: v_dual_ashrrev_i32 v67, 31, v66
	v_dual_add_nc_u32 v74, s9, v72 :: v_dual_ashrrev_i32 v73, 31, v72
	s_delay_alu instid0(VALU_DEP_1)
	v_dual_ashrrev_i32 v75, 31, v74 :: v_dual_add_nc_u32 v76, s9, v74
	s_clause 0x3
	global_load_b32 v134, v68, s[6:7] scale_offset
	global_load_b32 v135, v70, s[6:7] scale_offset
	;; [unrolled: 1-line block ×4, first 2 shown]
	v_dual_ashrrev_i32 v69, 31, v68 :: v_dual_ashrrev_i32 v71, 31, v70
	v_add_nc_u32_e32 v78, s9, v76
	s_delay_alu instid0(VALU_DEP_1) | instskip(NEXT) | instid1(VALU_DEP_1)
	v_add_nc_u32_e32 v80, s9, v78
	v_add_nc_u32_e32 v82, s9, v80
	s_delay_alu instid0(VALU_DEP_1) | instskip(NEXT) | instid1(VALU_DEP_1)
	v_dual_add_nc_u32 v84, s9, v82 :: v_dual_ashrrev_i32 v77, 31, v76
	v_dual_ashrrev_i32 v79, 31, v78 :: v_dual_add_nc_u32 v86, s9, v84
	s_delay_alu instid0(VALU_DEP_1) | instskip(SKIP_1) | instid1(VALU_DEP_1)
	v_dual_ashrrev_i32 v85, 31, v84 :: v_dual_ashrrev_i32 v87, 31, v86
	v_dual_add_nc_u32 v88, s9, v86 :: v_dual_ashrrev_i32 v81, 31, v80
	v_dual_ashrrev_i32 v83, 31, v82 :: v_dual_add_nc_u32 v90, s9, v88
	s_delay_alu instid0(VALU_DEP_1) | instskip(NEXT) | instid1(VALU_DEP_1)
	v_add_nc_u32_e32 v92, s9, v90
	v_add_nc_u32_e32 v94, s9, v92
	s_delay_alu instid0(VALU_DEP_1) | instskip(NEXT) | instid1(VALU_DEP_1)
	v_dual_add_nc_u32 v96, s9, v94 :: v_dual_ashrrev_i32 v89, 31, v88
	v_dual_ashrrev_i32 v91, 31, v90 :: v_dual_add_nc_u32 v98, s9, v96
	s_delay_alu instid0(VALU_DEP_1)
	v_dual_ashrrev_i32 v97, 31, v96 :: v_dual_ashrrev_i32 v99, 31, v98
	v_dual_add_nc_u32 v100, s9, v98 :: v_dual_ashrrev_i32 v93, 31, v92
	v_ashrrev_i32_e32 v95, 31, v94
	s_wait_loadcnt 0x1c
	scratch_store_b128 off, v[102:105], off
	s_wait_xcnt 0x0
	v_add_nc_u32_e32 v102, s9, v100
	s_clause 0x3
	global_load_b32 v138, v76, s[6:7] scale_offset
	global_load_b32 v139, v78, s[6:7] scale_offset
	;; [unrolled: 1-line block ×4, first 2 shown]
	scratch_store_b128 off, v[106:109], off offset:16
	s_clause 0x3
	global_load_b32 v142, v84, s[6:7] scale_offset
	global_load_b32 v143, v86, s[6:7] scale_offset
	global_load_b32 v144, v88, s[6:7] scale_offset
	global_load_b32 v145, v90, s[6:7] scale_offset
	v_add_nc_u32_e32 v104, s9, v102
	s_wait_xcnt 0x4
	s_delay_alu instid0(VALU_DEP_1) | instskip(NEXT) | instid1(VALU_DEP_1)
	v_add_nc_u32_e32 v106, s9, v104
	v_dual_add_nc_u32 v108, s9, v106 :: v_dual_ashrrev_i32 v101, 31, v100
	v_ashrrev_i32_e32 v103, 31, v102
	s_wait_loadcnt 0x20
	scratch_store_b128 off, v[110:113], off offset:32
	s_wait_xcnt 0x0
	v_dual_add_nc_u32 v110, s9, v108 :: v_dual_ashrrev_i32 v109, 31, v108
	s_wait_loadcnt 0x1c
	scratch_store_b128 off, v[114:117], off offset:48
	s_clause 0x3
	global_load_b32 v146, v92, s[6:7] scale_offset
	global_load_b32 v147, v94, s[6:7] scale_offset
	global_load_b32 v148, v96, s[6:7] scale_offset
	global_load_b32 v149, v98, s[6:7] scale_offset
	v_dual_add_nc_u32 v112, s9, v110 :: v_dual_ashrrev_i32 v105, 31, v104
	v_ashrrev_i32_e32 v107, 31, v106
	s_wait_xcnt 0x4
	s_delay_alu instid0(VALU_DEP_2) | instskip(NEXT) | instid1(VALU_DEP_1)
	v_dual_ashrrev_i32 v111, 31, v110 :: v_dual_add_nc_u32 v114, s9, v112
	v_add_nc_u32_e32 v116, s9, v114
	s_wait_loadcnt 0x1c
	scratch_store_b128 off, v[118:121], off offset:64
	s_clause 0x3
	global_load_b32 v150, v100, s[6:7] scale_offset
	global_load_b32 v151, v102, s[6:7] scale_offset
	;; [unrolled: 1-line block ×4, first 2 shown]
	s_wait_xcnt 0x4
	v_add_nc_u32_e32 v118, s9, v116
	s_delay_alu instid0(VALU_DEP_1)
	v_dual_add_nc_u32 v120, s9, v118 :: v_dual_ashrrev_i32 v113, 31, v112
	v_ashrrev_i32_e32 v115, 31, v114
	s_wait_loadcnt 0x1c
	scratch_store_b128 off, v[122:125], off offset:80
	s_wait_xcnt 0x0
	v_dual_add_nc_u32 v122, s9, v120 :: v_dual_ashrrev_i32 v121, 31, v120
	s_delay_alu instid0(VALU_DEP_1)
	v_dual_ashrrev_i32 v123, 31, v122 :: v_dual_add_nc_u32 v124, s9, v122
	v_dual_ashrrev_i32 v117, 31, v116 :: v_dual_ashrrev_i32 v119, 31, v118
	s_wait_loadcnt 0x18
	scratch_store_b128 off, v[126:129], off offset:96
	s_wait_xcnt 0x0
	v_dual_add_nc_u32 v126, s9, v124 :: v_dual_ashrrev_i32 v125, 31, v124
	s_delay_alu instid0(VALU_DEP_1) | instskip(NEXT) | instid1(VALU_DEP_1)
	v_dual_ashrrev_i32 v127, 31, v126 :: v_dual_add_nc_u32 v128, s9, v126
	v_ashrrev_i32_e32 v129, 31, v128
	s_wait_loadcnt 0x14
	scratch_store_b128 off, v[130:133], off offset:112
	s_wait_loadcnt 0x10
	scratch_store_b128 off, v[134:137], off offset:128
	s_clause 0x3
	global_load_b32 v130, v108, s[6:7] scale_offset
	global_load_b32 v131, v110, s[6:7] scale_offset
	;; [unrolled: 1-line block ×4, first 2 shown]
	s_wait_loadcnt 0x10
	scratch_store_b128 off, v[138:141], off offset:144
	s_wait_loadcnt 0xc
	scratch_store_b128 off, v[142:145], off offset:160
	;; [unrolled: 2-line block ×4, first 2 shown]
	s_clause 0x6
	global_load_b32 v134, v116, s[6:7] scale_offset
	global_load_b32 v135, v118, s[6:7] scale_offset
	;; [unrolled: 1-line block ×7, first 2 shown]
	s_wait_loadcnt 0x7
	scratch_store_b128 off, v[130:133], off offset:208
	s_wait_xcnt 0x0
	v_mov_b32_e32 v130, -1.0
	s_wait_loadcnt 0x3
	scratch_store_b128 off, v[134:137], off offset:224
	s_wait_loadcnt 0x0
	scratch_store_b96 off, v[138:140], off offset:240
	s_cbranch_scc1 .LBB62_3
; %bb.2:
	scratch_load_b32 v1, v0, off scale_offset
	s_wait_loadcnt 0x0
	v_div_scale_f32 v7, null, v1, v1, 1.0
	s_delay_alu instid0(VALU_DEP_1) | instskip(SKIP_1) | instid1(TRANS32_DEP_1)
	v_rcp_f32_e32 v130, v7
	v_nop
	v_fma_f32 v131, -v7, v130, 1.0
	s_delay_alu instid0(VALU_DEP_1) | instskip(SKIP_1) | instid1(VALU_DEP_1)
	v_fmac_f32_e32 v130, v131, v130
	v_div_scale_f32 v131, vcc_lo, 1.0, v1, 1.0
	v_mul_f32_e32 v132, v131, v130
	s_delay_alu instid0(VALU_DEP_1) | instskip(NEXT) | instid1(VALU_DEP_1)
	v_fma_f32 v133, -v7, v132, v131
	v_fmac_f32_e32 v132, v133, v130
	s_delay_alu instid0(VALU_DEP_1) | instskip(NEXT) | instid1(VALU_DEP_1)
	v_fma_f32 v7, -v7, v132, v131
	v_div_fmas_f32 v7, v7, v130, v132
	s_delay_alu instid0(VALU_DEP_1) | instskip(NEXT) | instid1(VALU_DEP_1)
	v_div_fixup_f32 v1, v7, v1, 1.0
	v_xor_b32_e32 v130, 0x80000000, v1
	scratch_store_b32 v0, v1, off scale_offset
.LBB62_3:
	s_wait_xcnt 0x0
	v_or_b32_e32 v1, 0x100, v6
	v_mov_b32_e32 v7, v6
	s_cmp_eq_u32 s4, 0x79
	s_mov_b32 s1, -1
	ds_store_b32 v6, v130
	s_cbranch_scc1 .LBB62_617
; %bb.4:
	scratch_load_b32 v130, off, off offset:244
	v_cmp_eq_u32_e64 s0, 62, v0
	s_movk_i32 s1, 0x50
	s_movk_i32 s2, 0x60
	;; [unrolled: 1-line block ×11, first 2 shown]
	s_wait_loadcnt 0x0
	ds_store_b32 v1, v130
	s_wait_storecnt_dscnt 0x0
	s_barrier_signal -1
	s_barrier_wait -1
	s_wait_xcnt 0x0
	s_and_saveexec_b32 s4, s0
	s_cbranch_execz .LBB62_10
; %bb.5:
	s_and_b32 vcc_lo, exec_lo, s3
	s_cbranch_vccz .LBB62_7
; %bb.6:
	scratch_load_b32 v130, v7, off
	ds_load_b32 v131, v1
	s_wait_loadcnt_dscnt 0x0
	v_mul_f32_e32 v130, v130, v131
	s_cbranch_execz .LBB62_8
	s_branch .LBB62_9
.LBB62_7:
                                        ; implicit-def: $vgpr130
.LBB62_8:
	ds_load_b32 v130, v1
.LBB62_9:
	v_mov_b32_e32 v131, 0
	ds_load_b32 v131, v131 offset:244
	s_wait_dscnt 0x0
	v_mul_f32_e32 v130, v130, v131
	scratch_store_b32 off, v130, off offset:244
.LBB62_10:
	s_wait_xcnt 0x0
	s_or_b32 exec_lo, exec_lo, s4
	scratch_load_b32 v130, off, off offset:240
	s_mov_b32 s11, s2
	v_cmp_lt_u32_e64 s2, 60, v0
	s_mov_b32 s4, 16
	s_mov_b32 s5, 32
	;; [unrolled: 1-line block ×5, first 2 shown]
	s_wait_loadcnt 0x0
	ds_store_b32 v1, v130
	s_wait_storecnt_dscnt 0x0
	s_barrier_signal -1
	s_barrier_wait -1
	s_wait_xcnt 0x0
	s_and_saveexec_b32 s1, s2
	s_cbranch_execz .LBB62_16
; %bb.11:
	s_and_not1_b32 vcc_lo, exec_lo, s3
	s_cbranch_vccnz .LBB62_13
; %bb.12:
	scratch_load_b32 v130, v7, off
	ds_load_b32 v131, v1
	s_wait_loadcnt_dscnt 0x0
	v_mul_f32_e32 v130, v130, v131
	s_cbranch_execz .LBB62_14
	s_branch .LBB62_15
.LBB62_13:
                                        ; implicit-def: $vgpr130
.LBB62_14:
	ds_load_b32 v130, v1
.LBB62_15:
	scratch_load_b32 v131, off, off offset:244
	v_mov_b32_e32 v132, 0
	ds_load_2addr_b32 v[132:133], v132 offset0:60 offset1:125
	s_wait_loadcnt_dscnt 0x0
	v_fma_f32 v131, v131, v133, v130
	s_delay_alu instid0(VALU_DEP_1) | instskip(NEXT) | instid1(VALU_DEP_1)
	v_cndmask_b32_e64 v130, v130, v131, s0
	v_mul_f32_e32 v130, v130, v132
	scratch_store_b32 off, v130, off offset:240
.LBB62_16:
	s_wait_xcnt 0x0
	s_or_b32 exec_lo, exec_lo, s1
	scratch_load_b32 v130, off, off offset:236
	v_cmp_lt_u32_e64 s1, 59, v0
	s_wait_loadcnt 0x0
	ds_store_b32 v1, v130
	s_wait_storecnt_dscnt 0x0
	s_barrier_signal -1
	s_barrier_wait -1
	s_wait_xcnt 0x0
	s_and_saveexec_b32 s0, s1
	s_cbranch_execz .LBB62_26
; %bb.17:
	s_and_not1_b32 vcc_lo, exec_lo, s3
	s_cbranch_vccnz .LBB62_19
; %bb.18:
	scratch_load_b32 v130, v7, off
	ds_load_b32 v131, v1
	s_wait_loadcnt_dscnt 0x0
	v_mul_f32_e32 v130, v130, v131
	s_cbranch_execz .LBB62_20
	s_branch .LBB62_21
.LBB62_19:
                                        ; implicit-def: $vgpr130
.LBB62_20:
	ds_load_b32 v130, v1
.LBB62_21:
	s_and_saveexec_b32 s21, s2
	s_cbranch_execz .LBB62_25
; %bb.22:
	v_subrev_nc_u32_e32 v131, 60, v0
	s_movk_i32 s22, 0x1f0
	s_mov_b32 s2, 0
.LBB62_23:                              ; =>This Inner Loop Header: Depth=1
	scratch_load_b32 v132, off, s20
	v_dual_mov_b32 v133, s22 :: v_dual_add_nc_u32 v131, -1, v131
	s_add_co_i32 s22, s22, 4
	s_wait_xcnt 0x0
	s_add_co_i32 s20, s20, 4
	ds_load_b32 v133, v133
	v_cmp_eq_u32_e32 vcc_lo, 0, v131
	s_or_b32 s2, vcc_lo, s2
	s_wait_loadcnt_dscnt 0x0
	v_fmac_f32_e32 v130, v132, v133
	s_and_not1_b32 exec_lo, exec_lo, s2
	s_cbranch_execnz .LBB62_23
; %bb.24:
	s_or_b32 exec_lo, exec_lo, s2
.LBB62_25:
	s_delay_alu instid0(SALU_CYCLE_1)
	s_or_b32 exec_lo, exec_lo, s21
	v_mov_b32_e32 v131, 0
	ds_load_b32 v131, v131 offset:236
	s_wait_dscnt 0x0
	v_mul_f32_e32 v130, v130, v131
	scratch_store_b32 off, v130, off offset:236
.LBB62_26:
	s_wait_xcnt 0x0
	s_or_b32 exec_lo, exec_lo, s0
	scratch_load_b32 v130, off, off offset:232
	v_cmp_lt_u32_e64 s0, 58, v0
	s_wait_loadcnt 0x0
	ds_store_b32 v1, v130
	s_wait_storecnt_dscnt 0x0
	s_barrier_signal -1
	s_barrier_wait -1
	s_wait_xcnt 0x0
	s_and_saveexec_b32 s2, s0
	s_cbranch_execz .LBB62_36
; %bb.27:
	s_and_not1_b32 vcc_lo, exec_lo, s3
	s_cbranch_vccnz .LBB62_29
; %bb.28:
	scratch_load_b32 v130, v7, off
	ds_load_b32 v131, v1
	s_wait_loadcnt_dscnt 0x0
	v_mul_f32_e32 v130, v130, v131
	s_cbranch_execz .LBB62_30
	s_branch .LBB62_31
.LBB62_29:
                                        ; implicit-def: $vgpr130
.LBB62_30:
	ds_load_b32 v130, v1
.LBB62_31:
	s_and_saveexec_b32 s20, s1
	s_cbranch_execz .LBB62_35
; %bb.32:
	v_subrev_nc_u32_e32 v131, 59, v0
	s_movk_i32 s1, 0xec
	s_movk_i32 s22, 0x1ec
	s_mov_b32 s21, 0
.LBB62_33:                              ; =>This Inner Loop Header: Depth=1
	scratch_load_b32 v132, off, s1
	v_dual_mov_b32 v133, s22 :: v_dual_add_nc_u32 v131, -1, v131
	s_add_co_i32 s22, s22, 4
	s_wait_xcnt 0x0
	s_add_co_i32 s1, s1, 4
	ds_load_b32 v133, v133
	v_cmp_eq_u32_e32 vcc_lo, 0, v131
	s_or_b32 s21, vcc_lo, s21
	s_wait_loadcnt_dscnt 0x0
	v_fmac_f32_e32 v130, v132, v133
	s_and_not1_b32 exec_lo, exec_lo, s21
	s_cbranch_execnz .LBB62_33
; %bb.34:
	s_or_b32 exec_lo, exec_lo, s21
.LBB62_35:
	s_delay_alu instid0(SALU_CYCLE_1)
	s_or_b32 exec_lo, exec_lo, s20
	v_mov_b32_e32 v131, 0
	ds_load_b32 v131, v131 offset:232
	s_wait_dscnt 0x0
	v_mul_f32_e32 v130, v130, v131
	scratch_store_b32 off, v130, off offset:232
.LBB62_36:
	s_wait_xcnt 0x0
	s_or_b32 exec_lo, exec_lo, s2
	scratch_load_b32 v130, off, off offset:228
	v_cmp_lt_u32_e64 s1, 57, v0
	s_wait_loadcnt 0x0
	ds_store_b32 v1, v130
	s_wait_storecnt_dscnt 0x0
	s_barrier_signal -1
	s_barrier_wait -1
	s_wait_xcnt 0x0
	s_and_saveexec_b32 s2, s1
	s_cbranch_execz .LBB62_46
; %bb.37:
	s_and_not1_b32 vcc_lo, exec_lo, s3
	s_cbranch_vccnz .LBB62_39
; %bb.38:
	scratch_load_b32 v130, v7, off
	ds_load_b32 v131, v1
	s_wait_loadcnt_dscnt 0x0
	v_mul_f32_e32 v130, v130, v131
	s_cbranch_execz .LBB62_40
	s_branch .LBB62_41
.LBB62_39:
                                        ; implicit-def: $vgpr130
.LBB62_40:
	ds_load_b32 v130, v1
.LBB62_41:
	s_and_saveexec_b32 s20, s0
	s_cbranch_execz .LBB62_45
; %bb.42:
	v_subrev_nc_u32_e32 v131, 58, v0
	s_movk_i32 s0, 0xe8
	s_movk_i32 s22, 0x1e8
	s_mov_b32 s21, 0
.LBB62_43:                              ; =>This Inner Loop Header: Depth=1
	scratch_load_b32 v132, off, s0
	v_dual_mov_b32 v133, s22 :: v_dual_add_nc_u32 v131, -1, v131
	s_add_co_i32 s22, s22, 4
	s_wait_xcnt 0x0
	s_add_co_i32 s0, s0, 4
	ds_load_b32 v133, v133
	v_cmp_eq_u32_e32 vcc_lo, 0, v131
	s_or_b32 s21, vcc_lo, s21
	s_wait_loadcnt_dscnt 0x0
	v_fmac_f32_e32 v130, v132, v133
	s_and_not1_b32 exec_lo, exec_lo, s21
	s_cbranch_execnz .LBB62_43
; %bb.44:
	s_or_b32 exec_lo, exec_lo, s21
.LBB62_45:
	s_delay_alu instid0(SALU_CYCLE_1)
	s_or_b32 exec_lo, exec_lo, s20
	v_mov_b32_e32 v131, 0
	ds_load_b32 v131, v131 offset:228
	s_wait_dscnt 0x0
	v_mul_f32_e32 v130, v130, v131
	scratch_store_b32 off, v130, off offset:228
.LBB62_46:
	;; [unrolled: 58-line block ×3, first 2 shown]
	s_wait_xcnt 0x0
	s_or_b32 exec_lo, exec_lo, s2
	scratch_load_b32 v130, off, off offset:220
	v_cmp_lt_u32_e64 s1, 55, v0
	s_wait_loadcnt 0x0
	ds_store_b32 v1, v130
	s_wait_storecnt_dscnt 0x0
	s_barrier_signal -1
	s_barrier_wait -1
	s_wait_xcnt 0x0
	s_and_saveexec_b32 s2, s1
	s_cbranch_execz .LBB62_66
; %bb.57:
	s_and_not1_b32 vcc_lo, exec_lo, s3
	s_cbranch_vccnz .LBB62_59
; %bb.58:
	scratch_load_b32 v130, v7, off
	ds_load_b32 v131, v1
	s_wait_loadcnt_dscnt 0x0
	v_mul_f32_e32 v130, v130, v131
	s_cbranch_execz .LBB62_60
	s_branch .LBB62_61
.LBB62_59:
                                        ; implicit-def: $vgpr130
.LBB62_60:
	ds_load_b32 v130, v1
.LBB62_61:
	s_and_saveexec_b32 s20, s0
	s_cbranch_execz .LBB62_65
; %bb.62:
	v_subrev_nc_u32_e32 v131, 56, v0
	s_movk_i32 s21, 0x1e0
	s_mov_b32 s0, 0
.LBB62_63:                              ; =>This Inner Loop Header: Depth=1
	scratch_load_b32 v132, off, s19
	v_dual_mov_b32 v133, s21 :: v_dual_add_nc_u32 v131, -1, v131
	s_add_co_i32 s21, s21, 4
	s_wait_xcnt 0x0
	s_add_co_i32 s19, s19, 4
	ds_load_b32 v133, v133
	v_cmp_eq_u32_e32 vcc_lo, 0, v131
	s_or_b32 s0, vcc_lo, s0
	s_wait_loadcnt_dscnt 0x0
	v_fmac_f32_e32 v130, v132, v133
	s_and_not1_b32 exec_lo, exec_lo, s0
	s_cbranch_execnz .LBB62_63
; %bb.64:
	s_or_b32 exec_lo, exec_lo, s0
.LBB62_65:
	s_delay_alu instid0(SALU_CYCLE_1)
	s_or_b32 exec_lo, exec_lo, s20
	v_mov_b32_e32 v131, 0
	ds_load_b32 v131, v131 offset:220
	s_wait_dscnt 0x0
	v_mul_f32_e32 v130, v130, v131
	scratch_store_b32 off, v130, off offset:220
.LBB62_66:
	s_wait_xcnt 0x0
	s_or_b32 exec_lo, exec_lo, s2
	scratch_load_b32 v130, off, off offset:216
	v_cmp_lt_u32_e64 s0, 54, v0
	s_wait_loadcnt 0x0
	ds_store_b32 v1, v130
	s_wait_storecnt_dscnt 0x0
	s_barrier_signal -1
	s_barrier_wait -1
	s_wait_xcnt 0x0
	s_and_saveexec_b32 s2, s0
	s_cbranch_execz .LBB62_76
; %bb.67:
	s_and_not1_b32 vcc_lo, exec_lo, s3
	s_cbranch_vccnz .LBB62_69
; %bb.68:
	scratch_load_b32 v130, v7, off
	ds_load_b32 v131, v1
	s_wait_loadcnt_dscnt 0x0
	v_mul_f32_e32 v130, v130, v131
	s_cbranch_execz .LBB62_70
	s_branch .LBB62_71
.LBB62_69:
                                        ; implicit-def: $vgpr130
.LBB62_70:
	ds_load_b32 v130, v1
.LBB62_71:
	s_and_saveexec_b32 s19, s1
	s_cbranch_execz .LBB62_75
; %bb.72:
	v_subrev_nc_u32_e32 v131, 55, v0
	s_movk_i32 s1, 0xdc
	s_movk_i32 s21, 0x1dc
	s_mov_b32 s20, 0
.LBB62_73:                              ; =>This Inner Loop Header: Depth=1
	scratch_load_b32 v132, off, s1
	v_dual_mov_b32 v133, s21 :: v_dual_add_nc_u32 v131, -1, v131
	s_add_co_i32 s21, s21, 4
	s_wait_xcnt 0x0
	s_add_co_i32 s1, s1, 4
	ds_load_b32 v133, v133
	v_cmp_eq_u32_e32 vcc_lo, 0, v131
	s_or_b32 s20, vcc_lo, s20
	s_wait_loadcnt_dscnt 0x0
	v_fmac_f32_e32 v130, v132, v133
	s_and_not1_b32 exec_lo, exec_lo, s20
	s_cbranch_execnz .LBB62_73
; %bb.74:
	s_or_b32 exec_lo, exec_lo, s20
.LBB62_75:
	s_delay_alu instid0(SALU_CYCLE_1)
	s_or_b32 exec_lo, exec_lo, s19
	v_mov_b32_e32 v131, 0
	ds_load_b32 v131, v131 offset:216
	s_wait_dscnt 0x0
	v_mul_f32_e32 v130, v130, v131
	scratch_store_b32 off, v130, off offset:216
.LBB62_76:
	s_wait_xcnt 0x0
	s_or_b32 exec_lo, exec_lo, s2
	scratch_load_b32 v130, off, off offset:212
	v_cmp_lt_u32_e64 s1, 53, v0
	s_wait_loadcnt 0x0
	ds_store_b32 v1, v130
	s_wait_storecnt_dscnt 0x0
	s_barrier_signal -1
	s_barrier_wait -1
	s_wait_xcnt 0x0
	s_and_saveexec_b32 s2, s1
	s_cbranch_execz .LBB62_86
; %bb.77:
	s_and_not1_b32 vcc_lo, exec_lo, s3
	s_cbranch_vccnz .LBB62_79
; %bb.78:
	scratch_load_b32 v130, v7, off
	ds_load_b32 v131, v1
	s_wait_loadcnt_dscnt 0x0
	v_mul_f32_e32 v130, v130, v131
	s_cbranch_execz .LBB62_80
	s_branch .LBB62_81
.LBB62_79:
                                        ; implicit-def: $vgpr130
.LBB62_80:
	ds_load_b32 v130, v1
.LBB62_81:
	s_and_saveexec_b32 s19, s0
	s_cbranch_execz .LBB62_85
; %bb.82:
	v_subrev_nc_u32_e32 v131, 54, v0
	s_movk_i32 s0, 0xd8
	s_movk_i32 s21, 0x1d8
	s_mov_b32 s20, 0
.LBB62_83:                              ; =>This Inner Loop Header: Depth=1
	scratch_load_b32 v132, off, s0
	v_dual_mov_b32 v133, s21 :: v_dual_add_nc_u32 v131, -1, v131
	s_add_co_i32 s21, s21, 4
	s_wait_xcnt 0x0
	s_add_co_i32 s0, s0, 4
	ds_load_b32 v133, v133
	v_cmp_eq_u32_e32 vcc_lo, 0, v131
	s_or_b32 s20, vcc_lo, s20
	s_wait_loadcnt_dscnt 0x0
	v_fmac_f32_e32 v130, v132, v133
	s_and_not1_b32 exec_lo, exec_lo, s20
	s_cbranch_execnz .LBB62_83
; %bb.84:
	s_or_b32 exec_lo, exec_lo, s20
.LBB62_85:
	s_delay_alu instid0(SALU_CYCLE_1)
	s_or_b32 exec_lo, exec_lo, s19
	v_mov_b32_e32 v131, 0
	ds_load_b32 v131, v131 offset:212
	s_wait_dscnt 0x0
	v_mul_f32_e32 v130, v130, v131
	scratch_store_b32 off, v130, off offset:212
.LBB62_86:
	s_wait_xcnt 0x0
	s_or_b32 exec_lo, exec_lo, s2
	scratch_load_b32 v130, off, off offset:208
	v_cmp_lt_u32_e64 s0, 52, v0
	s_wait_loadcnt 0x0
	ds_store_b32 v1, v130
	s_wait_storecnt_dscnt 0x0
	s_barrier_signal -1
	s_barrier_wait -1
	s_wait_xcnt 0x0
	s_and_saveexec_b32 s2, s0
	s_cbranch_execz .LBB62_96
; %bb.87:
	s_and_not1_b32 vcc_lo, exec_lo, s3
	s_cbranch_vccnz .LBB62_89
; %bb.88:
	scratch_load_b32 v130, v7, off
	ds_load_b32 v131, v1
	s_wait_loadcnt_dscnt 0x0
	v_mul_f32_e32 v130, v130, v131
	s_cbranch_execz .LBB62_90
	s_branch .LBB62_91
.LBB62_89:
                                        ; implicit-def: $vgpr130
.LBB62_90:
	ds_load_b32 v130, v1
.LBB62_91:
	s_and_saveexec_b32 s19, s1
	s_cbranch_execz .LBB62_95
; %bb.92:
	v_subrev_nc_u32_e32 v131, 53, v0
	s_movk_i32 s1, 0xd4
	s_movk_i32 s21, 0x1d4
	s_mov_b32 s20, 0
.LBB62_93:                              ; =>This Inner Loop Header: Depth=1
	scratch_load_b32 v132, off, s1
	v_dual_mov_b32 v133, s21 :: v_dual_add_nc_u32 v131, -1, v131
	s_add_co_i32 s21, s21, 4
	s_wait_xcnt 0x0
	s_add_co_i32 s1, s1, 4
	ds_load_b32 v133, v133
	v_cmp_eq_u32_e32 vcc_lo, 0, v131
	s_or_b32 s20, vcc_lo, s20
	s_wait_loadcnt_dscnt 0x0
	v_fmac_f32_e32 v130, v132, v133
	s_and_not1_b32 exec_lo, exec_lo, s20
	s_cbranch_execnz .LBB62_93
; %bb.94:
	s_or_b32 exec_lo, exec_lo, s20
.LBB62_95:
	s_delay_alu instid0(SALU_CYCLE_1)
	s_or_b32 exec_lo, exec_lo, s19
	v_mov_b32_e32 v131, 0
	ds_load_b32 v131, v131 offset:208
	s_wait_dscnt 0x0
	v_mul_f32_e32 v130, v130, v131
	scratch_store_b32 off, v130, off offset:208
.LBB62_96:
	s_wait_xcnt 0x0
	s_or_b32 exec_lo, exec_lo, s2
	scratch_load_b32 v130, off, off offset:204
	v_cmp_lt_u32_e64 s1, 51, v0
	s_wait_loadcnt 0x0
	ds_store_b32 v1, v130
	s_wait_storecnt_dscnt 0x0
	s_barrier_signal -1
	s_barrier_wait -1
	s_wait_xcnt 0x0
	s_and_saveexec_b32 s2, s1
	s_cbranch_execz .LBB62_106
; %bb.97:
	s_and_not1_b32 vcc_lo, exec_lo, s3
	s_cbranch_vccnz .LBB62_99
; %bb.98:
	scratch_load_b32 v130, v7, off
	ds_load_b32 v131, v1
	s_wait_loadcnt_dscnt 0x0
	v_mul_f32_e32 v130, v130, v131
	s_cbranch_execz .LBB62_100
	s_branch .LBB62_101
.LBB62_99:
                                        ; implicit-def: $vgpr130
.LBB62_100:
	ds_load_b32 v130, v1
.LBB62_101:
	s_and_saveexec_b32 s19, s0
	s_cbranch_execz .LBB62_105
; %bb.102:
	v_subrev_nc_u32_e32 v131, 52, v0
	s_movk_i32 s20, 0x1d0
	s_mov_b32 s0, 0
.LBB62_103:                             ; =>This Inner Loop Header: Depth=1
	scratch_load_b32 v132, off, s18
	v_dual_mov_b32 v133, s20 :: v_dual_add_nc_u32 v131, -1, v131
	s_add_co_i32 s20, s20, 4
	s_wait_xcnt 0x0
	s_add_co_i32 s18, s18, 4
	ds_load_b32 v133, v133
	v_cmp_eq_u32_e32 vcc_lo, 0, v131
	s_or_b32 s0, vcc_lo, s0
	s_wait_loadcnt_dscnt 0x0
	v_fmac_f32_e32 v130, v132, v133
	s_and_not1_b32 exec_lo, exec_lo, s0
	s_cbranch_execnz .LBB62_103
; %bb.104:
	s_or_b32 exec_lo, exec_lo, s0
.LBB62_105:
	s_delay_alu instid0(SALU_CYCLE_1)
	s_or_b32 exec_lo, exec_lo, s19
	v_mov_b32_e32 v131, 0
	ds_load_b32 v131, v131 offset:204
	s_wait_dscnt 0x0
	v_mul_f32_e32 v130, v130, v131
	scratch_store_b32 off, v130, off offset:204
.LBB62_106:
	s_wait_xcnt 0x0
	s_or_b32 exec_lo, exec_lo, s2
	scratch_load_b32 v130, off, off offset:200
	v_cmp_lt_u32_e64 s0, 50, v0
	s_wait_loadcnt 0x0
	ds_store_b32 v1, v130
	s_wait_storecnt_dscnt 0x0
	s_barrier_signal -1
	s_barrier_wait -1
	s_wait_xcnt 0x0
	s_and_saveexec_b32 s2, s0
	s_cbranch_execz .LBB62_116
; %bb.107:
	s_and_not1_b32 vcc_lo, exec_lo, s3
	s_cbranch_vccnz .LBB62_109
; %bb.108:
	scratch_load_b32 v130, v7, off
	ds_load_b32 v131, v1
	s_wait_loadcnt_dscnt 0x0
	v_mul_f32_e32 v130, v130, v131
	s_cbranch_execz .LBB62_110
	s_branch .LBB62_111
.LBB62_109:
                                        ; implicit-def: $vgpr130
.LBB62_110:
	ds_load_b32 v130, v1
.LBB62_111:
	s_and_saveexec_b32 s18, s1
	s_cbranch_execz .LBB62_115
; %bb.112:
	v_subrev_nc_u32_e32 v131, 51, v0
	s_movk_i32 s1, 0xcc
	s_movk_i32 s20, 0x1cc
	s_mov_b32 s19, 0
.LBB62_113:                             ; =>This Inner Loop Header: Depth=1
	scratch_load_b32 v132, off, s1
	v_dual_mov_b32 v133, s20 :: v_dual_add_nc_u32 v131, -1, v131
	s_add_co_i32 s20, s20, 4
	s_wait_xcnt 0x0
	s_add_co_i32 s1, s1, 4
	ds_load_b32 v133, v133
	v_cmp_eq_u32_e32 vcc_lo, 0, v131
	s_or_b32 s19, vcc_lo, s19
	s_wait_loadcnt_dscnt 0x0
	v_fmac_f32_e32 v130, v132, v133
	s_and_not1_b32 exec_lo, exec_lo, s19
	s_cbranch_execnz .LBB62_113
; %bb.114:
	s_or_b32 exec_lo, exec_lo, s19
.LBB62_115:
	s_delay_alu instid0(SALU_CYCLE_1)
	s_or_b32 exec_lo, exec_lo, s18
	v_mov_b32_e32 v131, 0
	ds_load_b32 v131, v131 offset:200
	s_wait_dscnt 0x0
	v_mul_f32_e32 v130, v130, v131
	scratch_store_b32 off, v130, off offset:200
.LBB62_116:
	s_wait_xcnt 0x0
	s_or_b32 exec_lo, exec_lo, s2
	scratch_load_b32 v130, off, off offset:196
	v_cmp_lt_u32_e64 s1, 49, v0
	s_wait_loadcnt 0x0
	ds_store_b32 v1, v130
	s_wait_storecnt_dscnt 0x0
	s_barrier_signal -1
	s_barrier_wait -1
	s_wait_xcnt 0x0
	s_and_saveexec_b32 s2, s1
	s_cbranch_execz .LBB62_126
; %bb.117:
	s_and_not1_b32 vcc_lo, exec_lo, s3
	s_cbranch_vccnz .LBB62_119
; %bb.118:
	scratch_load_b32 v130, v7, off
	ds_load_b32 v131, v1
	s_wait_loadcnt_dscnt 0x0
	v_mul_f32_e32 v130, v130, v131
	s_cbranch_execz .LBB62_120
	s_branch .LBB62_121
.LBB62_119:
                                        ; implicit-def: $vgpr130
.LBB62_120:
	ds_load_b32 v130, v1
.LBB62_121:
	s_and_saveexec_b32 s18, s0
	s_cbranch_execz .LBB62_125
; %bb.122:
	v_subrev_nc_u32_e32 v131, 50, v0
	s_movk_i32 s0, 0xc8
	s_movk_i32 s20, 0x1c8
	s_mov_b32 s19, 0
.LBB62_123:                             ; =>This Inner Loop Header: Depth=1
	scratch_load_b32 v132, off, s0
	v_dual_mov_b32 v133, s20 :: v_dual_add_nc_u32 v131, -1, v131
	s_add_co_i32 s20, s20, 4
	s_wait_xcnt 0x0
	s_add_co_i32 s0, s0, 4
	ds_load_b32 v133, v133
	v_cmp_eq_u32_e32 vcc_lo, 0, v131
	s_or_b32 s19, vcc_lo, s19
	s_wait_loadcnt_dscnt 0x0
	v_fmac_f32_e32 v130, v132, v133
	s_and_not1_b32 exec_lo, exec_lo, s19
	s_cbranch_execnz .LBB62_123
; %bb.124:
	s_or_b32 exec_lo, exec_lo, s19
.LBB62_125:
	s_delay_alu instid0(SALU_CYCLE_1)
	s_or_b32 exec_lo, exec_lo, s18
	v_mov_b32_e32 v131, 0
	ds_load_b32 v131, v131 offset:196
	s_wait_dscnt 0x0
	v_mul_f32_e32 v130, v130, v131
	scratch_store_b32 off, v130, off offset:196
.LBB62_126:
	;; [unrolled: 58-line block ×3, first 2 shown]
	s_wait_xcnt 0x0
	s_or_b32 exec_lo, exec_lo, s2
	scratch_load_b32 v130, off, off offset:188
	v_cmp_lt_u32_e64 s1, 47, v0
	s_wait_loadcnt 0x0
	ds_store_b32 v1, v130
	s_wait_storecnt_dscnt 0x0
	s_barrier_signal -1
	s_barrier_wait -1
	s_wait_xcnt 0x0
	s_and_saveexec_b32 s2, s1
	s_cbranch_execz .LBB62_146
; %bb.137:
	s_and_not1_b32 vcc_lo, exec_lo, s3
	s_cbranch_vccnz .LBB62_139
; %bb.138:
	scratch_load_b32 v130, v7, off
	ds_load_b32 v131, v1
	s_wait_loadcnt_dscnt 0x0
	v_mul_f32_e32 v130, v130, v131
	s_cbranch_execz .LBB62_140
	s_branch .LBB62_141
.LBB62_139:
                                        ; implicit-def: $vgpr130
.LBB62_140:
	ds_load_b32 v130, v1
.LBB62_141:
	s_and_saveexec_b32 s18, s0
	s_cbranch_execz .LBB62_145
; %bb.142:
	v_subrev_nc_u32_e32 v131, 48, v0
	s_movk_i32 s19, 0x1c0
	s_mov_b32 s0, 0
.LBB62_143:                             ; =>This Inner Loop Header: Depth=1
	scratch_load_b32 v132, off, s17
	v_dual_mov_b32 v133, s19 :: v_dual_add_nc_u32 v131, -1, v131
	s_add_co_i32 s19, s19, 4
	s_wait_xcnt 0x0
	s_add_co_i32 s17, s17, 4
	ds_load_b32 v133, v133
	v_cmp_eq_u32_e32 vcc_lo, 0, v131
	s_or_b32 s0, vcc_lo, s0
	s_wait_loadcnt_dscnt 0x0
	v_fmac_f32_e32 v130, v132, v133
	s_and_not1_b32 exec_lo, exec_lo, s0
	s_cbranch_execnz .LBB62_143
; %bb.144:
	s_or_b32 exec_lo, exec_lo, s0
.LBB62_145:
	s_delay_alu instid0(SALU_CYCLE_1)
	s_or_b32 exec_lo, exec_lo, s18
	v_mov_b32_e32 v131, 0
	ds_load_b32 v131, v131 offset:188
	s_wait_dscnt 0x0
	v_mul_f32_e32 v130, v130, v131
	scratch_store_b32 off, v130, off offset:188
.LBB62_146:
	s_wait_xcnt 0x0
	s_or_b32 exec_lo, exec_lo, s2
	scratch_load_b32 v130, off, off offset:184
	v_cmp_lt_u32_e64 s0, 46, v0
	s_wait_loadcnt 0x0
	ds_store_b32 v1, v130
	s_wait_storecnt_dscnt 0x0
	s_barrier_signal -1
	s_barrier_wait -1
	s_wait_xcnt 0x0
	s_and_saveexec_b32 s2, s0
	s_cbranch_execz .LBB62_156
; %bb.147:
	s_and_not1_b32 vcc_lo, exec_lo, s3
	s_cbranch_vccnz .LBB62_149
; %bb.148:
	scratch_load_b32 v130, v7, off
	ds_load_b32 v131, v1
	s_wait_loadcnt_dscnt 0x0
	v_mul_f32_e32 v130, v130, v131
	s_cbranch_execz .LBB62_150
	s_branch .LBB62_151
.LBB62_149:
                                        ; implicit-def: $vgpr130
.LBB62_150:
	ds_load_b32 v130, v1
.LBB62_151:
	s_and_saveexec_b32 s17, s1
	s_cbranch_execz .LBB62_155
; %bb.152:
	v_subrev_nc_u32_e32 v131, 47, v0
	s_movk_i32 s1, 0xbc
	s_movk_i32 s19, 0x1bc
	s_mov_b32 s18, 0
.LBB62_153:                             ; =>This Inner Loop Header: Depth=1
	scratch_load_b32 v132, off, s1
	v_dual_mov_b32 v133, s19 :: v_dual_add_nc_u32 v131, -1, v131
	s_add_co_i32 s19, s19, 4
	s_wait_xcnt 0x0
	s_add_co_i32 s1, s1, 4
	ds_load_b32 v133, v133
	v_cmp_eq_u32_e32 vcc_lo, 0, v131
	s_or_b32 s18, vcc_lo, s18
	s_wait_loadcnt_dscnt 0x0
	v_fmac_f32_e32 v130, v132, v133
	s_and_not1_b32 exec_lo, exec_lo, s18
	s_cbranch_execnz .LBB62_153
; %bb.154:
	s_or_b32 exec_lo, exec_lo, s18
.LBB62_155:
	s_delay_alu instid0(SALU_CYCLE_1)
	s_or_b32 exec_lo, exec_lo, s17
	v_mov_b32_e32 v131, 0
	ds_load_b32 v131, v131 offset:184
	s_wait_dscnt 0x0
	v_mul_f32_e32 v130, v130, v131
	scratch_store_b32 off, v130, off offset:184
.LBB62_156:
	s_wait_xcnt 0x0
	s_or_b32 exec_lo, exec_lo, s2
	scratch_load_b32 v130, off, off offset:180
	v_cmp_lt_u32_e64 s1, 45, v0
	s_wait_loadcnt 0x0
	ds_store_b32 v1, v130
	s_wait_storecnt_dscnt 0x0
	s_barrier_signal -1
	s_barrier_wait -1
	s_wait_xcnt 0x0
	s_and_saveexec_b32 s2, s1
	s_cbranch_execz .LBB62_166
; %bb.157:
	s_and_not1_b32 vcc_lo, exec_lo, s3
	s_cbranch_vccnz .LBB62_159
; %bb.158:
	scratch_load_b32 v130, v7, off
	ds_load_b32 v131, v1
	s_wait_loadcnt_dscnt 0x0
	v_mul_f32_e32 v130, v130, v131
	s_cbranch_execz .LBB62_160
	s_branch .LBB62_161
.LBB62_159:
                                        ; implicit-def: $vgpr130
.LBB62_160:
	ds_load_b32 v130, v1
.LBB62_161:
	s_and_saveexec_b32 s17, s0
	s_cbranch_execz .LBB62_165
; %bb.162:
	v_subrev_nc_u32_e32 v131, 46, v0
	s_movk_i32 s0, 0xb8
	s_movk_i32 s19, 0x1b8
	s_mov_b32 s18, 0
.LBB62_163:                             ; =>This Inner Loop Header: Depth=1
	scratch_load_b32 v132, off, s0
	v_dual_mov_b32 v133, s19 :: v_dual_add_nc_u32 v131, -1, v131
	s_add_co_i32 s19, s19, 4
	s_wait_xcnt 0x0
	s_add_co_i32 s0, s0, 4
	ds_load_b32 v133, v133
	v_cmp_eq_u32_e32 vcc_lo, 0, v131
	s_or_b32 s18, vcc_lo, s18
	s_wait_loadcnt_dscnt 0x0
	v_fmac_f32_e32 v130, v132, v133
	s_and_not1_b32 exec_lo, exec_lo, s18
	s_cbranch_execnz .LBB62_163
; %bb.164:
	s_or_b32 exec_lo, exec_lo, s18
.LBB62_165:
	s_delay_alu instid0(SALU_CYCLE_1)
	s_or_b32 exec_lo, exec_lo, s17
	v_mov_b32_e32 v131, 0
	ds_load_b32 v131, v131 offset:180
	s_wait_dscnt 0x0
	v_mul_f32_e32 v130, v130, v131
	scratch_store_b32 off, v130, off offset:180
.LBB62_166:
	;; [unrolled: 58-line block ×3, first 2 shown]
	s_wait_xcnt 0x0
	s_or_b32 exec_lo, exec_lo, s2
	scratch_load_b32 v130, off, off offset:172
	v_cmp_lt_u32_e64 s1, 43, v0
	s_wait_loadcnt 0x0
	ds_store_b32 v1, v130
	s_wait_storecnt_dscnt 0x0
	s_barrier_signal -1
	s_barrier_wait -1
	s_wait_xcnt 0x0
	s_and_saveexec_b32 s2, s1
	s_cbranch_execz .LBB62_186
; %bb.177:
	s_and_not1_b32 vcc_lo, exec_lo, s3
	s_cbranch_vccnz .LBB62_179
; %bb.178:
	scratch_load_b32 v130, v7, off
	ds_load_b32 v131, v1
	s_wait_loadcnt_dscnt 0x0
	v_mul_f32_e32 v130, v130, v131
	s_cbranch_execz .LBB62_180
	s_branch .LBB62_181
.LBB62_179:
                                        ; implicit-def: $vgpr130
.LBB62_180:
	ds_load_b32 v130, v1
.LBB62_181:
	s_and_saveexec_b32 s17, s0
	s_cbranch_execz .LBB62_185
; %bb.182:
	v_subrev_nc_u32_e32 v131, 44, v0
	s_movk_i32 s18, 0x1b0
	s_mov_b32 s0, 0
.LBB62_183:                             ; =>This Inner Loop Header: Depth=1
	scratch_load_b32 v132, off, s16
	v_dual_mov_b32 v133, s18 :: v_dual_add_nc_u32 v131, -1, v131
	s_add_co_i32 s18, s18, 4
	s_wait_xcnt 0x0
	s_add_co_i32 s16, s16, 4
	ds_load_b32 v133, v133
	v_cmp_eq_u32_e32 vcc_lo, 0, v131
	s_or_b32 s0, vcc_lo, s0
	s_wait_loadcnt_dscnt 0x0
	v_fmac_f32_e32 v130, v132, v133
	s_and_not1_b32 exec_lo, exec_lo, s0
	s_cbranch_execnz .LBB62_183
; %bb.184:
	s_or_b32 exec_lo, exec_lo, s0
.LBB62_185:
	s_delay_alu instid0(SALU_CYCLE_1)
	s_or_b32 exec_lo, exec_lo, s17
	v_mov_b32_e32 v131, 0
	ds_load_b32 v131, v131 offset:172
	s_wait_dscnt 0x0
	v_mul_f32_e32 v130, v130, v131
	scratch_store_b32 off, v130, off offset:172
.LBB62_186:
	s_wait_xcnt 0x0
	s_or_b32 exec_lo, exec_lo, s2
	scratch_load_b32 v130, off, off offset:168
	v_cmp_lt_u32_e64 s0, 42, v0
	s_wait_loadcnt 0x0
	ds_store_b32 v1, v130
	s_wait_storecnt_dscnt 0x0
	s_barrier_signal -1
	s_barrier_wait -1
	s_wait_xcnt 0x0
	s_and_saveexec_b32 s2, s0
	s_cbranch_execz .LBB62_196
; %bb.187:
	s_and_not1_b32 vcc_lo, exec_lo, s3
	s_cbranch_vccnz .LBB62_189
; %bb.188:
	scratch_load_b32 v130, v7, off
	ds_load_b32 v131, v1
	s_wait_loadcnt_dscnt 0x0
	v_mul_f32_e32 v130, v130, v131
	s_cbranch_execz .LBB62_190
	s_branch .LBB62_191
.LBB62_189:
                                        ; implicit-def: $vgpr130
.LBB62_190:
	ds_load_b32 v130, v1
.LBB62_191:
	s_and_saveexec_b32 s16, s1
	s_cbranch_execz .LBB62_195
; %bb.192:
	v_subrev_nc_u32_e32 v131, 43, v0
	s_movk_i32 s1, 0xac
	s_movk_i32 s18, 0x1ac
	s_mov_b32 s17, 0
.LBB62_193:                             ; =>This Inner Loop Header: Depth=1
	scratch_load_b32 v132, off, s1
	v_dual_mov_b32 v133, s18 :: v_dual_add_nc_u32 v131, -1, v131
	s_add_co_i32 s18, s18, 4
	s_wait_xcnt 0x0
	s_add_co_i32 s1, s1, 4
	ds_load_b32 v133, v133
	v_cmp_eq_u32_e32 vcc_lo, 0, v131
	s_or_b32 s17, vcc_lo, s17
	s_wait_loadcnt_dscnt 0x0
	v_fmac_f32_e32 v130, v132, v133
	s_and_not1_b32 exec_lo, exec_lo, s17
	s_cbranch_execnz .LBB62_193
; %bb.194:
	s_or_b32 exec_lo, exec_lo, s17
.LBB62_195:
	s_delay_alu instid0(SALU_CYCLE_1)
	s_or_b32 exec_lo, exec_lo, s16
	v_mov_b32_e32 v131, 0
	ds_load_b32 v131, v131 offset:168
	s_wait_dscnt 0x0
	v_mul_f32_e32 v130, v130, v131
	scratch_store_b32 off, v130, off offset:168
.LBB62_196:
	s_wait_xcnt 0x0
	s_or_b32 exec_lo, exec_lo, s2
	scratch_load_b32 v130, off, off offset:164
	v_cmp_lt_u32_e64 s1, 41, v0
	s_wait_loadcnt 0x0
	ds_store_b32 v1, v130
	s_wait_storecnt_dscnt 0x0
	s_barrier_signal -1
	s_barrier_wait -1
	s_wait_xcnt 0x0
	s_and_saveexec_b32 s2, s1
	s_cbranch_execz .LBB62_206
; %bb.197:
	s_and_not1_b32 vcc_lo, exec_lo, s3
	s_cbranch_vccnz .LBB62_199
; %bb.198:
	scratch_load_b32 v130, v7, off
	ds_load_b32 v131, v1
	s_wait_loadcnt_dscnt 0x0
	v_mul_f32_e32 v130, v130, v131
	s_cbranch_execz .LBB62_200
	s_branch .LBB62_201
.LBB62_199:
                                        ; implicit-def: $vgpr130
.LBB62_200:
	ds_load_b32 v130, v1
.LBB62_201:
	s_and_saveexec_b32 s16, s0
	s_cbranch_execz .LBB62_205
; %bb.202:
	v_subrev_nc_u32_e32 v131, 42, v0
	s_movk_i32 s0, 0xa8
	s_movk_i32 s18, 0x1a8
	s_mov_b32 s17, 0
.LBB62_203:                             ; =>This Inner Loop Header: Depth=1
	scratch_load_b32 v132, off, s0
	v_dual_mov_b32 v133, s18 :: v_dual_add_nc_u32 v131, -1, v131
	s_add_co_i32 s18, s18, 4
	s_wait_xcnt 0x0
	s_add_co_i32 s0, s0, 4
	ds_load_b32 v133, v133
	v_cmp_eq_u32_e32 vcc_lo, 0, v131
	s_or_b32 s17, vcc_lo, s17
	s_wait_loadcnt_dscnt 0x0
	v_fmac_f32_e32 v130, v132, v133
	s_and_not1_b32 exec_lo, exec_lo, s17
	s_cbranch_execnz .LBB62_203
; %bb.204:
	s_or_b32 exec_lo, exec_lo, s17
.LBB62_205:
	s_delay_alu instid0(SALU_CYCLE_1)
	s_or_b32 exec_lo, exec_lo, s16
	v_mov_b32_e32 v131, 0
	ds_load_b32 v131, v131 offset:164
	s_wait_dscnt 0x0
	v_mul_f32_e32 v130, v130, v131
	scratch_store_b32 off, v130, off offset:164
.LBB62_206:
	;; [unrolled: 58-line block ×3, first 2 shown]
	s_wait_xcnt 0x0
	s_or_b32 exec_lo, exec_lo, s2
	scratch_load_b32 v130, off, off offset:156
	v_cmp_lt_u32_e64 s1, 39, v0
	s_wait_loadcnt 0x0
	ds_store_b32 v1, v130
	s_wait_storecnt_dscnt 0x0
	s_barrier_signal -1
	s_barrier_wait -1
	s_wait_xcnt 0x0
	s_and_saveexec_b32 s2, s1
	s_cbranch_execz .LBB62_226
; %bb.217:
	s_and_not1_b32 vcc_lo, exec_lo, s3
	s_cbranch_vccnz .LBB62_219
; %bb.218:
	scratch_load_b32 v130, v7, off
	ds_load_b32 v131, v1
	s_wait_loadcnt_dscnt 0x0
	v_mul_f32_e32 v130, v130, v131
	s_cbranch_execz .LBB62_220
	s_branch .LBB62_221
.LBB62_219:
                                        ; implicit-def: $vgpr130
.LBB62_220:
	ds_load_b32 v130, v1
.LBB62_221:
	s_and_saveexec_b32 s16, s0
	s_cbranch_execz .LBB62_225
; %bb.222:
	v_subrev_nc_u32_e32 v131, 40, v0
	s_movk_i32 s17, 0x1a0
	s_mov_b32 s0, 0
.LBB62_223:                             ; =>This Inner Loop Header: Depth=1
	scratch_load_b32 v132, off, s15
	v_dual_mov_b32 v133, s17 :: v_dual_add_nc_u32 v131, -1, v131
	s_add_co_i32 s17, s17, 4
	s_wait_xcnt 0x0
	s_add_co_i32 s15, s15, 4
	ds_load_b32 v133, v133
	v_cmp_eq_u32_e32 vcc_lo, 0, v131
	s_or_b32 s0, vcc_lo, s0
	s_wait_loadcnt_dscnt 0x0
	v_fmac_f32_e32 v130, v132, v133
	s_and_not1_b32 exec_lo, exec_lo, s0
	s_cbranch_execnz .LBB62_223
; %bb.224:
	s_or_b32 exec_lo, exec_lo, s0
.LBB62_225:
	s_delay_alu instid0(SALU_CYCLE_1)
	s_or_b32 exec_lo, exec_lo, s16
	v_mov_b32_e32 v131, 0
	ds_load_b32 v131, v131 offset:156
	s_wait_dscnt 0x0
	v_mul_f32_e32 v130, v130, v131
	scratch_store_b32 off, v130, off offset:156
.LBB62_226:
	s_wait_xcnt 0x0
	s_or_b32 exec_lo, exec_lo, s2
	scratch_load_b32 v130, off, off offset:152
	v_cmp_lt_u32_e64 s0, 38, v0
	s_wait_loadcnt 0x0
	ds_store_b32 v1, v130
	s_wait_storecnt_dscnt 0x0
	s_barrier_signal -1
	s_barrier_wait -1
	s_wait_xcnt 0x0
	s_and_saveexec_b32 s2, s0
	s_cbranch_execz .LBB62_236
; %bb.227:
	s_and_not1_b32 vcc_lo, exec_lo, s3
	s_cbranch_vccnz .LBB62_229
; %bb.228:
	scratch_load_b32 v130, v7, off
	ds_load_b32 v131, v1
	s_wait_loadcnt_dscnt 0x0
	v_mul_f32_e32 v130, v130, v131
	s_cbranch_execz .LBB62_230
	s_branch .LBB62_231
.LBB62_229:
                                        ; implicit-def: $vgpr130
.LBB62_230:
	ds_load_b32 v130, v1
.LBB62_231:
	s_and_saveexec_b32 s15, s1
	s_cbranch_execz .LBB62_235
; %bb.232:
	v_subrev_nc_u32_e32 v131, 39, v0
	s_movk_i32 s1, 0x9c
	s_movk_i32 s17, 0x19c
	s_mov_b32 s16, 0
.LBB62_233:                             ; =>This Inner Loop Header: Depth=1
	scratch_load_b32 v132, off, s1
	v_dual_mov_b32 v133, s17 :: v_dual_add_nc_u32 v131, -1, v131
	s_add_co_i32 s17, s17, 4
	s_wait_xcnt 0x0
	s_add_co_i32 s1, s1, 4
	ds_load_b32 v133, v133
	v_cmp_eq_u32_e32 vcc_lo, 0, v131
	s_or_b32 s16, vcc_lo, s16
	s_wait_loadcnt_dscnt 0x0
	v_fmac_f32_e32 v130, v132, v133
	s_and_not1_b32 exec_lo, exec_lo, s16
	s_cbranch_execnz .LBB62_233
; %bb.234:
	s_or_b32 exec_lo, exec_lo, s16
.LBB62_235:
	s_delay_alu instid0(SALU_CYCLE_1)
	s_or_b32 exec_lo, exec_lo, s15
	v_mov_b32_e32 v131, 0
	ds_load_b32 v131, v131 offset:152
	s_wait_dscnt 0x0
	v_mul_f32_e32 v130, v130, v131
	scratch_store_b32 off, v130, off offset:152
.LBB62_236:
	s_wait_xcnt 0x0
	s_or_b32 exec_lo, exec_lo, s2
	scratch_load_b32 v130, off, off offset:148
	v_cmp_lt_u32_e64 s1, 37, v0
	s_wait_loadcnt 0x0
	ds_store_b32 v1, v130
	s_wait_storecnt_dscnt 0x0
	s_barrier_signal -1
	s_barrier_wait -1
	s_wait_xcnt 0x0
	s_and_saveexec_b32 s2, s1
	s_cbranch_execz .LBB62_246
; %bb.237:
	s_and_not1_b32 vcc_lo, exec_lo, s3
	s_cbranch_vccnz .LBB62_239
; %bb.238:
	scratch_load_b32 v130, v7, off
	ds_load_b32 v131, v1
	s_wait_loadcnt_dscnt 0x0
	v_mul_f32_e32 v130, v130, v131
	s_cbranch_execz .LBB62_240
	s_branch .LBB62_241
.LBB62_239:
                                        ; implicit-def: $vgpr130
.LBB62_240:
	ds_load_b32 v130, v1
.LBB62_241:
	s_and_saveexec_b32 s15, s0
	s_cbranch_execz .LBB62_245
; %bb.242:
	v_subrev_nc_u32_e32 v131, 38, v0
	s_movk_i32 s0, 0x98
	s_movk_i32 s17, 0x198
	s_mov_b32 s16, 0
.LBB62_243:                             ; =>This Inner Loop Header: Depth=1
	scratch_load_b32 v132, off, s0
	v_dual_mov_b32 v133, s17 :: v_dual_add_nc_u32 v131, -1, v131
	s_add_co_i32 s17, s17, 4
	s_wait_xcnt 0x0
	s_add_co_i32 s0, s0, 4
	ds_load_b32 v133, v133
	v_cmp_eq_u32_e32 vcc_lo, 0, v131
	s_or_b32 s16, vcc_lo, s16
	s_wait_loadcnt_dscnt 0x0
	v_fmac_f32_e32 v130, v132, v133
	s_and_not1_b32 exec_lo, exec_lo, s16
	s_cbranch_execnz .LBB62_243
; %bb.244:
	s_or_b32 exec_lo, exec_lo, s16
.LBB62_245:
	s_delay_alu instid0(SALU_CYCLE_1)
	s_or_b32 exec_lo, exec_lo, s15
	v_mov_b32_e32 v131, 0
	ds_load_b32 v131, v131 offset:148
	s_wait_dscnt 0x0
	v_mul_f32_e32 v130, v130, v131
	scratch_store_b32 off, v130, off offset:148
.LBB62_246:
	;; [unrolled: 58-line block ×3, first 2 shown]
	s_wait_xcnt 0x0
	s_or_b32 exec_lo, exec_lo, s2
	scratch_load_b32 v130, off, off offset:140
	v_cmp_lt_u32_e64 s1, 35, v0
	s_wait_loadcnt 0x0
	ds_store_b32 v1, v130
	s_wait_storecnt_dscnt 0x0
	s_barrier_signal -1
	s_barrier_wait -1
	s_wait_xcnt 0x0
	s_and_saveexec_b32 s2, s1
	s_cbranch_execz .LBB62_266
; %bb.257:
	s_and_not1_b32 vcc_lo, exec_lo, s3
	s_cbranch_vccnz .LBB62_259
; %bb.258:
	scratch_load_b32 v130, v7, off
	ds_load_b32 v131, v1
	s_wait_loadcnt_dscnt 0x0
	v_mul_f32_e32 v130, v130, v131
	s_cbranch_execz .LBB62_260
	s_branch .LBB62_261
.LBB62_259:
                                        ; implicit-def: $vgpr130
.LBB62_260:
	ds_load_b32 v130, v1
.LBB62_261:
	s_and_saveexec_b32 s15, s0
	s_cbranch_execz .LBB62_265
; %bb.262:
	v_subrev_nc_u32_e32 v131, 36, v0
	s_movk_i32 s16, 0x190
	s_mov_b32 s0, 0
.LBB62_263:                             ; =>This Inner Loop Header: Depth=1
	scratch_load_b32 v132, off, s14
	v_dual_mov_b32 v133, s16 :: v_dual_add_nc_u32 v131, -1, v131
	s_add_co_i32 s16, s16, 4
	s_wait_xcnt 0x0
	s_add_co_i32 s14, s14, 4
	ds_load_b32 v133, v133
	v_cmp_eq_u32_e32 vcc_lo, 0, v131
	s_or_b32 s0, vcc_lo, s0
	s_wait_loadcnt_dscnt 0x0
	v_fmac_f32_e32 v130, v132, v133
	s_and_not1_b32 exec_lo, exec_lo, s0
	s_cbranch_execnz .LBB62_263
; %bb.264:
	s_or_b32 exec_lo, exec_lo, s0
.LBB62_265:
	s_delay_alu instid0(SALU_CYCLE_1)
	s_or_b32 exec_lo, exec_lo, s15
	v_mov_b32_e32 v131, 0
	ds_load_b32 v131, v131 offset:140
	s_wait_dscnt 0x0
	v_mul_f32_e32 v130, v130, v131
	scratch_store_b32 off, v130, off offset:140
.LBB62_266:
	s_wait_xcnt 0x0
	s_or_b32 exec_lo, exec_lo, s2
	scratch_load_b32 v130, off, off offset:136
	v_cmp_lt_u32_e64 s0, 34, v0
	s_wait_loadcnt 0x0
	ds_store_b32 v1, v130
	s_wait_storecnt_dscnt 0x0
	s_barrier_signal -1
	s_barrier_wait -1
	s_wait_xcnt 0x0
	s_and_saveexec_b32 s2, s0
	s_cbranch_execz .LBB62_276
; %bb.267:
	s_and_not1_b32 vcc_lo, exec_lo, s3
	s_cbranch_vccnz .LBB62_269
; %bb.268:
	scratch_load_b32 v130, v7, off
	ds_load_b32 v131, v1
	s_wait_loadcnt_dscnt 0x0
	v_mul_f32_e32 v130, v130, v131
	s_cbranch_execz .LBB62_270
	s_branch .LBB62_271
.LBB62_269:
                                        ; implicit-def: $vgpr130
.LBB62_270:
	ds_load_b32 v130, v1
.LBB62_271:
	s_and_saveexec_b32 s14, s1
	s_cbranch_execz .LBB62_275
; %bb.272:
	v_subrev_nc_u32_e32 v131, 35, v0
	s_movk_i32 s1, 0x8c
	s_movk_i32 s16, 0x18c
	s_mov_b32 s15, 0
.LBB62_273:                             ; =>This Inner Loop Header: Depth=1
	scratch_load_b32 v132, off, s1
	v_dual_mov_b32 v133, s16 :: v_dual_add_nc_u32 v131, -1, v131
	s_add_co_i32 s16, s16, 4
	s_wait_xcnt 0x0
	s_add_co_i32 s1, s1, 4
	ds_load_b32 v133, v133
	v_cmp_eq_u32_e32 vcc_lo, 0, v131
	s_or_b32 s15, vcc_lo, s15
	s_wait_loadcnt_dscnt 0x0
	v_fmac_f32_e32 v130, v132, v133
	s_and_not1_b32 exec_lo, exec_lo, s15
	s_cbranch_execnz .LBB62_273
; %bb.274:
	s_or_b32 exec_lo, exec_lo, s15
.LBB62_275:
	s_delay_alu instid0(SALU_CYCLE_1)
	s_or_b32 exec_lo, exec_lo, s14
	v_mov_b32_e32 v131, 0
	ds_load_b32 v131, v131 offset:136
	s_wait_dscnt 0x0
	v_mul_f32_e32 v130, v130, v131
	scratch_store_b32 off, v130, off offset:136
.LBB62_276:
	s_wait_xcnt 0x0
	s_or_b32 exec_lo, exec_lo, s2
	scratch_load_b32 v130, off, off offset:132
	v_cmp_lt_u32_e64 s1, 33, v0
	s_wait_loadcnt 0x0
	ds_store_b32 v1, v130
	s_wait_storecnt_dscnt 0x0
	s_barrier_signal -1
	s_barrier_wait -1
	s_wait_xcnt 0x0
	s_and_saveexec_b32 s2, s1
	s_cbranch_execz .LBB62_286
; %bb.277:
	s_and_not1_b32 vcc_lo, exec_lo, s3
	s_cbranch_vccnz .LBB62_279
; %bb.278:
	scratch_load_b32 v130, v7, off
	ds_load_b32 v131, v1
	s_wait_loadcnt_dscnt 0x0
	v_mul_f32_e32 v130, v130, v131
	s_cbranch_execz .LBB62_280
	s_branch .LBB62_281
.LBB62_279:
                                        ; implicit-def: $vgpr130
.LBB62_280:
	ds_load_b32 v130, v1
.LBB62_281:
	s_and_saveexec_b32 s14, s0
	s_cbranch_execz .LBB62_285
; %bb.282:
	v_subrev_nc_u32_e32 v131, 34, v0
	s_movk_i32 s0, 0x88
	s_movk_i32 s16, 0x188
	s_mov_b32 s15, 0
.LBB62_283:                             ; =>This Inner Loop Header: Depth=1
	scratch_load_b32 v132, off, s0
	v_dual_mov_b32 v133, s16 :: v_dual_add_nc_u32 v131, -1, v131
	s_add_co_i32 s16, s16, 4
	s_wait_xcnt 0x0
	s_add_co_i32 s0, s0, 4
	ds_load_b32 v133, v133
	v_cmp_eq_u32_e32 vcc_lo, 0, v131
	s_or_b32 s15, vcc_lo, s15
	s_wait_loadcnt_dscnt 0x0
	v_fmac_f32_e32 v130, v132, v133
	s_and_not1_b32 exec_lo, exec_lo, s15
	s_cbranch_execnz .LBB62_283
; %bb.284:
	s_or_b32 exec_lo, exec_lo, s15
.LBB62_285:
	s_delay_alu instid0(SALU_CYCLE_1)
	s_or_b32 exec_lo, exec_lo, s14
	v_mov_b32_e32 v131, 0
	ds_load_b32 v131, v131 offset:132
	s_wait_dscnt 0x0
	v_mul_f32_e32 v130, v130, v131
	scratch_store_b32 off, v130, off offset:132
.LBB62_286:
	;; [unrolled: 58-line block ×3, first 2 shown]
	s_wait_xcnt 0x0
	s_or_b32 exec_lo, exec_lo, s2
	scratch_load_b32 v130, off, off offset:124
	v_cmp_lt_u32_e64 s1, 31, v0
	s_wait_loadcnt 0x0
	ds_store_b32 v1, v130
	s_wait_storecnt_dscnt 0x0
	s_barrier_signal -1
	s_barrier_wait -1
	s_wait_xcnt 0x0
	s_and_saveexec_b32 s2, s1
	s_cbranch_execz .LBB62_306
; %bb.297:
	s_and_not1_b32 vcc_lo, exec_lo, s3
	s_cbranch_vccnz .LBB62_299
; %bb.298:
	scratch_load_b32 v130, v7, off
	ds_load_b32 v131, v1
	s_wait_loadcnt_dscnt 0x0
	v_mul_f32_e32 v130, v130, v131
	s_cbranch_execz .LBB62_300
	s_branch .LBB62_301
.LBB62_299:
                                        ; implicit-def: $vgpr130
.LBB62_300:
	ds_load_b32 v130, v1
.LBB62_301:
	s_and_saveexec_b32 s14, s0
	s_cbranch_execz .LBB62_305
; %bb.302:
	v_subrev_nc_u32_e32 v131, 32, v0
	s_movk_i32 s15, 0x180
	s_mov_b32 s0, 0
.LBB62_303:                             ; =>This Inner Loop Header: Depth=1
	scratch_load_b32 v132, off, s13
	v_dual_mov_b32 v133, s15 :: v_dual_add_nc_u32 v131, -1, v131
	s_add_co_i32 s15, s15, 4
	s_wait_xcnt 0x0
	s_add_co_i32 s13, s13, 4
	ds_load_b32 v133, v133
	v_cmp_eq_u32_e32 vcc_lo, 0, v131
	s_or_b32 s0, vcc_lo, s0
	s_wait_loadcnt_dscnt 0x0
	v_fmac_f32_e32 v130, v132, v133
	s_and_not1_b32 exec_lo, exec_lo, s0
	s_cbranch_execnz .LBB62_303
; %bb.304:
	s_or_b32 exec_lo, exec_lo, s0
.LBB62_305:
	s_delay_alu instid0(SALU_CYCLE_1)
	s_or_b32 exec_lo, exec_lo, s14
	v_mov_b32_e32 v131, 0
	ds_load_b32 v131, v131 offset:124
	s_wait_dscnt 0x0
	v_mul_f32_e32 v130, v130, v131
	scratch_store_b32 off, v130, off offset:124
.LBB62_306:
	s_wait_xcnt 0x0
	s_or_b32 exec_lo, exec_lo, s2
	scratch_load_b32 v130, off, off offset:120
	v_cmp_lt_u32_e64 s0, 30, v0
	s_wait_loadcnt 0x0
	ds_store_b32 v1, v130
	s_wait_storecnt_dscnt 0x0
	s_barrier_signal -1
	s_barrier_wait -1
	s_wait_xcnt 0x0
	s_and_saveexec_b32 s2, s0
	s_cbranch_execz .LBB62_316
; %bb.307:
	s_and_not1_b32 vcc_lo, exec_lo, s3
	s_cbranch_vccnz .LBB62_309
; %bb.308:
	scratch_load_b32 v130, v7, off
	ds_load_b32 v131, v1
	s_wait_loadcnt_dscnt 0x0
	v_mul_f32_e32 v130, v130, v131
	s_cbranch_execz .LBB62_310
	s_branch .LBB62_311
.LBB62_309:
                                        ; implicit-def: $vgpr130
.LBB62_310:
	ds_load_b32 v130, v1
.LBB62_311:
	s_and_saveexec_b32 s13, s1
	s_cbranch_execz .LBB62_315
; %bb.312:
	v_subrev_nc_u32_e32 v131, 31, v0
	s_movk_i32 s1, 0x7c
	s_movk_i32 s15, 0x17c
	s_mov_b32 s14, 0
.LBB62_313:                             ; =>This Inner Loop Header: Depth=1
	scratch_load_b32 v132, off, s1
	v_dual_mov_b32 v133, s15 :: v_dual_add_nc_u32 v131, -1, v131
	s_add_co_i32 s15, s15, 4
	s_wait_xcnt 0x0
	s_add_co_i32 s1, s1, 4
	ds_load_b32 v133, v133
	v_cmp_eq_u32_e32 vcc_lo, 0, v131
	s_or_b32 s14, vcc_lo, s14
	s_wait_loadcnt_dscnt 0x0
	v_fmac_f32_e32 v130, v132, v133
	s_and_not1_b32 exec_lo, exec_lo, s14
	s_cbranch_execnz .LBB62_313
; %bb.314:
	s_or_b32 exec_lo, exec_lo, s14
.LBB62_315:
	s_delay_alu instid0(SALU_CYCLE_1)
	s_or_b32 exec_lo, exec_lo, s13
	v_mov_b32_e32 v131, 0
	ds_load_b32 v131, v131 offset:120
	s_wait_dscnt 0x0
	v_mul_f32_e32 v130, v130, v131
	scratch_store_b32 off, v130, off offset:120
.LBB62_316:
	s_wait_xcnt 0x0
	s_or_b32 exec_lo, exec_lo, s2
	scratch_load_b32 v130, off, off offset:116
	v_cmp_lt_u32_e64 s1, 29, v0
	s_wait_loadcnt 0x0
	ds_store_b32 v1, v130
	s_wait_storecnt_dscnt 0x0
	s_barrier_signal -1
	s_barrier_wait -1
	s_wait_xcnt 0x0
	s_and_saveexec_b32 s2, s1
	s_cbranch_execz .LBB62_326
; %bb.317:
	s_and_not1_b32 vcc_lo, exec_lo, s3
	s_cbranch_vccnz .LBB62_319
; %bb.318:
	scratch_load_b32 v130, v7, off
	ds_load_b32 v131, v1
	s_wait_loadcnt_dscnt 0x0
	v_mul_f32_e32 v130, v130, v131
	s_cbranch_execz .LBB62_320
	s_branch .LBB62_321
.LBB62_319:
                                        ; implicit-def: $vgpr130
.LBB62_320:
	ds_load_b32 v130, v1
.LBB62_321:
	s_and_saveexec_b32 s13, s0
	s_cbranch_execz .LBB62_325
; %bb.322:
	v_subrev_nc_u32_e32 v131, 30, v0
	s_movk_i32 s0, 0x78
	s_movk_i32 s15, 0x178
	s_mov_b32 s14, 0
.LBB62_323:                             ; =>This Inner Loop Header: Depth=1
	scratch_load_b32 v132, off, s0
	v_dual_mov_b32 v133, s15 :: v_dual_add_nc_u32 v131, -1, v131
	s_add_co_i32 s15, s15, 4
	s_wait_xcnt 0x0
	s_add_co_i32 s0, s0, 4
	ds_load_b32 v133, v133
	v_cmp_eq_u32_e32 vcc_lo, 0, v131
	s_or_b32 s14, vcc_lo, s14
	s_wait_loadcnt_dscnt 0x0
	v_fmac_f32_e32 v130, v132, v133
	s_and_not1_b32 exec_lo, exec_lo, s14
	s_cbranch_execnz .LBB62_323
; %bb.324:
	s_or_b32 exec_lo, exec_lo, s14
.LBB62_325:
	s_delay_alu instid0(SALU_CYCLE_1)
	s_or_b32 exec_lo, exec_lo, s13
	v_mov_b32_e32 v131, 0
	ds_load_b32 v131, v131 offset:116
	s_wait_dscnt 0x0
	v_mul_f32_e32 v130, v130, v131
	scratch_store_b32 off, v130, off offset:116
.LBB62_326:
	;; [unrolled: 58-line block ×3, first 2 shown]
	s_wait_xcnt 0x0
	s_or_b32 exec_lo, exec_lo, s2
	scratch_load_b32 v130, off, off offset:108
	v_cmp_lt_u32_e64 s1, 27, v0
	s_wait_loadcnt 0x0
	ds_store_b32 v1, v130
	s_wait_storecnt_dscnt 0x0
	s_barrier_signal -1
	s_barrier_wait -1
	s_wait_xcnt 0x0
	s_and_saveexec_b32 s2, s1
	s_cbranch_execz .LBB62_346
; %bb.337:
	s_and_not1_b32 vcc_lo, exec_lo, s3
	s_cbranch_vccnz .LBB62_339
; %bb.338:
	scratch_load_b32 v130, v7, off
	ds_load_b32 v131, v1
	s_wait_loadcnt_dscnt 0x0
	v_mul_f32_e32 v130, v130, v131
	s_cbranch_execz .LBB62_340
	s_branch .LBB62_341
.LBB62_339:
                                        ; implicit-def: $vgpr130
.LBB62_340:
	ds_load_b32 v130, v1
.LBB62_341:
	s_and_saveexec_b32 s13, s0
	s_cbranch_execz .LBB62_345
; %bb.342:
	v_subrev_nc_u32_e32 v131, 28, v0
	s_movk_i32 s14, 0x170
	s_mov_b32 s0, 0
.LBB62_343:                             ; =>This Inner Loop Header: Depth=1
	scratch_load_b32 v132, off, s12
	v_dual_mov_b32 v133, s14 :: v_dual_add_nc_u32 v131, -1, v131
	s_add_co_i32 s14, s14, 4
	s_wait_xcnt 0x0
	s_add_co_i32 s12, s12, 4
	ds_load_b32 v133, v133
	v_cmp_eq_u32_e32 vcc_lo, 0, v131
	s_or_b32 s0, vcc_lo, s0
	s_wait_loadcnt_dscnt 0x0
	v_fmac_f32_e32 v130, v132, v133
	s_and_not1_b32 exec_lo, exec_lo, s0
	s_cbranch_execnz .LBB62_343
; %bb.344:
	s_or_b32 exec_lo, exec_lo, s0
.LBB62_345:
	s_delay_alu instid0(SALU_CYCLE_1)
	s_or_b32 exec_lo, exec_lo, s13
	v_mov_b32_e32 v131, 0
	ds_load_b32 v131, v131 offset:108
	s_wait_dscnt 0x0
	v_mul_f32_e32 v130, v130, v131
	scratch_store_b32 off, v130, off offset:108
.LBB62_346:
	s_wait_xcnt 0x0
	s_or_b32 exec_lo, exec_lo, s2
	scratch_load_b32 v130, off, off offset:104
	v_cmp_lt_u32_e64 s0, 26, v0
	s_wait_loadcnt 0x0
	ds_store_b32 v1, v130
	s_wait_storecnt_dscnt 0x0
	s_barrier_signal -1
	s_barrier_wait -1
	s_wait_xcnt 0x0
	s_and_saveexec_b32 s2, s0
	s_cbranch_execz .LBB62_356
; %bb.347:
	s_and_not1_b32 vcc_lo, exec_lo, s3
	s_cbranch_vccnz .LBB62_349
; %bb.348:
	scratch_load_b32 v130, v7, off
	ds_load_b32 v131, v1
	s_wait_loadcnt_dscnt 0x0
	v_mul_f32_e32 v130, v130, v131
	s_cbranch_execz .LBB62_350
	s_branch .LBB62_351
.LBB62_349:
                                        ; implicit-def: $vgpr130
.LBB62_350:
	ds_load_b32 v130, v1
.LBB62_351:
	s_and_saveexec_b32 s12, s1
	s_cbranch_execz .LBB62_355
; %bb.352:
	v_subrev_nc_u32_e32 v131, 27, v0
	s_movk_i32 s1, 0x6c
	s_movk_i32 s14, 0x16c
	s_mov_b32 s13, 0
.LBB62_353:                             ; =>This Inner Loop Header: Depth=1
	scratch_load_b32 v132, off, s1
	v_dual_mov_b32 v133, s14 :: v_dual_add_nc_u32 v131, -1, v131
	s_add_co_i32 s14, s14, 4
	s_wait_xcnt 0x0
	s_add_co_i32 s1, s1, 4
	ds_load_b32 v133, v133
	v_cmp_eq_u32_e32 vcc_lo, 0, v131
	s_or_b32 s13, vcc_lo, s13
	s_wait_loadcnt_dscnt 0x0
	v_fmac_f32_e32 v130, v132, v133
	s_and_not1_b32 exec_lo, exec_lo, s13
	s_cbranch_execnz .LBB62_353
; %bb.354:
	s_or_b32 exec_lo, exec_lo, s13
.LBB62_355:
	s_delay_alu instid0(SALU_CYCLE_1)
	s_or_b32 exec_lo, exec_lo, s12
	v_mov_b32_e32 v131, 0
	ds_load_b32 v131, v131 offset:104
	s_wait_dscnt 0x0
	v_mul_f32_e32 v130, v130, v131
	scratch_store_b32 off, v130, off offset:104
.LBB62_356:
	s_wait_xcnt 0x0
	s_or_b32 exec_lo, exec_lo, s2
	scratch_load_b32 v130, off, off offset:100
	v_cmp_lt_u32_e64 s1, 25, v0
	s_wait_loadcnt 0x0
	ds_store_b32 v1, v130
	s_wait_storecnt_dscnt 0x0
	s_barrier_signal -1
	s_barrier_wait -1
	s_wait_xcnt 0x0
	s_and_saveexec_b32 s2, s1
	s_cbranch_execz .LBB62_366
; %bb.357:
	s_and_not1_b32 vcc_lo, exec_lo, s3
	s_cbranch_vccnz .LBB62_359
; %bb.358:
	scratch_load_b32 v130, v7, off
	ds_load_b32 v131, v1
	s_wait_loadcnt_dscnt 0x0
	v_mul_f32_e32 v130, v130, v131
	s_cbranch_execz .LBB62_360
	s_branch .LBB62_361
.LBB62_359:
                                        ; implicit-def: $vgpr130
.LBB62_360:
	ds_load_b32 v130, v1
.LBB62_361:
	s_and_saveexec_b32 s12, s0
	s_cbranch_execz .LBB62_365
; %bb.362:
	v_subrev_nc_u32_e32 v131, 26, v0
	s_movk_i32 s0, 0x68
	s_movk_i32 s14, 0x168
	s_mov_b32 s13, 0
.LBB62_363:                             ; =>This Inner Loop Header: Depth=1
	scratch_load_b32 v132, off, s0
	v_dual_mov_b32 v133, s14 :: v_dual_add_nc_u32 v131, -1, v131
	s_add_co_i32 s14, s14, 4
	s_wait_xcnt 0x0
	s_add_co_i32 s0, s0, 4
	ds_load_b32 v133, v133
	v_cmp_eq_u32_e32 vcc_lo, 0, v131
	s_or_b32 s13, vcc_lo, s13
	s_wait_loadcnt_dscnt 0x0
	v_fmac_f32_e32 v130, v132, v133
	s_and_not1_b32 exec_lo, exec_lo, s13
	s_cbranch_execnz .LBB62_363
; %bb.364:
	s_or_b32 exec_lo, exec_lo, s13
.LBB62_365:
	s_delay_alu instid0(SALU_CYCLE_1)
	s_or_b32 exec_lo, exec_lo, s12
	v_mov_b32_e32 v131, 0
	ds_load_b32 v131, v131 offset:100
	s_wait_dscnt 0x0
	v_mul_f32_e32 v130, v130, v131
	scratch_store_b32 off, v130, off offset:100
.LBB62_366:
	;; [unrolled: 58-line block ×3, first 2 shown]
	s_wait_xcnt 0x0
	s_or_b32 exec_lo, exec_lo, s2
	scratch_load_b32 v130, off, off offset:92
	v_cmp_lt_u32_e64 s1, 23, v0
	s_wait_loadcnt 0x0
	ds_store_b32 v1, v130
	s_wait_storecnt_dscnt 0x0
	s_barrier_signal -1
	s_barrier_wait -1
	s_wait_xcnt 0x0
	s_and_saveexec_b32 s2, s1
	s_cbranch_execz .LBB62_386
; %bb.377:
	s_and_not1_b32 vcc_lo, exec_lo, s3
	s_cbranch_vccnz .LBB62_379
; %bb.378:
	scratch_load_b32 v130, v7, off
	ds_load_b32 v131, v1
	s_wait_loadcnt_dscnt 0x0
	v_mul_f32_e32 v130, v130, v131
	s_cbranch_execz .LBB62_380
	s_branch .LBB62_381
.LBB62_379:
                                        ; implicit-def: $vgpr130
.LBB62_380:
	ds_load_b32 v130, v1
.LBB62_381:
	s_and_saveexec_b32 s12, s0
	s_cbranch_execz .LBB62_385
; %bb.382:
	v_subrev_nc_u32_e32 v131, 24, v0
	s_movk_i32 s13, 0x160
	s_mov_b32 s0, 0
.LBB62_383:                             ; =>This Inner Loop Header: Depth=1
	scratch_load_b32 v132, off, s11
	v_dual_mov_b32 v133, s13 :: v_dual_add_nc_u32 v131, -1, v131
	s_add_co_i32 s13, s13, 4
	s_wait_xcnt 0x0
	s_add_co_i32 s11, s11, 4
	ds_load_b32 v133, v133
	v_cmp_eq_u32_e32 vcc_lo, 0, v131
	s_or_b32 s0, vcc_lo, s0
	s_wait_loadcnt_dscnt 0x0
	v_fmac_f32_e32 v130, v132, v133
	s_and_not1_b32 exec_lo, exec_lo, s0
	s_cbranch_execnz .LBB62_383
; %bb.384:
	s_or_b32 exec_lo, exec_lo, s0
.LBB62_385:
	s_delay_alu instid0(SALU_CYCLE_1)
	s_or_b32 exec_lo, exec_lo, s12
	v_mov_b32_e32 v131, 0
	ds_load_b32 v131, v131 offset:92
	s_wait_dscnt 0x0
	v_mul_f32_e32 v130, v130, v131
	scratch_store_b32 off, v130, off offset:92
.LBB62_386:
	s_wait_xcnt 0x0
	s_or_b32 exec_lo, exec_lo, s2
	scratch_load_b32 v130, off, off offset:88
	v_cmp_lt_u32_e64 s0, 22, v0
	s_wait_loadcnt 0x0
	ds_store_b32 v1, v130
	s_wait_storecnt_dscnt 0x0
	s_barrier_signal -1
	s_barrier_wait -1
	s_wait_xcnt 0x0
	s_and_saveexec_b32 s2, s0
	s_cbranch_execz .LBB62_396
; %bb.387:
	s_and_not1_b32 vcc_lo, exec_lo, s3
	s_cbranch_vccnz .LBB62_389
; %bb.388:
	scratch_load_b32 v130, v7, off
	ds_load_b32 v131, v1
	s_wait_loadcnt_dscnt 0x0
	v_mul_f32_e32 v130, v130, v131
	s_cbranch_execz .LBB62_390
	s_branch .LBB62_391
.LBB62_389:
                                        ; implicit-def: $vgpr130
.LBB62_390:
	ds_load_b32 v130, v1
.LBB62_391:
	s_and_saveexec_b32 s11, s1
	s_cbranch_execz .LBB62_395
; %bb.392:
	v_subrev_nc_u32_e32 v131, 23, v0
	s_movk_i32 s1, 0x5c
	s_movk_i32 s13, 0x15c
	s_mov_b32 s12, 0
.LBB62_393:                             ; =>This Inner Loop Header: Depth=1
	scratch_load_b32 v132, off, s1
	v_dual_mov_b32 v133, s13 :: v_dual_add_nc_u32 v131, -1, v131
	s_add_co_i32 s13, s13, 4
	s_wait_xcnt 0x0
	s_add_co_i32 s1, s1, 4
	ds_load_b32 v133, v133
	v_cmp_eq_u32_e32 vcc_lo, 0, v131
	s_or_b32 s12, vcc_lo, s12
	s_wait_loadcnt_dscnt 0x0
	v_fmac_f32_e32 v130, v132, v133
	s_and_not1_b32 exec_lo, exec_lo, s12
	s_cbranch_execnz .LBB62_393
; %bb.394:
	s_or_b32 exec_lo, exec_lo, s12
.LBB62_395:
	s_delay_alu instid0(SALU_CYCLE_1)
	s_or_b32 exec_lo, exec_lo, s11
	v_mov_b32_e32 v131, 0
	ds_load_b32 v131, v131 offset:88
	s_wait_dscnt 0x0
	v_mul_f32_e32 v130, v130, v131
	scratch_store_b32 off, v130, off offset:88
.LBB62_396:
	s_wait_xcnt 0x0
	s_or_b32 exec_lo, exec_lo, s2
	scratch_load_b32 v130, off, off offset:84
	v_cmp_lt_u32_e64 s1, 21, v0
	s_wait_loadcnt 0x0
	ds_store_b32 v1, v130
	s_wait_storecnt_dscnt 0x0
	s_barrier_signal -1
	s_barrier_wait -1
	s_wait_xcnt 0x0
	s_and_saveexec_b32 s2, s1
	s_cbranch_execz .LBB62_406
; %bb.397:
	s_and_not1_b32 vcc_lo, exec_lo, s3
	s_cbranch_vccnz .LBB62_399
; %bb.398:
	scratch_load_b32 v130, v7, off
	ds_load_b32 v131, v1
	s_wait_loadcnt_dscnt 0x0
	v_mul_f32_e32 v130, v130, v131
	s_cbranch_execz .LBB62_400
	s_branch .LBB62_401
.LBB62_399:
                                        ; implicit-def: $vgpr130
.LBB62_400:
	ds_load_b32 v130, v1
.LBB62_401:
	s_and_saveexec_b32 s11, s0
	s_cbranch_execz .LBB62_405
; %bb.402:
	v_subrev_nc_u32_e32 v131, 22, v0
	s_movk_i32 s0, 0x58
	s_movk_i32 s13, 0x158
	s_mov_b32 s12, 0
.LBB62_403:                             ; =>This Inner Loop Header: Depth=1
	scratch_load_b32 v132, off, s0
	v_dual_mov_b32 v133, s13 :: v_dual_add_nc_u32 v131, -1, v131
	s_add_co_i32 s13, s13, 4
	s_wait_xcnt 0x0
	s_add_co_i32 s0, s0, 4
	ds_load_b32 v133, v133
	v_cmp_eq_u32_e32 vcc_lo, 0, v131
	s_or_b32 s12, vcc_lo, s12
	s_wait_loadcnt_dscnt 0x0
	v_fmac_f32_e32 v130, v132, v133
	s_and_not1_b32 exec_lo, exec_lo, s12
	s_cbranch_execnz .LBB62_403
; %bb.404:
	s_or_b32 exec_lo, exec_lo, s12
.LBB62_405:
	s_delay_alu instid0(SALU_CYCLE_1)
	s_or_b32 exec_lo, exec_lo, s11
	v_mov_b32_e32 v131, 0
	ds_load_b32 v131, v131 offset:84
	s_wait_dscnt 0x0
	v_mul_f32_e32 v130, v130, v131
	scratch_store_b32 off, v130, off offset:84
.LBB62_406:
	;; [unrolled: 58-line block ×3, first 2 shown]
	s_wait_xcnt 0x0
	s_or_b32 exec_lo, exec_lo, s2
	scratch_load_b32 v130, off, off offset:76
	v_cmp_lt_u32_e64 s1, 19, v0
	s_wait_loadcnt 0x0
	ds_store_b32 v1, v130
	s_wait_storecnt_dscnt 0x0
	s_barrier_signal -1
	s_barrier_wait -1
	s_wait_xcnt 0x0
	s_and_saveexec_b32 s2, s1
	s_cbranch_execz .LBB62_426
; %bb.417:
	s_and_not1_b32 vcc_lo, exec_lo, s3
	s_cbranch_vccnz .LBB62_419
; %bb.418:
	scratch_load_b32 v130, v7, off
	ds_load_b32 v131, v1
	s_wait_loadcnt_dscnt 0x0
	v_mul_f32_e32 v130, v130, v131
	s_cbranch_execz .LBB62_420
	s_branch .LBB62_421
.LBB62_419:
                                        ; implicit-def: $vgpr130
.LBB62_420:
	ds_load_b32 v130, v1
.LBB62_421:
	s_and_saveexec_b32 s11, s0
	s_cbranch_execz .LBB62_425
; %bb.422:
	v_subrev_nc_u32_e32 v131, 20, v0
	s_movk_i32 s12, 0x150
	s_mov_b32 s0, 0
.LBB62_423:                             ; =>This Inner Loop Header: Depth=1
	scratch_load_b32 v132, off, s10
	v_dual_mov_b32 v133, s12 :: v_dual_add_nc_u32 v131, -1, v131
	s_add_co_i32 s12, s12, 4
	s_wait_xcnt 0x0
	s_add_co_i32 s10, s10, 4
	ds_load_b32 v133, v133
	v_cmp_eq_u32_e32 vcc_lo, 0, v131
	s_or_b32 s0, vcc_lo, s0
	s_wait_loadcnt_dscnt 0x0
	v_fmac_f32_e32 v130, v132, v133
	s_and_not1_b32 exec_lo, exec_lo, s0
	s_cbranch_execnz .LBB62_423
; %bb.424:
	s_or_b32 exec_lo, exec_lo, s0
.LBB62_425:
	s_delay_alu instid0(SALU_CYCLE_1)
	s_or_b32 exec_lo, exec_lo, s11
	v_mov_b32_e32 v131, 0
	ds_load_b32 v131, v131 offset:76
	s_wait_dscnt 0x0
	v_mul_f32_e32 v130, v130, v131
	scratch_store_b32 off, v130, off offset:76
.LBB62_426:
	s_wait_xcnt 0x0
	s_or_b32 exec_lo, exec_lo, s2
	scratch_load_b32 v130, off, off offset:72
	v_cmp_lt_u32_e64 s0, 18, v0
	s_wait_loadcnt 0x0
	ds_store_b32 v1, v130
	s_wait_storecnt_dscnt 0x0
	s_barrier_signal -1
	s_barrier_wait -1
	s_wait_xcnt 0x0
	s_and_saveexec_b32 s2, s0
	s_cbranch_execz .LBB62_436
; %bb.427:
	s_and_not1_b32 vcc_lo, exec_lo, s3
	s_cbranch_vccnz .LBB62_429
; %bb.428:
	scratch_load_b32 v130, v7, off
	ds_load_b32 v131, v1
	s_wait_loadcnt_dscnt 0x0
	v_mul_f32_e32 v130, v130, v131
	s_cbranch_execz .LBB62_430
	s_branch .LBB62_431
.LBB62_429:
                                        ; implicit-def: $vgpr130
.LBB62_430:
	ds_load_b32 v130, v1
.LBB62_431:
	s_and_saveexec_b32 s10, s1
	s_cbranch_execz .LBB62_435
; %bb.432:
	v_subrev_nc_u32_e32 v131, 19, v0
	s_movk_i32 s1, 0x4c
	s_movk_i32 s12, 0x14c
	s_mov_b32 s11, 0
.LBB62_433:                             ; =>This Inner Loop Header: Depth=1
	scratch_load_b32 v132, off, s1
	v_dual_mov_b32 v133, s12 :: v_dual_add_nc_u32 v131, -1, v131
	s_add_co_i32 s12, s12, 4
	s_wait_xcnt 0x0
	s_add_co_i32 s1, s1, 4
	ds_load_b32 v133, v133
	v_cmp_eq_u32_e32 vcc_lo, 0, v131
	s_or_b32 s11, vcc_lo, s11
	s_wait_loadcnt_dscnt 0x0
	v_fmac_f32_e32 v130, v132, v133
	s_and_not1_b32 exec_lo, exec_lo, s11
	s_cbranch_execnz .LBB62_433
; %bb.434:
	s_or_b32 exec_lo, exec_lo, s11
.LBB62_435:
	s_delay_alu instid0(SALU_CYCLE_1)
	s_or_b32 exec_lo, exec_lo, s10
	v_mov_b32_e32 v131, 0
	ds_load_b32 v131, v131 offset:72
	s_wait_dscnt 0x0
	v_mul_f32_e32 v130, v130, v131
	scratch_store_b32 off, v130, off offset:72
.LBB62_436:
	s_wait_xcnt 0x0
	s_or_b32 exec_lo, exec_lo, s2
	scratch_load_b32 v130, off, off offset:68
	v_cmp_lt_u32_e64 s1, 17, v0
	s_wait_loadcnt 0x0
	ds_store_b32 v1, v130
	s_wait_storecnt_dscnt 0x0
	s_barrier_signal -1
	s_barrier_wait -1
	s_wait_xcnt 0x0
	s_and_saveexec_b32 s2, s1
	s_cbranch_execz .LBB62_446
; %bb.437:
	s_and_not1_b32 vcc_lo, exec_lo, s3
	s_cbranch_vccnz .LBB62_439
; %bb.438:
	scratch_load_b32 v130, v7, off
	ds_load_b32 v131, v1
	s_wait_loadcnt_dscnt 0x0
	v_mul_f32_e32 v130, v130, v131
	s_cbranch_execz .LBB62_440
	s_branch .LBB62_441
.LBB62_439:
                                        ; implicit-def: $vgpr130
.LBB62_440:
	ds_load_b32 v130, v1
.LBB62_441:
	s_and_saveexec_b32 s10, s0
	s_cbranch_execz .LBB62_445
; %bb.442:
	v_subrev_nc_u32_e32 v131, 18, v0
	s_movk_i32 s0, 0x48
	s_movk_i32 s12, 0x148
	s_mov_b32 s11, 0
.LBB62_443:                             ; =>This Inner Loop Header: Depth=1
	scratch_load_b32 v132, off, s0
	v_dual_mov_b32 v133, s12 :: v_dual_add_nc_u32 v131, -1, v131
	s_add_co_i32 s12, s12, 4
	s_wait_xcnt 0x0
	s_add_co_i32 s0, s0, 4
	ds_load_b32 v133, v133
	v_cmp_eq_u32_e32 vcc_lo, 0, v131
	s_or_b32 s11, vcc_lo, s11
	s_wait_loadcnt_dscnt 0x0
	v_fmac_f32_e32 v130, v132, v133
	s_and_not1_b32 exec_lo, exec_lo, s11
	s_cbranch_execnz .LBB62_443
; %bb.444:
	s_or_b32 exec_lo, exec_lo, s11
.LBB62_445:
	s_delay_alu instid0(SALU_CYCLE_1)
	s_or_b32 exec_lo, exec_lo, s10
	v_mov_b32_e32 v131, 0
	ds_load_b32 v131, v131 offset:68
	s_wait_dscnt 0x0
	v_mul_f32_e32 v130, v130, v131
	scratch_store_b32 off, v130, off offset:68
.LBB62_446:
	;; [unrolled: 58-line block ×3, first 2 shown]
	s_wait_xcnt 0x0
	s_or_b32 exec_lo, exec_lo, s2
	scratch_load_b32 v130, off, off offset:60
	v_cmp_lt_u32_e64 s1, 15, v0
	s_wait_loadcnt 0x0
	ds_store_b32 v1, v130
	s_wait_storecnt_dscnt 0x0
	s_barrier_signal -1
	s_barrier_wait -1
	s_wait_xcnt 0x0
	s_and_saveexec_b32 s2, s1
	s_cbranch_execz .LBB62_466
; %bb.457:
	s_and_not1_b32 vcc_lo, exec_lo, s3
	s_cbranch_vccnz .LBB62_459
; %bb.458:
	scratch_load_b32 v130, v7, off
	ds_load_b32 v131, v1
	s_wait_loadcnt_dscnt 0x0
	v_mul_f32_e32 v130, v130, v131
	s_cbranch_execz .LBB62_460
	s_branch .LBB62_461
.LBB62_459:
                                        ; implicit-def: $vgpr130
.LBB62_460:
	ds_load_b32 v130, v1
.LBB62_461:
	s_and_saveexec_b32 s10, s0
	s_cbranch_execz .LBB62_465
; %bb.462:
	v_add_nc_u32_e32 v131, -16, v0
	s_movk_i32 s11, 0x140
	s_mov_b32 s0, 0
.LBB62_463:                             ; =>This Inner Loop Header: Depth=1
	scratch_load_b32 v132, off, s9
	v_dual_mov_b32 v133, s11 :: v_dual_add_nc_u32 v131, -1, v131
	s_add_co_i32 s11, s11, 4
	s_wait_xcnt 0x0
	s_add_co_i32 s9, s9, 4
	ds_load_b32 v133, v133
	v_cmp_eq_u32_e32 vcc_lo, 0, v131
	s_or_b32 s0, vcc_lo, s0
	s_wait_loadcnt_dscnt 0x0
	v_fmac_f32_e32 v130, v132, v133
	s_and_not1_b32 exec_lo, exec_lo, s0
	s_cbranch_execnz .LBB62_463
; %bb.464:
	s_or_b32 exec_lo, exec_lo, s0
.LBB62_465:
	s_delay_alu instid0(SALU_CYCLE_1)
	s_or_b32 exec_lo, exec_lo, s10
	v_mov_b32_e32 v131, 0
	ds_load_b32 v131, v131 offset:60
	s_wait_dscnt 0x0
	v_mul_f32_e32 v130, v130, v131
	scratch_store_b32 off, v130, off offset:60
.LBB62_466:
	s_wait_xcnt 0x0
	s_or_b32 exec_lo, exec_lo, s2
	scratch_load_b32 v130, off, off offset:56
	v_cmp_lt_u32_e64 s0, 14, v0
	s_wait_loadcnt 0x0
	ds_store_b32 v1, v130
	s_wait_storecnt_dscnt 0x0
	s_barrier_signal -1
	s_barrier_wait -1
	s_wait_xcnt 0x0
	s_and_saveexec_b32 s2, s0
	s_cbranch_execz .LBB62_476
; %bb.467:
	s_and_not1_b32 vcc_lo, exec_lo, s3
	s_cbranch_vccnz .LBB62_469
; %bb.468:
	scratch_load_b32 v130, v7, off
	ds_load_b32 v131, v1
	s_wait_loadcnt_dscnt 0x0
	v_mul_f32_e32 v130, v130, v131
	s_cbranch_execz .LBB62_470
	s_branch .LBB62_471
.LBB62_469:
                                        ; implicit-def: $vgpr130
.LBB62_470:
	ds_load_b32 v130, v1
.LBB62_471:
	s_and_saveexec_b32 s9, s1
	s_cbranch_execz .LBB62_475
; %bb.472:
	v_add_nc_u32_e32 v131, -15, v0
	s_mov_b32 s1, 60
	s_movk_i32 s11, 0x13c
	s_mov_b32 s10, 0
.LBB62_473:                             ; =>This Inner Loop Header: Depth=1
	scratch_load_b32 v132, off, s1
	v_dual_mov_b32 v133, s11 :: v_dual_add_nc_u32 v131, -1, v131
	s_add_co_i32 s11, s11, 4
	s_wait_xcnt 0x0
	s_add_co_i32 s1, s1, 4
	ds_load_b32 v133, v133
	v_cmp_eq_u32_e32 vcc_lo, 0, v131
	s_or_b32 s10, vcc_lo, s10
	s_wait_loadcnt_dscnt 0x0
	v_fmac_f32_e32 v130, v132, v133
	s_and_not1_b32 exec_lo, exec_lo, s10
	s_cbranch_execnz .LBB62_473
; %bb.474:
	s_or_b32 exec_lo, exec_lo, s10
.LBB62_475:
	s_delay_alu instid0(SALU_CYCLE_1)
	s_or_b32 exec_lo, exec_lo, s9
	v_mov_b32_e32 v131, 0
	ds_load_b32 v131, v131 offset:56
	s_wait_dscnt 0x0
	v_mul_f32_e32 v130, v130, v131
	scratch_store_b32 off, v130, off offset:56
.LBB62_476:
	s_wait_xcnt 0x0
	s_or_b32 exec_lo, exec_lo, s2
	scratch_load_b32 v130, off, off offset:52
	v_cmp_lt_u32_e64 s1, 13, v0
	s_wait_loadcnt 0x0
	ds_store_b32 v1, v130
	s_wait_storecnt_dscnt 0x0
	s_barrier_signal -1
	s_barrier_wait -1
	s_wait_xcnt 0x0
	s_and_saveexec_b32 s2, s1
	s_cbranch_execz .LBB62_486
; %bb.477:
	s_and_not1_b32 vcc_lo, exec_lo, s3
	s_cbranch_vccnz .LBB62_479
; %bb.478:
	scratch_load_b32 v130, v7, off
	ds_load_b32 v131, v1
	s_wait_loadcnt_dscnt 0x0
	v_mul_f32_e32 v130, v130, v131
	s_cbranch_execz .LBB62_480
	s_branch .LBB62_481
.LBB62_479:
                                        ; implicit-def: $vgpr130
.LBB62_480:
	ds_load_b32 v130, v1
.LBB62_481:
	s_and_saveexec_b32 s9, s0
	s_cbranch_execz .LBB62_485
; %bb.482:
	v_add_nc_u32_e32 v131, -14, v0
	s_mov_b32 s0, 56
	s_movk_i32 s11, 0x138
	s_mov_b32 s10, 0
.LBB62_483:                             ; =>This Inner Loop Header: Depth=1
	scratch_load_b32 v132, off, s0
	v_dual_mov_b32 v133, s11 :: v_dual_add_nc_u32 v131, -1, v131
	s_add_co_i32 s11, s11, 4
	s_wait_xcnt 0x0
	s_add_co_i32 s0, s0, 4
	ds_load_b32 v133, v133
	v_cmp_eq_u32_e32 vcc_lo, 0, v131
	s_or_b32 s10, vcc_lo, s10
	s_wait_loadcnt_dscnt 0x0
	v_fmac_f32_e32 v130, v132, v133
	s_and_not1_b32 exec_lo, exec_lo, s10
	s_cbranch_execnz .LBB62_483
; %bb.484:
	s_or_b32 exec_lo, exec_lo, s10
.LBB62_485:
	s_delay_alu instid0(SALU_CYCLE_1)
	s_or_b32 exec_lo, exec_lo, s9
	v_mov_b32_e32 v131, 0
	ds_load_b32 v131, v131 offset:52
	s_wait_dscnt 0x0
	v_mul_f32_e32 v130, v130, v131
	scratch_store_b32 off, v130, off offset:52
.LBB62_486:
	;; [unrolled: 58-line block ×3, first 2 shown]
	s_wait_xcnt 0x0
	s_or_b32 exec_lo, exec_lo, s2
	scratch_load_b32 v130, off, off offset:44
	v_cmp_lt_u32_e64 s1, 11, v0
	s_wait_loadcnt 0x0
	ds_store_b32 v1, v130
	s_wait_storecnt_dscnt 0x0
	s_barrier_signal -1
	s_barrier_wait -1
	s_wait_xcnt 0x0
	s_and_saveexec_b32 s2, s1
	s_cbranch_execz .LBB62_506
; %bb.497:
	s_and_not1_b32 vcc_lo, exec_lo, s3
	s_cbranch_vccnz .LBB62_499
; %bb.498:
	scratch_load_b32 v130, v7, off
	ds_load_b32 v131, v1
	s_wait_loadcnt_dscnt 0x0
	v_mul_f32_e32 v130, v130, v131
	s_cbranch_execz .LBB62_500
	s_branch .LBB62_501
.LBB62_499:
                                        ; implicit-def: $vgpr130
.LBB62_500:
	ds_load_b32 v130, v1
.LBB62_501:
	s_and_saveexec_b32 s9, s0
	s_cbranch_execz .LBB62_505
; %bb.502:
	v_add_nc_u32_e32 v131, -12, v0
	s_movk_i32 s10, 0x130
	s_mov_b32 s0, 0
.LBB62_503:                             ; =>This Inner Loop Header: Depth=1
	scratch_load_b32 v132, off, s8
	v_dual_mov_b32 v133, s10 :: v_dual_add_nc_u32 v131, -1, v131
	s_add_co_i32 s10, s10, 4
	s_wait_xcnt 0x0
	s_add_co_i32 s8, s8, 4
	ds_load_b32 v133, v133
	v_cmp_eq_u32_e32 vcc_lo, 0, v131
	s_or_b32 s0, vcc_lo, s0
	s_wait_loadcnt_dscnt 0x0
	v_fmac_f32_e32 v130, v132, v133
	s_and_not1_b32 exec_lo, exec_lo, s0
	s_cbranch_execnz .LBB62_503
; %bb.504:
	s_or_b32 exec_lo, exec_lo, s0
.LBB62_505:
	s_delay_alu instid0(SALU_CYCLE_1)
	s_or_b32 exec_lo, exec_lo, s9
	v_mov_b32_e32 v131, 0
	ds_load_b32 v131, v131 offset:44
	s_wait_dscnt 0x0
	v_mul_f32_e32 v130, v130, v131
	scratch_store_b32 off, v130, off offset:44
.LBB62_506:
	s_wait_xcnt 0x0
	s_or_b32 exec_lo, exec_lo, s2
	scratch_load_b32 v130, off, off offset:40
	v_cmp_lt_u32_e64 s0, 10, v0
	s_wait_loadcnt 0x0
	ds_store_b32 v1, v130
	s_wait_storecnt_dscnt 0x0
	s_barrier_signal -1
	s_barrier_wait -1
	s_wait_xcnt 0x0
	s_and_saveexec_b32 s2, s0
	s_cbranch_execz .LBB62_516
; %bb.507:
	s_and_not1_b32 vcc_lo, exec_lo, s3
	s_cbranch_vccnz .LBB62_509
; %bb.508:
	scratch_load_b32 v130, v7, off
	ds_load_b32 v131, v1
	s_wait_loadcnt_dscnt 0x0
	v_mul_f32_e32 v130, v130, v131
	s_cbranch_execz .LBB62_510
	s_branch .LBB62_511
.LBB62_509:
                                        ; implicit-def: $vgpr130
.LBB62_510:
	ds_load_b32 v130, v1
.LBB62_511:
	s_and_saveexec_b32 s8, s1
	s_cbranch_execz .LBB62_515
; %bb.512:
	v_add_nc_u32_e32 v131, -11, v0
	s_mov_b32 s1, 44
	s_movk_i32 s10, 0x12c
	s_mov_b32 s9, 0
.LBB62_513:                             ; =>This Inner Loop Header: Depth=1
	scratch_load_b32 v132, off, s1
	v_dual_mov_b32 v133, s10 :: v_dual_add_nc_u32 v131, -1, v131
	s_add_co_i32 s10, s10, 4
	s_wait_xcnt 0x0
	s_add_co_i32 s1, s1, 4
	ds_load_b32 v133, v133
	v_cmp_eq_u32_e32 vcc_lo, 0, v131
	s_or_b32 s9, vcc_lo, s9
	s_wait_loadcnt_dscnt 0x0
	v_fmac_f32_e32 v130, v132, v133
	s_and_not1_b32 exec_lo, exec_lo, s9
	s_cbranch_execnz .LBB62_513
; %bb.514:
	s_or_b32 exec_lo, exec_lo, s9
.LBB62_515:
	s_delay_alu instid0(SALU_CYCLE_1)
	s_or_b32 exec_lo, exec_lo, s8
	v_mov_b32_e32 v131, 0
	ds_load_b32 v131, v131 offset:40
	s_wait_dscnt 0x0
	v_mul_f32_e32 v130, v130, v131
	scratch_store_b32 off, v130, off offset:40
.LBB62_516:
	s_wait_xcnt 0x0
	s_or_b32 exec_lo, exec_lo, s2
	scratch_load_b32 v130, off, off offset:36
	v_cmp_lt_u32_e64 s1, 9, v0
	s_wait_loadcnt 0x0
	ds_store_b32 v1, v130
	s_wait_storecnt_dscnt 0x0
	s_barrier_signal -1
	s_barrier_wait -1
	s_wait_xcnt 0x0
	s_and_saveexec_b32 s2, s1
	s_cbranch_execz .LBB62_526
; %bb.517:
	s_and_not1_b32 vcc_lo, exec_lo, s3
	s_cbranch_vccnz .LBB62_519
; %bb.518:
	scratch_load_b32 v130, v7, off
	ds_load_b32 v131, v1
	s_wait_loadcnt_dscnt 0x0
	v_mul_f32_e32 v130, v130, v131
	s_cbranch_execz .LBB62_520
	s_branch .LBB62_521
.LBB62_519:
                                        ; implicit-def: $vgpr130
.LBB62_520:
	ds_load_b32 v130, v1
.LBB62_521:
	s_and_saveexec_b32 s8, s0
	s_cbranch_execz .LBB62_525
; %bb.522:
	v_add_nc_u32_e32 v131, -10, v0
	s_mov_b32 s0, 40
	s_movk_i32 s10, 0x128
	s_mov_b32 s9, 0
.LBB62_523:                             ; =>This Inner Loop Header: Depth=1
	scratch_load_b32 v132, off, s0
	v_dual_mov_b32 v133, s10 :: v_dual_add_nc_u32 v131, -1, v131
	s_add_co_i32 s10, s10, 4
	s_wait_xcnt 0x0
	s_add_co_i32 s0, s0, 4
	ds_load_b32 v133, v133
	v_cmp_eq_u32_e32 vcc_lo, 0, v131
	s_or_b32 s9, vcc_lo, s9
	s_wait_loadcnt_dscnt 0x0
	v_fmac_f32_e32 v130, v132, v133
	s_and_not1_b32 exec_lo, exec_lo, s9
	s_cbranch_execnz .LBB62_523
; %bb.524:
	s_or_b32 exec_lo, exec_lo, s9
.LBB62_525:
	s_delay_alu instid0(SALU_CYCLE_1)
	s_or_b32 exec_lo, exec_lo, s8
	v_mov_b32_e32 v131, 0
	ds_load_b32 v131, v131 offset:36
	s_wait_dscnt 0x0
	v_mul_f32_e32 v130, v130, v131
	scratch_store_b32 off, v130, off offset:36
.LBB62_526:
	;; [unrolled: 58-line block ×3, first 2 shown]
	s_wait_xcnt 0x0
	s_or_b32 exec_lo, exec_lo, s2
	scratch_load_b32 v130, off, off offset:28
	v_cmp_lt_u32_e64 s1, 7, v0
	s_wait_loadcnt 0x0
	ds_store_b32 v1, v130
	s_wait_storecnt_dscnt 0x0
	s_barrier_signal -1
	s_barrier_wait -1
	s_wait_xcnt 0x0
	s_and_saveexec_b32 s2, s1
	s_cbranch_execz .LBB62_546
; %bb.537:
	s_and_not1_b32 vcc_lo, exec_lo, s3
	s_cbranch_vccnz .LBB62_539
; %bb.538:
	scratch_load_b32 v130, v7, off
	ds_load_b32 v131, v1
	s_wait_loadcnt_dscnt 0x0
	v_mul_f32_e32 v130, v130, v131
	s_cbranch_execz .LBB62_540
	s_branch .LBB62_541
.LBB62_539:
                                        ; implicit-def: $vgpr130
.LBB62_540:
	ds_load_b32 v130, v1
.LBB62_541:
	s_and_saveexec_b32 s8, s0
	s_cbranch_execz .LBB62_545
; %bb.542:
	v_add_nc_u32_e32 v131, -8, v0
	s_movk_i32 s9, 0x120
	s_mov_b32 s0, 0
.LBB62_543:                             ; =>This Inner Loop Header: Depth=1
	scratch_load_b32 v132, off, s5
	v_dual_mov_b32 v133, s9 :: v_dual_add_nc_u32 v131, -1, v131
	s_add_co_i32 s9, s9, 4
	s_wait_xcnt 0x0
	s_add_co_i32 s5, s5, 4
	ds_load_b32 v133, v133
	v_cmp_eq_u32_e32 vcc_lo, 0, v131
	s_or_b32 s0, vcc_lo, s0
	s_wait_loadcnt_dscnt 0x0
	v_fmac_f32_e32 v130, v132, v133
	s_and_not1_b32 exec_lo, exec_lo, s0
	s_cbranch_execnz .LBB62_543
; %bb.544:
	s_or_b32 exec_lo, exec_lo, s0
.LBB62_545:
	s_delay_alu instid0(SALU_CYCLE_1)
	s_or_b32 exec_lo, exec_lo, s8
	v_mov_b32_e32 v131, 0
	ds_load_b32 v131, v131 offset:28
	s_wait_dscnt 0x0
	v_mul_f32_e32 v130, v130, v131
	scratch_store_b32 off, v130, off offset:28
.LBB62_546:
	s_wait_xcnt 0x0
	s_or_b32 exec_lo, exec_lo, s2
	scratch_load_b32 v130, off, off offset:24
	v_cmp_lt_u32_e64 s0, 6, v0
	s_wait_loadcnt 0x0
	ds_store_b32 v1, v130
	s_wait_storecnt_dscnt 0x0
	s_barrier_signal -1
	s_barrier_wait -1
	s_wait_xcnt 0x0
	s_and_saveexec_b32 s2, s0
	s_cbranch_execz .LBB62_556
; %bb.547:
	s_and_not1_b32 vcc_lo, exec_lo, s3
	s_cbranch_vccnz .LBB62_549
; %bb.548:
	scratch_load_b32 v130, v7, off
	ds_load_b32 v131, v1
	s_wait_loadcnt_dscnt 0x0
	v_mul_f32_e32 v130, v130, v131
	s_cbranch_execz .LBB62_550
	s_branch .LBB62_551
.LBB62_549:
                                        ; implicit-def: $vgpr130
.LBB62_550:
	ds_load_b32 v130, v1
.LBB62_551:
	s_and_saveexec_b32 s5, s1
	s_cbranch_execz .LBB62_555
; %bb.552:
	v_add_nc_u32_e32 v131, -7, v0
	s_mov_b32 s1, 28
	s_movk_i32 s9, 0x11c
	s_mov_b32 s8, 0
.LBB62_553:                             ; =>This Inner Loop Header: Depth=1
	scratch_load_b32 v132, off, s1
	v_dual_mov_b32 v133, s9 :: v_dual_add_nc_u32 v131, -1, v131
	s_add_co_i32 s9, s9, 4
	s_wait_xcnt 0x0
	s_add_co_i32 s1, s1, 4
	ds_load_b32 v133, v133
	v_cmp_eq_u32_e32 vcc_lo, 0, v131
	s_or_b32 s8, vcc_lo, s8
	s_wait_loadcnt_dscnt 0x0
	v_fmac_f32_e32 v130, v132, v133
	s_and_not1_b32 exec_lo, exec_lo, s8
	s_cbranch_execnz .LBB62_553
; %bb.554:
	s_or_b32 exec_lo, exec_lo, s8
.LBB62_555:
	s_delay_alu instid0(SALU_CYCLE_1)
	s_or_b32 exec_lo, exec_lo, s5
	v_mov_b32_e32 v131, 0
	ds_load_b32 v131, v131 offset:24
	s_wait_dscnt 0x0
	v_mul_f32_e32 v130, v130, v131
	scratch_store_b32 off, v130, off offset:24
.LBB62_556:
	s_wait_xcnt 0x0
	s_or_b32 exec_lo, exec_lo, s2
	scratch_load_b32 v130, off, off offset:20
	v_cmp_lt_u32_e64 s1, 5, v0
	s_wait_loadcnt 0x0
	ds_store_b32 v1, v130
	s_wait_storecnt_dscnt 0x0
	s_barrier_signal -1
	s_barrier_wait -1
	s_wait_xcnt 0x0
	s_and_saveexec_b32 s2, s1
	s_cbranch_execz .LBB62_566
; %bb.557:
	s_and_not1_b32 vcc_lo, exec_lo, s3
	s_cbranch_vccnz .LBB62_559
; %bb.558:
	scratch_load_b32 v130, v7, off
	ds_load_b32 v131, v1
	s_wait_loadcnt_dscnt 0x0
	v_mul_f32_e32 v130, v130, v131
	s_cbranch_execz .LBB62_560
	s_branch .LBB62_561
.LBB62_559:
                                        ; implicit-def: $vgpr130
.LBB62_560:
	ds_load_b32 v130, v1
.LBB62_561:
	s_and_saveexec_b32 s5, s0
	s_cbranch_execz .LBB62_565
; %bb.562:
	v_add_nc_u32_e32 v131, -6, v0
	s_mov_b32 s0, 24
	s_movk_i32 s9, 0x118
	s_mov_b32 s8, 0
.LBB62_563:                             ; =>This Inner Loop Header: Depth=1
	scratch_load_b32 v132, off, s0
	v_dual_mov_b32 v133, s9 :: v_dual_add_nc_u32 v131, -1, v131
	s_add_co_i32 s9, s9, 4
	s_wait_xcnt 0x0
	s_add_co_i32 s0, s0, 4
	ds_load_b32 v133, v133
	v_cmp_eq_u32_e32 vcc_lo, 0, v131
	s_or_b32 s8, vcc_lo, s8
	s_wait_loadcnt_dscnt 0x0
	v_fmac_f32_e32 v130, v132, v133
	s_and_not1_b32 exec_lo, exec_lo, s8
	s_cbranch_execnz .LBB62_563
; %bb.564:
	s_or_b32 exec_lo, exec_lo, s8
.LBB62_565:
	s_delay_alu instid0(SALU_CYCLE_1)
	s_or_b32 exec_lo, exec_lo, s5
	v_mov_b32_e32 v131, 0
	ds_load_b32 v131, v131 offset:20
	s_wait_dscnt 0x0
	v_mul_f32_e32 v130, v130, v131
	scratch_store_b32 off, v130, off offset:20
.LBB62_566:
	;; [unrolled: 58-line block ×3, first 2 shown]
	s_wait_xcnt 0x0
	s_or_b32 exec_lo, exec_lo, s2
	scratch_load_b32 v130, off, off offset:12
	v_cmp_lt_u32_e64 s2, 3, v0
	s_wait_loadcnt 0x0
	ds_store_b32 v1, v130
	s_wait_storecnt_dscnt 0x0
	s_barrier_signal -1
	s_barrier_wait -1
	s_wait_xcnt 0x0
	s_and_saveexec_b32 s1, s2
	s_cbranch_execz .LBB62_586
; %bb.577:
	s_and_not1_b32 vcc_lo, exec_lo, s3
	s_cbranch_vccnz .LBB62_579
; %bb.578:
	scratch_load_b32 v130, v7, off
	ds_load_b32 v131, v1
	s_wait_loadcnt_dscnt 0x0
	v_mul_f32_e32 v130, v130, v131
	s_cbranch_execz .LBB62_580
	s_branch .LBB62_581
.LBB62_579:
                                        ; implicit-def: $vgpr130
.LBB62_580:
	ds_load_b32 v130, v1
.LBB62_581:
	s_and_saveexec_b32 s5, s0
	s_cbranch_execz .LBB62_585
; %bb.582:
	v_add_nc_u32_e32 v131, -4, v0
	s_movk_i32 s8, 0x110
	s_mov_b32 s0, 0
.LBB62_583:                             ; =>This Inner Loop Header: Depth=1
	scratch_load_b32 v132, off, s4
	v_dual_mov_b32 v133, s8 :: v_dual_add_nc_u32 v131, -1, v131
	s_add_co_i32 s8, s8, 4
	s_wait_xcnt 0x0
	s_add_co_i32 s4, s4, 4
	ds_load_b32 v133, v133
	v_cmp_eq_u32_e32 vcc_lo, 0, v131
	s_or_b32 s0, vcc_lo, s0
	s_wait_loadcnt_dscnt 0x0
	v_fmac_f32_e32 v130, v132, v133
	s_and_not1_b32 exec_lo, exec_lo, s0
	s_cbranch_execnz .LBB62_583
; %bb.584:
	s_or_b32 exec_lo, exec_lo, s0
.LBB62_585:
	s_delay_alu instid0(SALU_CYCLE_1)
	s_or_b32 exec_lo, exec_lo, s5
	v_mov_b32_e32 v131, 0
	ds_load_b32 v131, v131 offset:12
	s_wait_dscnt 0x0
	v_mul_f32_e32 v130, v130, v131
	scratch_store_b32 off, v130, off offset:12
.LBB62_586:
	s_wait_xcnt 0x0
	s_or_b32 exec_lo, exec_lo, s1
	scratch_load_b32 v130, off, off offset:8
	v_cmp_lt_u32_e64 s1, 2, v0
	s_wait_loadcnt 0x0
	ds_store_b32 v1, v130
	s_wait_storecnt_dscnt 0x0
	s_barrier_signal -1
	s_barrier_wait -1
	s_wait_xcnt 0x0
	s_and_saveexec_b32 s0, s1
	s_cbranch_execz .LBB62_596
; %bb.587:
	s_and_not1_b32 vcc_lo, exec_lo, s3
	s_cbranch_vccnz .LBB62_589
; %bb.588:
	scratch_load_b32 v130, v7, off
	ds_load_b32 v131, v1
	s_wait_loadcnt_dscnt 0x0
	v_mul_f32_e32 v130, v130, v131
	s_cbranch_execz .LBB62_590
	s_branch .LBB62_591
.LBB62_589:
                                        ; implicit-def: $vgpr130
.LBB62_590:
	ds_load_b32 v130, v1
.LBB62_591:
	s_and_saveexec_b32 s4, s2
	s_cbranch_execz .LBB62_595
; %bb.592:
	v_add_nc_u32_e32 v131, -3, v0
	s_or_b32 s2, 0, 12
	s_movk_i32 s8, 0x10c
	s_mov_b32 s5, 0
.LBB62_593:                             ; =>This Inner Loop Header: Depth=1
	scratch_load_b32 v132, off, s2
	v_dual_mov_b32 v133, s8 :: v_dual_add_nc_u32 v131, -1, v131
	s_add_co_i32 s8, s8, 4
	s_wait_xcnt 0x0
	s_add_co_i32 s2, s2, 4
	ds_load_b32 v133, v133
	v_cmp_eq_u32_e32 vcc_lo, 0, v131
	s_or_b32 s5, vcc_lo, s5
	s_wait_loadcnt_dscnt 0x0
	v_fmac_f32_e32 v130, v132, v133
	s_and_not1_b32 exec_lo, exec_lo, s5
	s_cbranch_execnz .LBB62_593
; %bb.594:
	s_or_b32 exec_lo, exec_lo, s5
.LBB62_595:
	s_delay_alu instid0(SALU_CYCLE_1)
	s_or_b32 exec_lo, exec_lo, s4
	v_mov_b32_e32 v131, 0
	ds_load_b32 v131, v131 offset:8
	s_wait_dscnt 0x0
	v_mul_f32_e32 v130, v130, v131
	scratch_store_b32 off, v130, off offset:8
.LBB62_596:
	s_wait_xcnt 0x0
	s_or_b32 exec_lo, exec_lo, s0
	scratch_load_b32 v130, off, off offset:4
	v_cmp_lt_u32_e64 s0, 1, v0
	s_wait_loadcnt 0x0
	ds_store_b32 v1, v130
	s_wait_storecnt_dscnt 0x0
	s_barrier_signal -1
	s_barrier_wait -1
	s_wait_xcnt 0x0
	s_and_saveexec_b32 s2, s0
	s_cbranch_execz .LBB62_606
; %bb.597:
	s_and_not1_b32 vcc_lo, exec_lo, s3
	s_cbranch_vccnz .LBB62_599
; %bb.598:
	scratch_load_b32 v130, v7, off
	ds_load_b32 v131, v1
	s_wait_loadcnt_dscnt 0x0
	v_mul_f32_e32 v130, v130, v131
	s_cbranch_execz .LBB62_600
	s_branch .LBB62_601
.LBB62_599:
                                        ; implicit-def: $vgpr130
.LBB62_600:
	ds_load_b32 v130, v1
.LBB62_601:
	s_and_saveexec_b32 s4, s1
	s_cbranch_execz .LBB62_605
; %bb.602:
	v_add_nc_u32_e32 v131, -2, v0
	s_or_b32 s1, 0, 8
	s_movk_i32 s8, 0x108
	s_mov_b32 s5, 0
.LBB62_603:                             ; =>This Inner Loop Header: Depth=1
	scratch_load_b32 v132, off, s1
	v_dual_mov_b32 v133, s8 :: v_dual_add_nc_u32 v131, -1, v131
	s_add_co_i32 s8, s8, 4
	s_wait_xcnt 0x0
	s_add_co_i32 s1, s1, 4
	ds_load_b32 v133, v133
	v_cmp_eq_u32_e32 vcc_lo, 0, v131
	s_or_b32 s5, vcc_lo, s5
	s_wait_loadcnt_dscnt 0x0
	v_fmac_f32_e32 v130, v132, v133
	s_and_not1_b32 exec_lo, exec_lo, s5
	s_cbranch_execnz .LBB62_603
; %bb.604:
	s_or_b32 exec_lo, exec_lo, s5
.LBB62_605:
	s_delay_alu instid0(SALU_CYCLE_1)
	s_or_b32 exec_lo, exec_lo, s4
	v_mov_b32_e32 v131, 0
	ds_load_b32 v131, v131 offset:4
	s_wait_dscnt 0x0
	v_mul_f32_e32 v130, v130, v131
	scratch_store_b32 off, v130, off offset:4
.LBB62_606:
	s_wait_xcnt 0x0
	s_or_b32 exec_lo, exec_lo, s2
	scratch_load_b32 v130, off, off
	s_mov_b32 s1, 0
	s_mov_b32 s2, exec_lo
	s_wait_loadcnt 0x0
	ds_store_b32 v1, v130
	s_wait_storecnt_dscnt 0x0
	s_barrier_signal -1
	s_barrier_wait -1
	s_wait_xcnt 0x0
	v_cmpx_ne_u32_e32 0, v0
	s_cbranch_execz .LBB62_616
; %bb.607:
	s_and_not1_b32 vcc_lo, exec_lo, s3
	s_cbranch_vccnz .LBB62_609
; %bb.608:
	scratch_load_b32 v130, v7, off
	ds_load_b32 v131, v1
	s_wait_loadcnt_dscnt 0x0
	v_mul_f32_e32 v130, v130, v131
	s_cbranch_execz .LBB62_610
	s_branch .LBB62_611
.LBB62_609:
                                        ; implicit-def: $vgpr130
.LBB62_610:
	ds_load_b32 v130, v1
.LBB62_611:
	s_and_saveexec_b32 s4, s0
	s_cbranch_execz .LBB62_615
; %bb.612:
	v_add_nc_u32_e32 v131, -1, v0
	s_or_b32 s0, 0, 4
	s_movk_i32 s8, 0x104
	s_mov_b32 s5, 0
.LBB62_613:                             ; =>This Inner Loop Header: Depth=1
	scratch_load_b32 v132, off, s0
	v_dual_mov_b32 v133, s8 :: v_dual_add_nc_u32 v131, -1, v131
	s_add_co_i32 s8, s8, 4
	s_wait_xcnt 0x0
	s_add_co_i32 s0, s0, 4
	ds_load_b32 v133, v133
	v_cmp_eq_u32_e32 vcc_lo, 0, v131
	s_or_b32 s5, vcc_lo, s5
	s_wait_loadcnt_dscnt 0x0
	v_fmac_f32_e32 v130, v132, v133
	s_and_not1_b32 exec_lo, exec_lo, s5
	s_cbranch_execnz .LBB62_613
; %bb.614:
	s_or_b32 exec_lo, exec_lo, s5
.LBB62_615:
	s_delay_alu instid0(SALU_CYCLE_1)
	s_or_b32 exec_lo, exec_lo, s4
	v_mov_b32_e32 v131, 0
	ds_load_b32 v131, v131
	s_wait_dscnt 0x0
	v_mul_f32_e32 v130, v130, v131
	scratch_store_b32 off, v130, off
.LBB62_616:
	s_wait_xcnt 0x0
	s_or_b32 exec_lo, exec_lo, s2
.LBB62_617:
	v_lshl_add_u64 v[158:159], v[8:9], 2, s[6:7]
	v_lshl_add_u64 v[156:157], v[10:11], 2, s[6:7]
	;; [unrolled: 1-line block ×61, first 2 shown]
	s_and_b32 vcc_lo, exec_lo, s1
	s_cbranch_vccz .LBB62_1229
; %bb.618:
	scratch_load_b32 v100, off, off offset:4
	v_cmp_eq_u32_e64 s0, 0, v0
	s_wait_loadcnt 0x0
	ds_store_b32 v1, v100
	s_wait_storecnt_dscnt 0x0
	s_barrier_signal -1
	s_barrier_wait -1
	s_wait_xcnt 0x0
	s_and_saveexec_b32 s1, s0
	s_cbranch_execz .LBB62_624
; %bb.619:
	s_and_b32 vcc_lo, exec_lo, s3
	s_cbranch_vccz .LBB62_621
; %bb.620:
	scratch_load_b32 v100, v7, off
	ds_load_b32 v101, v1
	s_wait_loadcnt_dscnt 0x0
	v_mul_f32_e32 v100, v100, v101
	s_cbranch_execz .LBB62_622
	s_branch .LBB62_623
.LBB62_621:
                                        ; implicit-def: $vgpr100
.LBB62_622:
	ds_load_b32 v100, v1
.LBB62_623:
	v_mov_b32_e32 v101, 0
	ds_load_b32 v101, v101 offset:4
	s_wait_dscnt 0x0
	v_mul_f32_e32 v100, v100, v101
	scratch_store_b32 off, v100, off offset:4
.LBB62_624:
	s_wait_xcnt 0x0
	s_or_b32 exec_lo, exec_lo, s1
	scratch_load_b32 v101, off, off offset:8
	v_cndmask_b32_e64 v100, 0, 1, s3
	s_mov_b32 s1, exec_lo
	s_wait_loadcnt 0x0
	ds_store_b32 v1, v101
	s_wait_storecnt_dscnt 0x0
	s_barrier_signal -1
	s_barrier_wait -1
	s_wait_xcnt 0x0
	v_cmpx_gt_u32_e32 2, v0
	s_cbranch_execz .LBB62_630
; %bb.625:
	s_and_not1_b32 vcc_lo, exec_lo, s3
	s_cbranch_vccnz .LBB62_627
; %bb.626:
	scratch_load_b32 v101, v7, off
	ds_load_b32 v102, v1
	s_wait_loadcnt_dscnt 0x0
	v_mul_f32_e32 v101, v101, v102
	s_cbranch_execz .LBB62_628
	s_branch .LBB62_629
.LBB62_627:
                                        ; implicit-def: $vgpr101
.LBB62_628:
	ds_load_b32 v101, v1
.LBB62_629:
	scratch_load_b32 v104, off, off offset:4
	v_mov_b32_e32 v102, 0
	ds_load_2addr_b32 v[102:103], v102 offset0:2 offset1:65
	s_wait_loadcnt_dscnt 0x0
	v_fma_f32 v103, v104, v103, v101
	s_delay_alu instid0(VALU_DEP_1) | instskip(NEXT) | instid1(VALU_DEP_1)
	v_cndmask_b32_e64 v101, v101, v103, s0
	v_mul_f32_e32 v101, v101, v102
	scratch_store_b32 off, v101, off offset:8
.LBB62_630:
	s_wait_xcnt 0x0
	s_or_b32 exec_lo, exec_lo, s1
	scratch_load_b32 v101, off, off offset:12
	s_mov_b32 s1, exec_lo
	s_wait_loadcnt 0x0
	ds_store_b32 v1, v101
	s_wait_storecnt_dscnt 0x0
	s_barrier_signal -1
	s_barrier_wait -1
	s_wait_xcnt 0x0
	v_cmpx_gt_u32_e32 3, v0
	s_cbranch_execz .LBB62_638
; %bb.631:
	v_cmp_ne_u32_e32 vcc_lo, 1, v100
	s_cbranch_vccnz .LBB62_633
; %bb.632:
	scratch_load_b32 v101, v7, off
	ds_load_b32 v102, v1
	s_wait_loadcnt_dscnt 0x0
	v_mul_f32_e32 v101, v101, v102
	s_cbranch_execz .LBB62_634
	s_branch .LBB62_635
.LBB62_633:
                                        ; implicit-def: $vgpr101
.LBB62_634:
	ds_load_b32 v101, v1
.LBB62_635:
	s_mov_b32 s2, exec_lo
	v_cmpx_ne_u32_e32 2, v0
	s_cbranch_execz .LBB62_637
; %bb.636:
	scratch_load_b32 v102, v7, off offset:4
	scratch_load_b32 v103, off, off offset:8
	ds_load_b32 v104, v1 offset:4
	v_mov_b32_e32 v105, 0
	ds_load_b32 v105, v105 offset:264
	s_wait_loadcnt_dscnt 0x101
	v_fmac_f32_e32 v101, v102, v104
	s_wait_loadcnt_dscnt 0x0
	s_delay_alu instid0(VALU_DEP_1) | instskip(NEXT) | instid1(VALU_DEP_1)
	v_fma_f32 v102, v103, v105, v101
	v_cndmask_b32_e64 v101, v101, v102, s0
.LBB62_637:
	s_or_b32 exec_lo, exec_lo, s2
	v_mov_b32_e32 v102, 0
	ds_load_b32 v102, v102 offset:12
	s_wait_dscnt 0x0
	v_mul_f32_e32 v101, v101, v102
	scratch_store_b32 off, v101, off offset:12
.LBB62_638:
	s_wait_xcnt 0x0
	s_or_b32 exec_lo, exec_lo, s1
	scratch_load_b32 v101, off, off offset:16
	s_mov_b32 s0, exec_lo
	s_wait_loadcnt 0x0
	ds_store_b32 v1, v101
	s_wait_storecnt_dscnt 0x0
	s_barrier_signal -1
	s_barrier_wait -1
	s_wait_xcnt 0x0
	v_cmpx_gt_u32_e32 4, v0
	s_cbranch_execz .LBB62_648
; %bb.639:
	v_cmp_ne_u32_e32 vcc_lo, 1, v100
	s_cbranch_vccnz .LBB62_641
; %bb.640:
	scratch_load_b32 v101, v7, off
	ds_load_b32 v102, v1
	s_wait_loadcnt_dscnt 0x0
	v_mul_f32_e32 v101, v101, v102
	s_cbranch_execz .LBB62_642
	s_branch .LBB62_643
.LBB62_641:
                                        ; implicit-def: $vgpr101
.LBB62_642:
	ds_load_b32 v101, v1
.LBB62_643:
	s_mov_b32 s1, exec_lo
	v_cmpx_ne_u32_e32 3, v0
	s_cbranch_execz .LBB62_647
; %bb.644:
	v_add_nc_u32_e32 v102, 0x104, v6
	v_add3_u32 v103, 0, v6, 4
	v_mov_b32_e32 v104, v0
	s_mov_b32 s2, 0
.LBB62_645:                             ; =>This Inner Loop Header: Depth=1
	scratch_load_b32 v105, v103, off
	ds_load_b32 v106, v102
	v_dual_add_nc_u32 v104, 1, v104 :: v_dual_add_nc_u32 v102, 4, v102
	s_wait_xcnt 0x0
	v_add_nc_u32_e32 v103, 4, v103
	s_delay_alu instid0(VALU_DEP_2)
	v_cmp_lt_u32_e32 vcc_lo, 2, v104
	s_or_b32 s2, vcc_lo, s2
	s_wait_loadcnt_dscnt 0x0
	v_fmac_f32_e32 v101, v105, v106
	s_and_not1_b32 exec_lo, exec_lo, s2
	s_cbranch_execnz .LBB62_645
; %bb.646:
	s_or_b32 exec_lo, exec_lo, s2
.LBB62_647:
	s_delay_alu instid0(SALU_CYCLE_1)
	s_or_b32 exec_lo, exec_lo, s1
	v_mov_b32_e32 v102, 0
	ds_load_b32 v102, v102 offset:16
	s_wait_dscnt 0x0
	v_mul_f32_e32 v101, v101, v102
	scratch_store_b32 off, v101, off offset:16
.LBB62_648:
	s_wait_xcnt 0x0
	s_or_b32 exec_lo, exec_lo, s0
	scratch_load_b32 v101, off, off offset:20
	s_mov_b32 s0, exec_lo
	s_wait_loadcnt 0x0
	ds_store_b32 v1, v101
	s_wait_storecnt_dscnt 0x0
	s_barrier_signal -1
	s_barrier_wait -1
	s_wait_xcnt 0x0
	v_cmpx_gt_u32_e32 5, v0
	s_cbranch_execz .LBB62_658
; %bb.649:
	v_cmp_ne_u32_e32 vcc_lo, 1, v100
	s_cbranch_vccnz .LBB62_651
; %bb.650:
	scratch_load_b32 v101, v7, off
	ds_load_b32 v102, v1
	s_wait_loadcnt_dscnt 0x0
	v_mul_f32_e32 v101, v101, v102
	s_cbranch_execz .LBB62_652
	s_branch .LBB62_653
.LBB62_651:
                                        ; implicit-def: $vgpr101
.LBB62_652:
	ds_load_b32 v101, v1
.LBB62_653:
	s_mov_b32 s1, exec_lo
	v_cmpx_ne_u32_e32 4, v0
	s_cbranch_execz .LBB62_657
; %bb.654:
	v_add_nc_u32_e32 v102, 0x104, v6
	v_add3_u32 v103, 0, v6, 4
	v_mov_b32_e32 v104, v0
	s_mov_b32 s2, 0
.LBB62_655:                             ; =>This Inner Loop Header: Depth=1
	scratch_load_b32 v105, v103, off
	ds_load_b32 v106, v102
	v_dual_add_nc_u32 v104, 1, v104 :: v_dual_add_nc_u32 v102, 4, v102
	s_wait_xcnt 0x0
	v_add_nc_u32_e32 v103, 4, v103
	s_delay_alu instid0(VALU_DEP_2)
	v_cmp_lt_u32_e32 vcc_lo, 3, v104
	s_or_b32 s2, vcc_lo, s2
	s_wait_loadcnt_dscnt 0x0
	v_fmac_f32_e32 v101, v105, v106
	s_and_not1_b32 exec_lo, exec_lo, s2
	s_cbranch_execnz .LBB62_655
; %bb.656:
	s_or_b32 exec_lo, exec_lo, s2
.LBB62_657:
	s_delay_alu instid0(SALU_CYCLE_1)
	s_or_b32 exec_lo, exec_lo, s1
	v_mov_b32_e32 v102, 0
	ds_load_b32 v102, v102 offset:20
	s_wait_dscnt 0x0
	v_mul_f32_e32 v101, v101, v102
	scratch_store_b32 off, v101, off offset:20
.LBB62_658:
	;; [unrolled: 59-line block ×36, first 2 shown]
	s_wait_xcnt 0x0
	s_or_b32 exec_lo, exec_lo, s0
	scratch_load_b32 v101, off, off offset:160
	s_mov_b32 s0, exec_lo
	s_wait_loadcnt 0x0
	ds_store_b32 v1, v101
	s_wait_storecnt_dscnt 0x0
	s_barrier_signal -1
	s_barrier_wait -1
	s_wait_xcnt 0x0
	v_cmpx_gt_u32_e32 40, v0
	s_cbranch_execz .LBB62_1008
; %bb.999:
	v_cmp_ne_u32_e32 vcc_lo, 1, v100
	s_cbranch_vccnz .LBB62_1001
; %bb.1000:
	scratch_load_b32 v101, v7, off
	ds_load_b32 v102, v1
	s_wait_loadcnt_dscnt 0x0
	v_mul_f32_e32 v101, v101, v102
	s_cbranch_execz .LBB62_1002
	s_branch .LBB62_1003
.LBB62_1001:
                                        ; implicit-def: $vgpr101
.LBB62_1002:
	ds_load_b32 v101, v1
.LBB62_1003:
	s_mov_b32 s1, exec_lo
	v_cmpx_ne_u32_e32 39, v0
	s_cbranch_execz .LBB62_1007
; %bb.1004:
	v_add_nc_u32_e32 v102, 0x104, v6
	v_add3_u32 v103, 0, v6, 4
	v_mov_b32_e32 v104, v0
	s_mov_b32 s2, 0
.LBB62_1005:                            ; =>This Inner Loop Header: Depth=1
	scratch_load_b32 v105, v103, off
	ds_load_b32 v106, v102
	v_dual_add_nc_u32 v104, 1, v104 :: v_dual_add_nc_u32 v102, 4, v102
	s_wait_xcnt 0x0
	v_add_nc_u32_e32 v103, 4, v103
	s_delay_alu instid0(VALU_DEP_2)
	v_cmp_lt_u32_e32 vcc_lo, 38, v104
	s_or_b32 s2, vcc_lo, s2
	s_wait_loadcnt_dscnt 0x0
	v_fmac_f32_e32 v101, v105, v106
	s_and_not1_b32 exec_lo, exec_lo, s2
	s_cbranch_execnz .LBB62_1005
; %bb.1006:
	s_or_b32 exec_lo, exec_lo, s2
.LBB62_1007:
	s_delay_alu instid0(SALU_CYCLE_1)
	s_or_b32 exec_lo, exec_lo, s1
	v_mov_b32_e32 v102, 0
	ds_load_b32 v102, v102 offset:160
	s_wait_dscnt 0x0
	v_mul_f32_e32 v101, v101, v102
	scratch_store_b32 off, v101, off offset:160
.LBB62_1008:
	s_wait_xcnt 0x0
	s_or_b32 exec_lo, exec_lo, s0
	scratch_load_b32 v101, off, off offset:164
	s_mov_b32 s0, exec_lo
	s_wait_loadcnt 0x0
	ds_store_b32 v1, v101
	s_wait_storecnt_dscnt 0x0
	s_barrier_signal -1
	s_barrier_wait -1
	s_wait_xcnt 0x0
	v_cmpx_gt_u32_e32 41, v0
	s_cbranch_execz .LBB62_1018
; %bb.1009:
	v_cmp_ne_u32_e32 vcc_lo, 1, v100
	s_cbranch_vccnz .LBB62_1011
; %bb.1010:
	scratch_load_b32 v101, v7, off
	ds_load_b32 v102, v1
	s_wait_loadcnt_dscnt 0x0
	v_mul_f32_e32 v101, v101, v102
	s_cbranch_execz .LBB62_1012
	s_branch .LBB62_1013
.LBB62_1011:
                                        ; implicit-def: $vgpr101
.LBB62_1012:
	ds_load_b32 v101, v1
.LBB62_1013:
	s_mov_b32 s1, exec_lo
	v_cmpx_ne_u32_e32 40, v0
	s_cbranch_execz .LBB62_1017
; %bb.1014:
	v_add_nc_u32_e32 v102, 0x104, v6
	v_add3_u32 v103, 0, v6, 4
	v_mov_b32_e32 v104, v0
	s_mov_b32 s2, 0
.LBB62_1015:                            ; =>This Inner Loop Header: Depth=1
	scratch_load_b32 v105, v103, off
	ds_load_b32 v106, v102
	v_dual_add_nc_u32 v104, 1, v104 :: v_dual_add_nc_u32 v102, 4, v102
	s_wait_xcnt 0x0
	v_add_nc_u32_e32 v103, 4, v103
	s_delay_alu instid0(VALU_DEP_2)
	v_cmp_lt_u32_e32 vcc_lo, 39, v104
	s_or_b32 s2, vcc_lo, s2
	s_wait_loadcnt_dscnt 0x0
	v_fmac_f32_e32 v101, v105, v106
	s_and_not1_b32 exec_lo, exec_lo, s2
	s_cbranch_execnz .LBB62_1015
; %bb.1016:
	s_or_b32 exec_lo, exec_lo, s2
.LBB62_1017:
	s_delay_alu instid0(SALU_CYCLE_1)
	s_or_b32 exec_lo, exec_lo, s1
	v_mov_b32_e32 v102, 0
	ds_load_b32 v102, v102 offset:164
	s_wait_dscnt 0x0
	v_mul_f32_e32 v101, v101, v102
	scratch_store_b32 off, v101, off offset:164
.LBB62_1018:
	;; [unrolled: 59-line block ×21, first 2 shown]
	s_wait_xcnt 0x0
	s_or_b32 exec_lo, exec_lo, s0
	scratch_load_b32 v101, off, off offset:244
	v_cmp_gt_u32_e64 s0, 61, v0
	s_wait_loadcnt 0x0
	ds_store_b32 v1, v101
	s_wait_storecnt_dscnt 0x0
	s_barrier_signal -1
	s_barrier_wait -1
	s_wait_xcnt 0x0
	s_and_saveexec_b32 s1, s0
	s_cbranch_execz .LBB62_1218
; %bb.1209:
	v_cmp_ne_u32_e32 vcc_lo, 1, v100
	s_cbranch_vccnz .LBB62_1211
; %bb.1210:
	scratch_load_b32 v101, v7, off
	ds_load_b32 v102, v1
	s_wait_loadcnt_dscnt 0x0
	v_mul_f32_e32 v101, v101, v102
	s_cbranch_execz .LBB62_1212
	s_branch .LBB62_1213
.LBB62_1211:
                                        ; implicit-def: $vgpr101
.LBB62_1212:
	ds_load_b32 v101, v1
.LBB62_1213:
	s_mov_b32 s2, exec_lo
	v_cmpx_ne_u32_e32 60, v0
	s_cbranch_execz .LBB62_1217
; %bb.1214:
	v_add_nc_u32_e32 v102, 0x104, v6
	v_add3_u32 v103, 0, v6, 4
	v_mov_b32_e32 v104, v0
	s_mov_b32 s3, 0
.LBB62_1215:                            ; =>This Inner Loop Header: Depth=1
	scratch_load_b32 v105, v103, off
	ds_load_b32 v106, v102
	v_dual_add_nc_u32 v104, 1, v104 :: v_dual_add_nc_u32 v102, 4, v102
	s_wait_xcnt 0x0
	v_add_nc_u32_e32 v103, 4, v103
	s_delay_alu instid0(VALU_DEP_2)
	v_cmp_lt_u32_e32 vcc_lo, 59, v104
	s_or_b32 s3, vcc_lo, s3
	s_wait_loadcnt_dscnt 0x0
	v_fmac_f32_e32 v101, v105, v106
	s_and_not1_b32 exec_lo, exec_lo, s3
	s_cbranch_execnz .LBB62_1215
; %bb.1216:
	s_or_b32 exec_lo, exec_lo, s3
.LBB62_1217:
	s_delay_alu instid0(SALU_CYCLE_1)
	s_or_b32 exec_lo, exec_lo, s2
	v_mov_b32_e32 v102, 0
	ds_load_b32 v102, v102 offset:244
	s_wait_dscnt 0x0
	v_mul_f32_e32 v101, v101, v102
	scratch_store_b32 off, v101, off offset:244
.LBB62_1218:
	s_wait_xcnt 0x0
	s_or_b32 exec_lo, exec_lo, s1
	scratch_load_b32 v101, off, off offset:248
	s_mov_b32 s1, exec_lo
	s_wait_loadcnt 0x0
	ds_store_b32 v1, v101
	s_wait_storecnt_dscnt 0x0
	s_barrier_signal -1
	s_barrier_wait -1
	s_wait_xcnt 0x0
	v_cmpx_ne_u32_e32 62, v0
	s_cbranch_execz .LBB62_1228
; %bb.1219:
	v_cmp_ne_u32_e32 vcc_lo, 1, v100
	s_cbranch_vccnz .LBB62_1221
; %bb.1220:
	scratch_load_b32 v7, v7, off
	ds_load_b32 v100, v1
	s_wait_loadcnt_dscnt 0x0
	v_mul_f32_e32 v7, v7, v100
	s_cbranch_execz .LBB62_1222
	s_branch .LBB62_1223
.LBB62_1221:
                                        ; implicit-def: $vgpr7
.LBB62_1222:
	ds_load_b32 v7, v1
.LBB62_1223:
	s_and_saveexec_b32 s2, s0
	s_cbranch_execz .LBB62_1227
; %bb.1224:
	v_add_nc_u32_e32 v1, 0x104, v6
	v_add3_u32 v6, 0, v6, 4
	s_mov_b32 s0, 0
.LBB62_1225:                            ; =>This Inner Loop Header: Depth=1
	scratch_load_b32 v100, v6, off
	ds_load_b32 v101, v1
	v_dual_add_nc_u32 v0, 1, v0 :: v_dual_add_nc_u32 v1, 4, v1
	s_wait_xcnt 0x0
	v_add_nc_u32_e32 v6, 4, v6
	s_delay_alu instid0(VALU_DEP_2)
	v_cmp_lt_u32_e32 vcc_lo, 60, v0
	s_or_b32 s0, vcc_lo, s0
	s_wait_loadcnt_dscnt 0x0
	v_fmac_f32_e32 v7, v100, v101
	s_and_not1_b32 exec_lo, exec_lo, s0
	s_cbranch_execnz .LBB62_1225
; %bb.1226:
	s_or_b32 exec_lo, exec_lo, s0
.LBB62_1227:
	s_delay_alu instid0(SALU_CYCLE_1)
	s_or_b32 exec_lo, exec_lo, s2
	v_mov_b32_e32 v0, 0
	ds_load_b32 v0, v0 offset:248
	s_wait_dscnt 0x0
	v_mul_f32_e32 v0, v7, v0
	scratch_store_b32 off, v0, off offset:248
.LBB62_1228:
	s_wait_xcnt 0x0
	s_or_b32 exec_lo, exec_lo, s1
.LBB62_1229:
	s_clause 0x2
	scratch_load_b128 v[100:103], off, off
	scratch_load_b128 v[104:107], off, off offset:16
	scratch_load_b128 v[108:111], off, off offset:32
	s_wait_loadcnt 0x2
	global_store_b32 v[2:3], v100, off
	scratch_load_b128 v[0:3], off, off offset:48
	s_clause 0x1
	global_store_b32 v[4:5], v101, off
	global_store_b32 v[158:159], v102, off
	scratch_load_b128 v[4:7], off, off offset:64
	global_store_b32 v[156:157], v103, off
	s_clause 0x1
	scratch_load_b128 v[100:103], off, off offset:80
	scratch_load_b128 v[112:115], off, off offset:96
	s_wait_loadcnt 0x5
	s_clause 0x2
	global_store_b32 v[154:155], v104, off
	global_store_b32 v[150:151], v105, off
	;; [unrolled: 1-line block ×3, first 2 shown]
	scratch_load_b128 v[116:119], off, off offset:112
	global_store_b32 v[148:149], v107, off
	s_clause 0x1
	scratch_load_b128 v[104:107], off, off offset:128
	scratch_load_b128 v[120:123], off, off offset:144
	s_wait_loadcnt 0x7
	s_clause 0x2
	global_store_b32 v[146:147], v108, off
	global_store_b32 v[142:143], v109, off
	;; [unrolled: 1-line block ×3, first 2 shown]
	scratch_load_b128 v[124:127], off, off offset:160
	global_store_b32 v[140:141], v111, off
	scratch_load_b128 v[108:111], off, off offset:176
	s_wait_loadcnt 0x8
	global_store_b32 v[138:139], v0, off
	scratch_load_b128 v[138:141], off, off offset:192
	s_clause 0x1
	global_store_b32 v[134:135], v1, off
	global_store_b32 v[136:137], v2, off
	scratch_load_b128 v[134:137], off, off offset:208
	global_store_b32 v[132:133], v3, off
	scratch_load_b128 v[0:3], off, off offset:224
	s_wait_loadcnt 0xa
	global_store_b32 v[130:131], v4, off
	scratch_load_b96 v[128:130], off, off offset:240
	s_clause 0x2
	global_store_b32 v[8:9], v5, off
	global_store_b32 v[10:11], v6, off
	global_store_b32 v[12:13], v7, off
	s_wait_loadcnt 0xa
	s_clause 0x3
	global_store_b32 v[14:15], v100, off
	global_store_b32 v[16:17], v101, off
	global_store_b32 v[18:19], v102, off
	global_store_b32 v[20:21], v103, off
	s_wait_loadcnt 0x9
	s_clause 0x3
	global_store_b32 v[22:23], v112, off
	;; [unrolled: 6-line block ×11, first 2 shown]
	global_store_b32 v[96:97], v129, off
	global_store_b32 v[98:99], v130, off
.LBB62_1230:
	s_sendmsg sendmsg(MSG_DEALLOC_VGPRS)
	s_endpgm
	.section	.rodata,"a",@progbits
	.p2align	6, 0x0
	.amdhsa_kernel _ZN9rocsolver6v33100L18trti2_kernel_smallILi63EfPfEEv13rocblas_fill_17rocblas_diagonal_T1_iil
		.amdhsa_group_segment_fixed_size 508
		.amdhsa_private_segment_fixed_size 256
		.amdhsa_kernarg_size 32
		.amdhsa_user_sgpr_count 2
		.amdhsa_user_sgpr_dispatch_ptr 0
		.amdhsa_user_sgpr_queue_ptr 0
		.amdhsa_user_sgpr_kernarg_segment_ptr 1
		.amdhsa_user_sgpr_dispatch_id 0
		.amdhsa_user_sgpr_kernarg_preload_length 0
		.amdhsa_user_sgpr_kernarg_preload_offset 0
		.amdhsa_user_sgpr_private_segment_size 0
		.amdhsa_wavefront_size32 1
		.amdhsa_uses_dynamic_stack 0
		.amdhsa_enable_private_segment 1
		.amdhsa_system_sgpr_workgroup_id_x 1
		.amdhsa_system_sgpr_workgroup_id_y 0
		.amdhsa_system_sgpr_workgroup_id_z 0
		.amdhsa_system_sgpr_workgroup_info 0
		.amdhsa_system_vgpr_workitem_id 0
		.amdhsa_next_free_vgpr 160
		.amdhsa_next_free_sgpr 23
		.amdhsa_named_barrier_count 0
		.amdhsa_reserve_vcc 1
		.amdhsa_float_round_mode_32 0
		.amdhsa_float_round_mode_16_64 0
		.amdhsa_float_denorm_mode_32 3
		.amdhsa_float_denorm_mode_16_64 3
		.amdhsa_fp16_overflow 0
		.amdhsa_memory_ordered 1
		.amdhsa_forward_progress 1
		.amdhsa_inst_pref_size 255
		.amdhsa_round_robin_scheduling 0
		.amdhsa_exception_fp_ieee_invalid_op 0
		.amdhsa_exception_fp_denorm_src 0
		.amdhsa_exception_fp_ieee_div_zero 0
		.amdhsa_exception_fp_ieee_overflow 0
		.amdhsa_exception_fp_ieee_underflow 0
		.amdhsa_exception_fp_ieee_inexact 0
		.amdhsa_exception_int_div_zero 0
	.end_amdhsa_kernel
	.section	.text._ZN9rocsolver6v33100L18trti2_kernel_smallILi63EfPfEEv13rocblas_fill_17rocblas_diagonal_T1_iil,"axG",@progbits,_ZN9rocsolver6v33100L18trti2_kernel_smallILi63EfPfEEv13rocblas_fill_17rocblas_diagonal_T1_iil,comdat
.Lfunc_end62:
	.size	_ZN9rocsolver6v33100L18trti2_kernel_smallILi63EfPfEEv13rocblas_fill_17rocblas_diagonal_T1_iil, .Lfunc_end62-_ZN9rocsolver6v33100L18trti2_kernel_smallILi63EfPfEEv13rocblas_fill_17rocblas_diagonal_T1_iil
                                        ; -- End function
	.set _ZN9rocsolver6v33100L18trti2_kernel_smallILi63EfPfEEv13rocblas_fill_17rocblas_diagonal_T1_iil.num_vgpr, 160
	.set _ZN9rocsolver6v33100L18trti2_kernel_smallILi63EfPfEEv13rocblas_fill_17rocblas_diagonal_T1_iil.num_agpr, 0
	.set _ZN9rocsolver6v33100L18trti2_kernel_smallILi63EfPfEEv13rocblas_fill_17rocblas_diagonal_T1_iil.numbered_sgpr, 23
	.set _ZN9rocsolver6v33100L18trti2_kernel_smallILi63EfPfEEv13rocblas_fill_17rocblas_diagonal_T1_iil.num_named_barrier, 0
	.set _ZN9rocsolver6v33100L18trti2_kernel_smallILi63EfPfEEv13rocblas_fill_17rocblas_diagonal_T1_iil.private_seg_size, 256
	.set _ZN9rocsolver6v33100L18trti2_kernel_smallILi63EfPfEEv13rocblas_fill_17rocblas_diagonal_T1_iil.uses_vcc, 1
	.set _ZN9rocsolver6v33100L18trti2_kernel_smallILi63EfPfEEv13rocblas_fill_17rocblas_diagonal_T1_iil.uses_flat_scratch, 1
	.set _ZN9rocsolver6v33100L18trti2_kernel_smallILi63EfPfEEv13rocblas_fill_17rocblas_diagonal_T1_iil.has_dyn_sized_stack, 0
	.set _ZN9rocsolver6v33100L18trti2_kernel_smallILi63EfPfEEv13rocblas_fill_17rocblas_diagonal_T1_iil.has_recursion, 0
	.set _ZN9rocsolver6v33100L18trti2_kernel_smallILi63EfPfEEv13rocblas_fill_17rocblas_diagonal_T1_iil.has_indirect_call, 0
	.section	.AMDGPU.csdata,"",@progbits
; Kernel info:
; codeLenInByte = 35132
; TotalNumSgprs: 25
; NumVgprs: 160
; ScratchSize: 256
; MemoryBound: 0
; FloatMode: 240
; IeeeMode: 1
; LDSByteSize: 508 bytes/workgroup (compile time only)
; SGPRBlocks: 0
; VGPRBlocks: 9
; NumSGPRsForWavesPerEU: 25
; NumVGPRsForWavesPerEU: 160
; NamedBarCnt: 0
; Occupancy: 6
; WaveLimiterHint : 0
; COMPUTE_PGM_RSRC2:SCRATCH_EN: 1
; COMPUTE_PGM_RSRC2:USER_SGPR: 2
; COMPUTE_PGM_RSRC2:TRAP_HANDLER: 0
; COMPUTE_PGM_RSRC2:TGID_X_EN: 1
; COMPUTE_PGM_RSRC2:TGID_Y_EN: 0
; COMPUTE_PGM_RSRC2:TGID_Z_EN: 0
; COMPUTE_PGM_RSRC2:TIDIG_COMP_CNT: 0
	.section	.text._ZN9rocsolver6v33100L18trti2_kernel_smallILi64EfPfEEv13rocblas_fill_17rocblas_diagonal_T1_iil,"axG",@progbits,_ZN9rocsolver6v33100L18trti2_kernel_smallILi64EfPfEEv13rocblas_fill_17rocblas_diagonal_T1_iil,comdat
	.globl	_ZN9rocsolver6v33100L18trti2_kernel_smallILi64EfPfEEv13rocblas_fill_17rocblas_diagonal_T1_iil ; -- Begin function _ZN9rocsolver6v33100L18trti2_kernel_smallILi64EfPfEEv13rocblas_fill_17rocblas_diagonal_T1_iil
	.p2align	8
	.type	_ZN9rocsolver6v33100L18trti2_kernel_smallILi64EfPfEEv13rocblas_fill_17rocblas_diagonal_T1_iil,@function
_ZN9rocsolver6v33100L18trti2_kernel_smallILi64EfPfEEv13rocblas_fill_17rocblas_diagonal_T1_iil: ; @_ZN9rocsolver6v33100L18trti2_kernel_smallILi64EfPfEEv13rocblas_fill_17rocblas_diagonal_T1_iil
; %bb.0:
	s_mov_b32 s2, exec_lo
	v_cmpx_gt_u32_e32 64, v0
	s_cbranch_execz .LBB63_1250
; %bb.1:
	s_load_b256 s[4:11], s[0:1], 0x0
	s_wait_xcnt 0x0
	s_bfe_u32 s0, ttmp6, 0x4000c
	s_and_b32 s1, ttmp6, 15
	s_add_co_i32 s0, s0, 1
	s_getreg_b32 s2, hwreg(HW_REG_IB_STS2, 6, 4)
	s_mul_i32 s0, ttmp9, s0
	v_mov_b32_e32 v7, 0
	s_add_co_i32 s0, s1, s0
	v_lshlrev_b32_e32 v6, 2, v0
	s_wait_kmcnt 0x0
	v_add3_u32 v8, s9, s9, v0
	s_ashr_i32 s1, s8, 31
	s_cmp_eq_u32 s2, 0
	s_cselect_b32 s2, ttmp9, s0
	s_delay_alu instid0(VALU_DEP_1)
	v_add_nc_u32_e32 v10, s9, v8
	s_ashr_i32 s3, s2, 31
	s_mov_b32 s0, s8
	s_mul_u64 s[2:3], s[10:11], s[2:3]
	s_lshl_b64 s[0:1], s[0:1], 2
	v_add_nc_u32_e32 v12, s9, v10
	s_lshl_b64 s[2:3], s[2:3], 2
	s_delay_alu instid0(SALU_CYCLE_1) | instskip(NEXT) | instid1(VALU_DEP_1)
	s_add_nc_u64 s[2:3], s[6:7], s[2:3]
	v_add_nc_u32_e32 v14, s9, v12
	s_add_nc_u64 s[6:7], s[2:3], s[0:1]
	s_mov_b32 s0, s9
	s_ashr_i32 s1, s9, 31
	s_cmp_lg_u32 s5, 0x84
	v_add_nc_u32_e32 v16, s9, v14
	s_cselect_b32 s3, -1, 0
	s_cmp_eq_u32 s5, 0x84
	v_add_nc_u64_e32 v[2:3], s[6:7], v[6:7]
	s_delay_alu instid0(VALU_DEP_2) | instskip(NEXT) | instid1(VALU_DEP_1)
	v_dual_ashrrev_i32 v11, 31, v10 :: v_dual_add_nc_u32 v18, s9, v16
	v_dual_ashrrev_i32 v13, 31, v12 :: v_dual_ashrrev_i32 v19, 31, v18
	v_add_nc_u32_e32 v20, s9, v18
	s_delay_alu instid0(VALU_DEP_4)
	v_lshl_add_u64 v[4:5], s[0:1], 2, v[2:3]
	s_clause 0x7
	global_load_b32 v106, v0, s[6:7] scale_offset
	global_load_b32 v108, v8, s[6:7] scale_offset
	;; [unrolled: 1-line block ×7, first 2 shown]
	global_load_b32 v107, v[4:5], off
	v_dual_ashrrev_i32 v9, 31, v8 :: v_dual_ashrrev_i32 v15, 31, v14
	v_add_nc_u32_e32 v22, s9, v20
	s_delay_alu instid0(VALU_DEP_1) | instskip(NEXT) | instid1(VALU_DEP_1)
	v_add_nc_u32_e32 v24, s9, v22
	v_add_nc_u32_e32 v26, s9, v24
	s_delay_alu instid0(VALU_DEP_1) | instskip(NEXT) | instid1(VALU_DEP_1)
	v_dual_add_nc_u32 v28, s9, v26 :: v_dual_ashrrev_i32 v17, 31, v16
	v_dual_ashrrev_i32 v23, 31, v22 :: v_dual_add_nc_u32 v30, s9, v28
	s_delay_alu instid0(VALU_DEP_1) | instskip(SKIP_1) | instid1(VALU_DEP_1)
	v_dual_ashrrev_i32 v25, 31, v24 :: v_dual_ashrrev_i32 v31, 31, v30
	v_dual_add_nc_u32 v32, s9, v30 :: v_dual_ashrrev_i32 v21, 31, v20
	v_dual_ashrrev_i32 v27, 31, v26 :: v_dual_add_nc_u32 v34, s9, v32
	s_delay_alu instid0(VALU_DEP_1) | instskip(NEXT) | instid1(VALU_DEP_1)
	v_add_nc_u32_e32 v36, s9, v34
	v_add_nc_u32_e32 v38, s9, v36
	s_delay_alu instid0(VALU_DEP_1)
	v_add_nc_u32_e32 v40, s9, v38
	s_clause 0x7
	global_load_b32 v114, v20, s[6:7] scale_offset
	global_load_b32 v115, v22, s[6:7] scale_offset
	;; [unrolled: 1-line block ×8, first 2 shown]
	v_dual_ashrrev_i32 v29, 31, v28 :: v_dual_ashrrev_i32 v35, 31, v34
	v_add_nc_u32_e32 v42, s9, v40
	s_delay_alu instid0(VALU_DEP_1) | instskip(SKIP_1) | instid1(VALU_DEP_1)
	v_dual_ashrrev_i32 v37, 31, v36 :: v_dual_ashrrev_i32 v43, 31, v42
	v_dual_add_nc_u32 v44, s9, v42 :: v_dual_ashrrev_i32 v33, 31, v32
	v_dual_ashrrev_i32 v39, 31, v38 :: v_dual_add_nc_u32 v46, s9, v44
	s_delay_alu instid0(VALU_DEP_1) | instskip(SKIP_1) | instid1(VALU_DEP_1)
	v_dual_ashrrev_i32 v41, 31, v40 :: v_dual_ashrrev_i32 v47, 31, v46
	v_add_nc_u32_e32 v48, s9, v46
	v_add_nc_u32_e32 v50, s9, v48
	s_delay_alu instid0(VALU_DEP_1) | instskip(NEXT) | instid1(VALU_DEP_1)
	v_add_nc_u32_e32 v52, s9, v50
	v_add_nc_u32_e32 v54, s9, v52
	s_delay_alu instid0(VALU_DEP_1)
	v_add_nc_u32_e32 v56, s9, v54
	s_clause 0x7
	global_load_b32 v122, v36, s[6:7] scale_offset
	global_load_b32 v123, v38, s[6:7] scale_offset
	;; [unrolled: 1-line block ×8, first 2 shown]
	v_dual_ashrrev_i32 v45, 31, v44 :: v_dual_ashrrev_i32 v51, 31, v50
	v_add_nc_u32_e32 v58, s9, v56
	s_delay_alu instid0(VALU_DEP_1) | instskip(SKIP_1) | instid1(VALU_DEP_1)
	v_dual_ashrrev_i32 v53, 31, v52 :: v_dual_ashrrev_i32 v59, 31, v58
	v_dual_add_nc_u32 v60, s9, v58 :: v_dual_ashrrev_i32 v49, 31, v48
	v_dual_ashrrev_i32 v55, 31, v54 :: v_dual_add_nc_u32 v62, s9, v60
	s_delay_alu instid0(VALU_DEP_1) | instskip(NEXT) | instid1(VALU_DEP_1)
	v_add_nc_u32_e32 v64, s9, v62
	v_add_nc_u32_e32 v66, s9, v64
	s_delay_alu instid0(VALU_DEP_1) | instskip(NEXT) | instid1(VALU_DEP_1)
	v_dual_add_nc_u32 v68, s9, v66 :: v_dual_ashrrev_i32 v57, 31, v56
	v_dual_ashrrev_i32 v63, 31, v62 :: v_dual_add_nc_u32 v70, s9, v68
	s_delay_alu instid0(VALU_DEP_1)
	v_dual_ashrrev_i32 v65, 31, v64 :: v_dual_ashrrev_i32 v71, 31, v70
	v_add_nc_u32_e32 v72, s9, v70
	s_clause 0x7
	global_load_b32 v130, v52, s[6:7] scale_offset
	global_load_b32 v131, v54, s[6:7] scale_offset
	;; [unrolled: 1-line block ×8, first 2 shown]
	v_dual_ashrrev_i32 v61, 31, v60 :: v_dual_ashrrev_i32 v67, 31, v66
	v_add_nc_u32_e32 v74, s9, v72
	s_delay_alu instid0(VALU_DEP_1) | instskip(NEXT) | instid1(VALU_DEP_1)
	v_add_nc_u32_e32 v76, s9, v74
	v_add_nc_u32_e32 v78, s9, v76
	s_delay_alu instid0(VALU_DEP_1) | instskip(NEXT) | instid1(VALU_DEP_1)
	v_dual_add_nc_u32 v80, s9, v78 :: v_dual_ashrrev_i32 v69, 31, v68
	v_dual_ashrrev_i32 v75, 31, v74 :: v_dual_add_nc_u32 v82, s9, v80
	s_delay_alu instid0(VALU_DEP_1) | instskip(SKIP_1) | instid1(VALU_DEP_1)
	v_dual_ashrrev_i32 v77, 31, v76 :: v_dual_ashrrev_i32 v83, 31, v82
	v_dual_add_nc_u32 v84, s9, v82 :: v_dual_ashrrev_i32 v73, 31, v72
	v_dual_ashrrev_i32 v79, 31, v78 :: v_dual_add_nc_u32 v86, s9, v84
	s_delay_alu instid0(VALU_DEP_1) | instskip(NEXT) | instid1(VALU_DEP_1)
	v_add_nc_u32_e32 v88, s9, v86
	v_add_nc_u32_e32 v90, s9, v88
	s_delay_alu instid0(VALU_DEP_1) | instskip(NEXT) | instid1(VALU_DEP_1)
	v_dual_add_nc_u32 v92, s9, v90 :: v_dual_ashrrev_i32 v81, 31, v80
	v_dual_ashrrev_i32 v87, 31, v86 :: v_dual_add_nc_u32 v94, s9, v92
	s_delay_alu instid0(VALU_DEP_1) | instskip(SKIP_1) | instid1(VALU_DEP_1)
	v_dual_ashrrev_i32 v89, 31, v88 :: v_dual_ashrrev_i32 v95, 31, v94
	v_dual_add_nc_u32 v96, s9, v94 :: v_dual_ashrrev_i32 v85, 31, v84
	v_dual_ashrrev_i32 v91, 31, v90 :: v_dual_add_nc_u32 v98, s9, v96
	s_delay_alu instid0(VALU_DEP_1) | instskip(NEXT) | instid1(VALU_DEP_1)
	v_add_nc_u32_e32 v100, s9, v98
	v_add_nc_u32_e32 v102, s9, v100
	s_delay_alu instid0(VALU_DEP_1)
	v_dual_add_nc_u32 v104, s9, v102 :: v_dual_ashrrev_i32 v93, 31, v92
	v_ashrrev_i32_e32 v99, 31, v98
	s_wait_loadcnt 0x18
	scratch_store_b128 off, v[106:109], off
	s_wait_xcnt 0x0
	v_add_nc_u32_e32 v106, s9, v104
	s_clause 0x3
	global_load_b32 v138, v68, s[6:7] scale_offset
	global_load_b32 v139, v70, s[6:7] scale_offset
	;; [unrolled: 1-line block ×4, first 2 shown]
	scratch_store_b128 off, v[110:113], off offset:16
	s_clause 0x3
	global_load_b32 v142, v76, s[6:7] scale_offset
	global_load_b32 v143, v78, s[6:7] scale_offset
	;; [unrolled: 1-line block ×4, first 2 shown]
	v_dual_ashrrev_i32 v101, 31, v100 :: v_dual_ashrrev_i32 v107, 31, v106
	v_dual_add_nc_u32 v108, s9, v106 :: v_dual_ashrrev_i32 v97, 31, v96
	s_wait_xcnt 0x4
	s_delay_alu instid0(VALU_DEP_1) | instskip(NEXT) | instid1(VALU_DEP_1)
	v_dual_ashrrev_i32 v103, 31, v102 :: v_dual_add_nc_u32 v110, s9, v108
	v_add_nc_u32_e32 v112, s9, v110
	s_wait_loadcnt 0x1c
	scratch_store_b128 off, v[114:117], off offset:32
	s_wait_xcnt 0x0
	v_add_nc_u32_e32 v114, s9, v112
	s_wait_loadcnt 0x18
	scratch_store_b128 off, v[118:121], off offset:48
	s_clause 0x3
	global_load_b32 v146, v84, s[6:7] scale_offset
	global_load_b32 v147, v86, s[6:7] scale_offset
	;; [unrolled: 1-line block ×4, first 2 shown]
	v_dual_add_nc_u32 v116, s9, v114 :: v_dual_ashrrev_i32 v105, 31, v104
	s_wait_xcnt 0x4
	s_delay_alu instid0(VALU_DEP_1) | instskip(NEXT) | instid1(VALU_DEP_1)
	v_dual_ashrrev_i32 v111, 31, v110 :: v_dual_add_nc_u32 v118, s9, v116
	v_dual_ashrrev_i32 v113, 31, v112 :: v_dual_ashrrev_i32 v119, 31, v118
	v_dual_add_nc_u32 v120, s9, v118 :: v_dual_ashrrev_i32 v109, 31, v108
	v_ashrrev_i32_e32 v115, 31, v114
	s_wait_loadcnt 0x18
	scratch_store_b128 off, v[122:125], off offset:64
	s_wait_xcnt 0x0
	v_add_nc_u32_e32 v122, s9, v120
	s_wait_loadcnt 0x14
	scratch_store_b128 off, v[126:129], off offset:80
	s_clause 0x3
	global_load_b32 v150, v92, s[6:7] scale_offset
	global_load_b32 v151, v94, s[6:7] scale_offset
	;; [unrolled: 1-line block ×4, first 2 shown]
	s_wait_loadcnt 0x14
	scratch_store_b128 off, v[130:133], off offset:96
	s_wait_loadcnt 0x10
	scratch_store_b128 off, v[134:137], off offset:112
	s_clause 0x7
	global_load_b32 v132, v100, s[6:7] scale_offset
	global_load_b32 v133, v102, s[6:7] scale_offset
	;; [unrolled: 1-line block ×8, first 2 shown]
	v_add_nc_u32_e32 v124, s9, v122
	s_delay_alu instid0(VALU_DEP_1) | instskip(NEXT) | instid1(VALU_DEP_1)
	v_add_nc_u32_e32 v126, s9, v124
	v_dual_ashrrev_i32 v121, 31, v120 :: v_dual_ashrrev_i32 v127, 31, v126
	v_dual_add_nc_u32 v128, s9, v126 :: v_dual_ashrrev_i32 v117, 31, v116
	s_delay_alu instid0(VALU_DEP_1) | instskip(SKIP_1) | instid1(VALU_DEP_2)
	v_dual_ashrrev_i32 v123, 31, v122 :: v_dual_add_nc_u32 v130, s9, v128
	v_ashrrev_i32_e32 v125, 31, v124
	v_dual_ashrrev_i32 v129, 31, v128 :: v_dual_ashrrev_i32 v131, 31, v130
	s_wait_loadcnt 0x14
	scratch_store_b128 off, v[138:141], off offset:128
	s_wait_loadcnt 0x10
	scratch_store_b128 off, v[142:145], off offset:144
	;; [unrolled: 2-line block ×6, first 2 shown]
	s_clause 0x7
	global_load_b32 v134, v116, s[6:7] scale_offset
	global_load_b32 v135, v118, s[6:7] scale_offset
	;; [unrolled: 1-line block ×8, first 2 shown]
	v_mov_b32_e32 v132, -1.0
	s_wait_loadcnt 0x4
	scratch_store_b128 off, v[134:137], off offset:224
	s_wait_loadcnt 0x0
	scratch_store_b128 off, v[138:141], off offset:240
	s_cbranch_scc1 .LBB63_3
; %bb.2:
	scratch_load_b32 v1, v0, off scale_offset
	s_wait_loadcnt 0x0
	v_div_scale_f32 v7, null, v1, v1, 1.0
	s_delay_alu instid0(VALU_DEP_1) | instskip(SKIP_1) | instid1(TRANS32_DEP_1)
	v_rcp_f32_e32 v132, v7
	v_nop
	v_fma_f32 v133, -v7, v132, 1.0
	s_delay_alu instid0(VALU_DEP_1) | instskip(SKIP_2) | instid1(VALU_DEP_1)
	v_fmac_f32_e32 v132, v133, v132
	v_div_scale_f32 v133, vcc_lo, 1.0, v1, 1.0
	s_wait_xcnt 0x2
	v_mul_f32_e32 v134, v133, v132
	s_delay_alu instid0(VALU_DEP_1) | instskip(NEXT) | instid1(VALU_DEP_1)
	v_fma_f32 v135, -v7, v134, v133
	v_fmac_f32_e32 v134, v135, v132
	s_delay_alu instid0(VALU_DEP_1) | instskip(NEXT) | instid1(VALU_DEP_1)
	v_fma_f32 v7, -v7, v134, v133
	v_div_fmas_f32 v7, v7, v132, v134
	s_delay_alu instid0(VALU_DEP_1) | instskip(NEXT) | instid1(VALU_DEP_1)
	v_div_fixup_f32 v1, v7, v1, 1.0
	v_xor_b32_e32 v132, 0x80000000, v1
	scratch_store_b32 v0, v1, off scale_offset
.LBB63_3:
	s_wait_xcnt 0x0
	v_or_b32_e32 v1, 0x100, v6
	v_mov_b32_e32 v7, v6
	s_cmp_eq_u32 s4, 0x79
	s_mov_b32 s1, -1
	ds_store_b32 v6, v132
	s_cbranch_scc1 .LBB63_627
; %bb.4:
	scratch_load_b32 v132, off, off offset:248
	v_cmp_eq_u32_e64 s0, 63, v0
	s_movk_i32 s1, 0x50
	s_movk_i32 s10, 0x60
	;; [unrolled: 1-line block ×11, first 2 shown]
	s_wait_loadcnt 0x0
	ds_store_b32 v1, v132
	s_wait_storecnt_dscnt 0x0
	s_barrier_signal -1
	s_barrier_wait -1
	s_wait_xcnt 0x0
	s_and_saveexec_b32 s2, s0
	s_cbranch_execz .LBB63_10
; %bb.5:
	s_and_b32 vcc_lo, exec_lo, s3
	s_cbranch_vccz .LBB63_7
; %bb.6:
	scratch_load_b32 v132, v7, off
	ds_load_b32 v133, v1
	s_wait_loadcnt_dscnt 0x0
	v_mul_f32_e32 v132, v132, v133
	s_cbranch_execz .LBB63_8
	s_branch .LBB63_9
.LBB63_7:
                                        ; implicit-def: $vgpr132
.LBB63_8:
	ds_load_b32 v132, v1
.LBB63_9:
	v_mov_b32_e32 v133, 0
	ds_load_b32 v133, v133 offset:248
	s_wait_dscnt 0x0
	v_mul_f32_e32 v132, v132, v133
	scratch_store_b32 off, v132, off offset:248
.LBB63_10:
	s_wait_xcnt 0x0
	s_or_b32 exec_lo, exec_lo, s2
	scratch_load_b32 v132, off, off offset:244
	s_mov_b32 s9, s1
	v_cmp_lt_u32_e64 s1, 61, v0
	s_mov_b32 s4, 16
	s_mov_b32 s2, 32
	;; [unrolled: 1-line block ×4, first 2 shown]
	s_wait_loadcnt 0x0
	ds_store_b32 v1, v132
	s_wait_storecnt_dscnt 0x0
	s_barrier_signal -1
	s_barrier_wait -1
	s_wait_xcnt 0x0
	s_and_saveexec_b32 s20, s1
	s_cbranch_execz .LBB63_16
; %bb.11:
	s_and_not1_b32 vcc_lo, exec_lo, s3
	s_cbranch_vccnz .LBB63_13
; %bb.12:
	scratch_load_b32 v132, v7, off
	ds_load_b32 v133, v1
	s_wait_loadcnt_dscnt 0x0
	v_mul_f32_e32 v132, v132, v133
	s_cbranch_execz .LBB63_14
	s_branch .LBB63_15
.LBB63_13:
                                        ; implicit-def: $vgpr132
.LBB63_14:
	ds_load_b32 v132, v1
.LBB63_15:
	scratch_load_b32 v133, off, off offset:248
	v_mov_b32_e32 v134, 0
	ds_load_2addr_b32 v[134:135], v134 offset0:61 offset1:126
	s_wait_loadcnt_dscnt 0x0
	v_fma_f32 v133, v133, v135, v132
	s_delay_alu instid0(VALU_DEP_1) | instskip(NEXT) | instid1(VALU_DEP_1)
	v_cndmask_b32_e64 v132, v132, v133, s0
	v_mul_f32_e32 v132, v132, v134
	scratch_store_b32 off, v132, off offset:244
.LBB63_16:
	s_wait_xcnt 0x0
	s_or_b32 exec_lo, exec_lo, s20
	scratch_load_b32 v132, off, off offset:240
	v_cmp_lt_u32_e64 s0, 60, v0
	s_wait_loadcnt 0x0
	ds_store_b32 v1, v132
	s_wait_storecnt_dscnt 0x0
	s_barrier_signal -1
	s_barrier_wait -1
	s_wait_xcnt 0x0
	s_and_saveexec_b32 s20, s0
	s_cbranch_execz .LBB63_26
; %bb.17:
	s_and_not1_b32 vcc_lo, exec_lo, s3
	s_cbranch_vccnz .LBB63_19
; %bb.18:
	scratch_load_b32 v132, v7, off
	ds_load_b32 v133, v1
	s_wait_loadcnt_dscnt 0x0
	v_mul_f32_e32 v132, v132, v133
	s_cbranch_execz .LBB63_20
	s_branch .LBB63_21
.LBB63_19:
                                        ; implicit-def: $vgpr132
.LBB63_20:
	ds_load_b32 v132, v1
.LBB63_21:
	s_and_saveexec_b32 s21, s1
	s_cbranch_execz .LBB63_25
; %bb.22:
	v_subrev_nc_u32_e32 v133, 61, v0
	s_movk_i32 s1, 0xf4
	s_movk_i32 s23, 0x1f4
	s_mov_b32 s22, 0
.LBB63_23:                              ; =>This Inner Loop Header: Depth=1
	scratch_load_b32 v134, off, s1
	v_dual_mov_b32 v135, s23 :: v_dual_add_nc_u32 v133, -1, v133
	s_add_co_i32 s23, s23, 4
	s_wait_xcnt 0x0
	s_add_co_i32 s1, s1, 4
	ds_load_b32 v135, v135
	v_cmp_eq_u32_e32 vcc_lo, 0, v133
	s_or_b32 s22, vcc_lo, s22
	s_wait_loadcnt_dscnt 0x0
	v_fmac_f32_e32 v132, v134, v135
	s_and_not1_b32 exec_lo, exec_lo, s22
	s_cbranch_execnz .LBB63_23
; %bb.24:
	s_or_b32 exec_lo, exec_lo, s22
.LBB63_25:
	s_delay_alu instid0(SALU_CYCLE_1)
	s_or_b32 exec_lo, exec_lo, s21
	v_mov_b32_e32 v133, 0
	ds_load_b32 v133, v133 offset:240
	s_wait_dscnt 0x0
	v_mul_f32_e32 v132, v132, v133
	scratch_store_b32 off, v132, off offset:240
.LBB63_26:
	s_wait_xcnt 0x0
	s_or_b32 exec_lo, exec_lo, s20
	scratch_load_b32 v132, off, off offset:236
	v_cmp_lt_u32_e64 s1, 59, v0
	s_wait_loadcnt 0x0
	ds_store_b32 v1, v132
	s_wait_storecnt_dscnt 0x0
	s_barrier_signal -1
	s_barrier_wait -1
	s_wait_xcnt 0x0
	s_and_saveexec_b32 s20, s1
	s_cbranch_execz .LBB63_36
; %bb.27:
	s_and_not1_b32 vcc_lo, exec_lo, s3
	s_cbranch_vccnz .LBB63_29
; %bb.28:
	scratch_load_b32 v132, v7, off
	ds_load_b32 v133, v1
	s_wait_loadcnt_dscnt 0x0
	v_mul_f32_e32 v132, v132, v133
	s_cbranch_execz .LBB63_30
	s_branch .LBB63_31
.LBB63_29:
                                        ; implicit-def: $vgpr132
.LBB63_30:
	ds_load_b32 v132, v1
.LBB63_31:
	s_and_saveexec_b32 s21, s0
	s_cbranch_execz .LBB63_35
; %bb.32:
	v_subrev_nc_u32_e32 v133, 60, v0
	s_movk_i32 s22, 0x1f0
	s_mov_b32 s0, 0
.LBB63_33:                              ; =>This Inner Loop Header: Depth=1
	scratch_load_b32 v134, off, s19
	v_dual_mov_b32 v135, s22 :: v_dual_add_nc_u32 v133, -1, v133
	s_add_co_i32 s22, s22, 4
	s_wait_xcnt 0x0
	s_add_co_i32 s19, s19, 4
	ds_load_b32 v135, v135
	v_cmp_eq_u32_e32 vcc_lo, 0, v133
	s_or_b32 s0, vcc_lo, s0
	s_wait_loadcnt_dscnt 0x0
	v_fmac_f32_e32 v132, v134, v135
	s_and_not1_b32 exec_lo, exec_lo, s0
	s_cbranch_execnz .LBB63_33
; %bb.34:
	s_or_b32 exec_lo, exec_lo, s0
.LBB63_35:
	s_delay_alu instid0(SALU_CYCLE_1)
	s_or_b32 exec_lo, exec_lo, s21
	v_mov_b32_e32 v133, 0
	ds_load_b32 v133, v133 offset:236
	s_wait_dscnt 0x0
	v_mul_f32_e32 v132, v132, v133
	scratch_store_b32 off, v132, off offset:236
.LBB63_36:
	s_wait_xcnt 0x0
	s_or_b32 exec_lo, exec_lo, s20
	scratch_load_b32 v132, off, off offset:232
	v_cmp_lt_u32_e64 s0, 58, v0
	s_wait_loadcnt 0x0
	ds_store_b32 v1, v132
	s_wait_storecnt_dscnt 0x0
	s_barrier_signal -1
	s_barrier_wait -1
	s_wait_xcnt 0x0
	s_and_saveexec_b32 s19, s0
	s_cbranch_execz .LBB63_46
; %bb.37:
	s_and_not1_b32 vcc_lo, exec_lo, s3
	s_cbranch_vccnz .LBB63_39
; %bb.38:
	scratch_load_b32 v132, v7, off
	ds_load_b32 v133, v1
	s_wait_loadcnt_dscnt 0x0
	v_mul_f32_e32 v132, v132, v133
	s_cbranch_execz .LBB63_40
	s_branch .LBB63_41
.LBB63_39:
                                        ; implicit-def: $vgpr132
.LBB63_40:
	ds_load_b32 v132, v1
.LBB63_41:
	s_and_saveexec_b32 s20, s1
	s_cbranch_execz .LBB63_45
; %bb.42:
	v_subrev_nc_u32_e32 v133, 59, v0
	s_movk_i32 s1, 0xec
	s_movk_i32 s22, 0x1ec
	s_mov_b32 s21, 0
.LBB63_43:                              ; =>This Inner Loop Header: Depth=1
	scratch_load_b32 v134, off, s1
	v_dual_mov_b32 v135, s22 :: v_dual_add_nc_u32 v133, -1, v133
	s_add_co_i32 s22, s22, 4
	s_wait_xcnt 0x0
	s_add_co_i32 s1, s1, 4
	ds_load_b32 v135, v135
	v_cmp_eq_u32_e32 vcc_lo, 0, v133
	s_or_b32 s21, vcc_lo, s21
	s_wait_loadcnt_dscnt 0x0
	v_fmac_f32_e32 v132, v134, v135
	s_and_not1_b32 exec_lo, exec_lo, s21
	s_cbranch_execnz .LBB63_43
; %bb.44:
	s_or_b32 exec_lo, exec_lo, s21
.LBB63_45:
	s_delay_alu instid0(SALU_CYCLE_1)
	s_or_b32 exec_lo, exec_lo, s20
	v_mov_b32_e32 v133, 0
	ds_load_b32 v133, v133 offset:232
	s_wait_dscnt 0x0
	v_mul_f32_e32 v132, v132, v133
	scratch_store_b32 off, v132, off offset:232
.LBB63_46:
	s_wait_xcnt 0x0
	s_or_b32 exec_lo, exec_lo, s19
	scratch_load_b32 v132, off, off offset:228
	v_cmp_lt_u32_e64 s1, 57, v0
	s_wait_loadcnt 0x0
	ds_store_b32 v1, v132
	s_wait_storecnt_dscnt 0x0
	s_barrier_signal -1
	s_barrier_wait -1
	s_wait_xcnt 0x0
	s_and_saveexec_b32 s19, s1
	s_cbranch_execz .LBB63_56
; %bb.47:
	s_and_not1_b32 vcc_lo, exec_lo, s3
	s_cbranch_vccnz .LBB63_49
; %bb.48:
	scratch_load_b32 v132, v7, off
	ds_load_b32 v133, v1
	s_wait_loadcnt_dscnt 0x0
	v_mul_f32_e32 v132, v132, v133
	s_cbranch_execz .LBB63_50
	s_branch .LBB63_51
.LBB63_49:
                                        ; implicit-def: $vgpr132
.LBB63_50:
	ds_load_b32 v132, v1
.LBB63_51:
	s_and_saveexec_b32 s20, s0
	s_cbranch_execz .LBB63_55
; %bb.52:
	v_subrev_nc_u32_e32 v133, 58, v0
	s_movk_i32 s0, 0xe8
	s_movk_i32 s22, 0x1e8
	s_mov_b32 s21, 0
.LBB63_53:                              ; =>This Inner Loop Header: Depth=1
	scratch_load_b32 v134, off, s0
	v_dual_mov_b32 v135, s22 :: v_dual_add_nc_u32 v133, -1, v133
	s_add_co_i32 s22, s22, 4
	s_wait_xcnt 0x0
	s_add_co_i32 s0, s0, 4
	ds_load_b32 v135, v135
	v_cmp_eq_u32_e32 vcc_lo, 0, v133
	s_or_b32 s21, vcc_lo, s21
	s_wait_loadcnt_dscnt 0x0
	v_fmac_f32_e32 v132, v134, v135
	s_and_not1_b32 exec_lo, exec_lo, s21
	s_cbranch_execnz .LBB63_53
; %bb.54:
	s_or_b32 exec_lo, exec_lo, s21
.LBB63_55:
	s_delay_alu instid0(SALU_CYCLE_1)
	s_or_b32 exec_lo, exec_lo, s20
	v_mov_b32_e32 v133, 0
	ds_load_b32 v133, v133 offset:228
	s_wait_dscnt 0x0
	v_mul_f32_e32 v132, v132, v133
	scratch_store_b32 off, v132, off offset:228
.LBB63_56:
	;; [unrolled: 58-line block ×3, first 2 shown]
	s_wait_xcnt 0x0
	s_or_b32 exec_lo, exec_lo, s19
	scratch_load_b32 v132, off, off offset:220
	v_cmp_lt_u32_e64 s1, 55, v0
	s_wait_loadcnt 0x0
	ds_store_b32 v1, v132
	s_wait_storecnt_dscnt 0x0
	s_barrier_signal -1
	s_barrier_wait -1
	s_wait_xcnt 0x0
	s_and_saveexec_b32 s19, s1
	s_cbranch_execz .LBB63_76
; %bb.67:
	s_and_not1_b32 vcc_lo, exec_lo, s3
	s_cbranch_vccnz .LBB63_69
; %bb.68:
	scratch_load_b32 v132, v7, off
	ds_load_b32 v133, v1
	s_wait_loadcnt_dscnt 0x0
	v_mul_f32_e32 v132, v132, v133
	s_cbranch_execz .LBB63_70
	s_branch .LBB63_71
.LBB63_69:
                                        ; implicit-def: $vgpr132
.LBB63_70:
	ds_load_b32 v132, v1
.LBB63_71:
	s_and_saveexec_b32 s20, s0
	s_cbranch_execz .LBB63_75
; %bb.72:
	v_subrev_nc_u32_e32 v133, 56, v0
	s_movk_i32 s21, 0x1e0
	s_mov_b32 s0, 0
.LBB63_73:                              ; =>This Inner Loop Header: Depth=1
	scratch_load_b32 v134, off, s18
	v_dual_mov_b32 v135, s21 :: v_dual_add_nc_u32 v133, -1, v133
	s_add_co_i32 s21, s21, 4
	s_wait_xcnt 0x0
	s_add_co_i32 s18, s18, 4
	ds_load_b32 v135, v135
	v_cmp_eq_u32_e32 vcc_lo, 0, v133
	s_or_b32 s0, vcc_lo, s0
	s_wait_loadcnt_dscnt 0x0
	v_fmac_f32_e32 v132, v134, v135
	s_and_not1_b32 exec_lo, exec_lo, s0
	s_cbranch_execnz .LBB63_73
; %bb.74:
	s_or_b32 exec_lo, exec_lo, s0
.LBB63_75:
	s_delay_alu instid0(SALU_CYCLE_1)
	s_or_b32 exec_lo, exec_lo, s20
	v_mov_b32_e32 v133, 0
	ds_load_b32 v133, v133 offset:220
	s_wait_dscnt 0x0
	v_mul_f32_e32 v132, v132, v133
	scratch_store_b32 off, v132, off offset:220
.LBB63_76:
	s_wait_xcnt 0x0
	s_or_b32 exec_lo, exec_lo, s19
	scratch_load_b32 v132, off, off offset:216
	v_cmp_lt_u32_e64 s0, 54, v0
	s_wait_loadcnt 0x0
	ds_store_b32 v1, v132
	s_wait_storecnt_dscnt 0x0
	s_barrier_signal -1
	s_barrier_wait -1
	s_wait_xcnt 0x0
	s_and_saveexec_b32 s18, s0
	s_cbranch_execz .LBB63_86
; %bb.77:
	s_and_not1_b32 vcc_lo, exec_lo, s3
	s_cbranch_vccnz .LBB63_79
; %bb.78:
	scratch_load_b32 v132, v7, off
	ds_load_b32 v133, v1
	s_wait_loadcnt_dscnt 0x0
	v_mul_f32_e32 v132, v132, v133
	s_cbranch_execz .LBB63_80
	s_branch .LBB63_81
.LBB63_79:
                                        ; implicit-def: $vgpr132
.LBB63_80:
	ds_load_b32 v132, v1
.LBB63_81:
	s_and_saveexec_b32 s19, s1
	s_cbranch_execz .LBB63_85
; %bb.82:
	v_subrev_nc_u32_e32 v133, 55, v0
	s_movk_i32 s1, 0xdc
	s_movk_i32 s21, 0x1dc
	s_mov_b32 s20, 0
.LBB63_83:                              ; =>This Inner Loop Header: Depth=1
	scratch_load_b32 v134, off, s1
	v_dual_mov_b32 v135, s21 :: v_dual_add_nc_u32 v133, -1, v133
	s_add_co_i32 s21, s21, 4
	s_wait_xcnt 0x0
	s_add_co_i32 s1, s1, 4
	ds_load_b32 v135, v135
	v_cmp_eq_u32_e32 vcc_lo, 0, v133
	s_or_b32 s20, vcc_lo, s20
	s_wait_loadcnt_dscnt 0x0
	v_fmac_f32_e32 v132, v134, v135
	s_and_not1_b32 exec_lo, exec_lo, s20
	s_cbranch_execnz .LBB63_83
; %bb.84:
	s_or_b32 exec_lo, exec_lo, s20
.LBB63_85:
	s_delay_alu instid0(SALU_CYCLE_1)
	s_or_b32 exec_lo, exec_lo, s19
	v_mov_b32_e32 v133, 0
	ds_load_b32 v133, v133 offset:216
	s_wait_dscnt 0x0
	v_mul_f32_e32 v132, v132, v133
	scratch_store_b32 off, v132, off offset:216
.LBB63_86:
	s_wait_xcnt 0x0
	s_or_b32 exec_lo, exec_lo, s18
	scratch_load_b32 v132, off, off offset:212
	v_cmp_lt_u32_e64 s1, 53, v0
	s_wait_loadcnt 0x0
	ds_store_b32 v1, v132
	s_wait_storecnt_dscnt 0x0
	s_barrier_signal -1
	s_barrier_wait -1
	s_wait_xcnt 0x0
	s_and_saveexec_b32 s18, s1
	s_cbranch_execz .LBB63_96
; %bb.87:
	s_and_not1_b32 vcc_lo, exec_lo, s3
	s_cbranch_vccnz .LBB63_89
; %bb.88:
	scratch_load_b32 v132, v7, off
	ds_load_b32 v133, v1
	s_wait_loadcnt_dscnt 0x0
	v_mul_f32_e32 v132, v132, v133
	s_cbranch_execz .LBB63_90
	s_branch .LBB63_91
.LBB63_89:
                                        ; implicit-def: $vgpr132
.LBB63_90:
	ds_load_b32 v132, v1
.LBB63_91:
	s_and_saveexec_b32 s19, s0
	s_cbranch_execz .LBB63_95
; %bb.92:
	v_subrev_nc_u32_e32 v133, 54, v0
	s_movk_i32 s0, 0xd8
	s_movk_i32 s21, 0x1d8
	s_mov_b32 s20, 0
.LBB63_93:                              ; =>This Inner Loop Header: Depth=1
	scratch_load_b32 v134, off, s0
	v_dual_mov_b32 v135, s21 :: v_dual_add_nc_u32 v133, -1, v133
	s_add_co_i32 s21, s21, 4
	s_wait_xcnt 0x0
	s_add_co_i32 s0, s0, 4
	ds_load_b32 v135, v135
	v_cmp_eq_u32_e32 vcc_lo, 0, v133
	s_or_b32 s20, vcc_lo, s20
	s_wait_loadcnt_dscnt 0x0
	v_fmac_f32_e32 v132, v134, v135
	s_and_not1_b32 exec_lo, exec_lo, s20
	s_cbranch_execnz .LBB63_93
; %bb.94:
	s_or_b32 exec_lo, exec_lo, s20
.LBB63_95:
	s_delay_alu instid0(SALU_CYCLE_1)
	s_or_b32 exec_lo, exec_lo, s19
	v_mov_b32_e32 v133, 0
	ds_load_b32 v133, v133 offset:212
	s_wait_dscnt 0x0
	v_mul_f32_e32 v132, v132, v133
	scratch_store_b32 off, v132, off offset:212
.LBB63_96:
	s_wait_xcnt 0x0
	s_or_b32 exec_lo, exec_lo, s18
	scratch_load_b32 v132, off, off offset:208
	v_cmp_lt_u32_e64 s0, 52, v0
	s_wait_loadcnt 0x0
	ds_store_b32 v1, v132
	s_wait_storecnt_dscnt 0x0
	s_barrier_signal -1
	s_barrier_wait -1
	s_wait_xcnt 0x0
	s_and_saveexec_b32 s18, s0
	s_cbranch_execz .LBB63_106
; %bb.97:
	s_and_not1_b32 vcc_lo, exec_lo, s3
	s_cbranch_vccnz .LBB63_99
; %bb.98:
	scratch_load_b32 v132, v7, off
	ds_load_b32 v133, v1
	s_wait_loadcnt_dscnt 0x0
	v_mul_f32_e32 v132, v132, v133
	s_cbranch_execz .LBB63_100
	s_branch .LBB63_101
.LBB63_99:
                                        ; implicit-def: $vgpr132
.LBB63_100:
	ds_load_b32 v132, v1
.LBB63_101:
	s_and_saveexec_b32 s19, s1
	s_cbranch_execz .LBB63_105
; %bb.102:
	v_subrev_nc_u32_e32 v133, 53, v0
	s_movk_i32 s1, 0xd4
	s_movk_i32 s21, 0x1d4
	s_mov_b32 s20, 0
.LBB63_103:                             ; =>This Inner Loop Header: Depth=1
	scratch_load_b32 v134, off, s1
	v_dual_mov_b32 v135, s21 :: v_dual_add_nc_u32 v133, -1, v133
	s_add_co_i32 s21, s21, 4
	s_wait_xcnt 0x0
	s_add_co_i32 s1, s1, 4
	ds_load_b32 v135, v135
	v_cmp_eq_u32_e32 vcc_lo, 0, v133
	s_or_b32 s20, vcc_lo, s20
	s_wait_loadcnt_dscnt 0x0
	v_fmac_f32_e32 v132, v134, v135
	s_and_not1_b32 exec_lo, exec_lo, s20
	s_cbranch_execnz .LBB63_103
; %bb.104:
	s_or_b32 exec_lo, exec_lo, s20
.LBB63_105:
	s_delay_alu instid0(SALU_CYCLE_1)
	s_or_b32 exec_lo, exec_lo, s19
	v_mov_b32_e32 v133, 0
	ds_load_b32 v133, v133 offset:208
	s_wait_dscnt 0x0
	v_mul_f32_e32 v132, v132, v133
	scratch_store_b32 off, v132, off offset:208
.LBB63_106:
	s_wait_xcnt 0x0
	s_or_b32 exec_lo, exec_lo, s18
	scratch_load_b32 v132, off, off offset:204
	v_cmp_lt_u32_e64 s1, 51, v0
	s_wait_loadcnt 0x0
	ds_store_b32 v1, v132
	s_wait_storecnt_dscnt 0x0
	s_barrier_signal -1
	s_barrier_wait -1
	s_wait_xcnt 0x0
	s_and_saveexec_b32 s18, s1
	s_cbranch_execz .LBB63_116
; %bb.107:
	s_and_not1_b32 vcc_lo, exec_lo, s3
	s_cbranch_vccnz .LBB63_109
; %bb.108:
	scratch_load_b32 v132, v7, off
	ds_load_b32 v133, v1
	s_wait_loadcnt_dscnt 0x0
	v_mul_f32_e32 v132, v132, v133
	s_cbranch_execz .LBB63_110
	s_branch .LBB63_111
.LBB63_109:
                                        ; implicit-def: $vgpr132
.LBB63_110:
	ds_load_b32 v132, v1
.LBB63_111:
	s_and_saveexec_b32 s19, s0
	s_cbranch_execz .LBB63_115
; %bb.112:
	v_subrev_nc_u32_e32 v133, 52, v0
	s_movk_i32 s20, 0x1d0
	s_mov_b32 s0, 0
.LBB63_113:                             ; =>This Inner Loop Header: Depth=1
	scratch_load_b32 v134, off, s17
	v_dual_mov_b32 v135, s20 :: v_dual_add_nc_u32 v133, -1, v133
	s_add_co_i32 s20, s20, 4
	s_wait_xcnt 0x0
	s_add_co_i32 s17, s17, 4
	ds_load_b32 v135, v135
	v_cmp_eq_u32_e32 vcc_lo, 0, v133
	s_or_b32 s0, vcc_lo, s0
	s_wait_loadcnt_dscnt 0x0
	v_fmac_f32_e32 v132, v134, v135
	s_and_not1_b32 exec_lo, exec_lo, s0
	s_cbranch_execnz .LBB63_113
; %bb.114:
	s_or_b32 exec_lo, exec_lo, s0
.LBB63_115:
	s_delay_alu instid0(SALU_CYCLE_1)
	s_or_b32 exec_lo, exec_lo, s19
	v_mov_b32_e32 v133, 0
	ds_load_b32 v133, v133 offset:204
	s_wait_dscnt 0x0
	v_mul_f32_e32 v132, v132, v133
	scratch_store_b32 off, v132, off offset:204
.LBB63_116:
	s_wait_xcnt 0x0
	s_or_b32 exec_lo, exec_lo, s18
	scratch_load_b32 v132, off, off offset:200
	v_cmp_lt_u32_e64 s0, 50, v0
	s_wait_loadcnt 0x0
	ds_store_b32 v1, v132
	s_wait_storecnt_dscnt 0x0
	s_barrier_signal -1
	s_barrier_wait -1
	s_wait_xcnt 0x0
	s_and_saveexec_b32 s17, s0
	s_cbranch_execz .LBB63_126
; %bb.117:
	s_and_not1_b32 vcc_lo, exec_lo, s3
	s_cbranch_vccnz .LBB63_119
; %bb.118:
	scratch_load_b32 v132, v7, off
	ds_load_b32 v133, v1
	s_wait_loadcnt_dscnt 0x0
	v_mul_f32_e32 v132, v132, v133
	s_cbranch_execz .LBB63_120
	s_branch .LBB63_121
.LBB63_119:
                                        ; implicit-def: $vgpr132
.LBB63_120:
	ds_load_b32 v132, v1
.LBB63_121:
	s_and_saveexec_b32 s18, s1
	s_cbranch_execz .LBB63_125
; %bb.122:
	v_subrev_nc_u32_e32 v133, 51, v0
	s_movk_i32 s1, 0xcc
	s_movk_i32 s20, 0x1cc
	s_mov_b32 s19, 0
.LBB63_123:                             ; =>This Inner Loop Header: Depth=1
	scratch_load_b32 v134, off, s1
	v_dual_mov_b32 v135, s20 :: v_dual_add_nc_u32 v133, -1, v133
	s_add_co_i32 s20, s20, 4
	s_wait_xcnt 0x0
	s_add_co_i32 s1, s1, 4
	ds_load_b32 v135, v135
	v_cmp_eq_u32_e32 vcc_lo, 0, v133
	s_or_b32 s19, vcc_lo, s19
	s_wait_loadcnt_dscnt 0x0
	v_fmac_f32_e32 v132, v134, v135
	s_and_not1_b32 exec_lo, exec_lo, s19
	s_cbranch_execnz .LBB63_123
; %bb.124:
	s_or_b32 exec_lo, exec_lo, s19
.LBB63_125:
	s_delay_alu instid0(SALU_CYCLE_1)
	s_or_b32 exec_lo, exec_lo, s18
	v_mov_b32_e32 v133, 0
	ds_load_b32 v133, v133 offset:200
	s_wait_dscnt 0x0
	v_mul_f32_e32 v132, v132, v133
	scratch_store_b32 off, v132, off offset:200
.LBB63_126:
	s_wait_xcnt 0x0
	s_or_b32 exec_lo, exec_lo, s17
	scratch_load_b32 v132, off, off offset:196
	v_cmp_lt_u32_e64 s1, 49, v0
	s_wait_loadcnt 0x0
	ds_store_b32 v1, v132
	s_wait_storecnt_dscnt 0x0
	s_barrier_signal -1
	s_barrier_wait -1
	s_wait_xcnt 0x0
	s_and_saveexec_b32 s17, s1
	s_cbranch_execz .LBB63_136
; %bb.127:
	s_and_not1_b32 vcc_lo, exec_lo, s3
	s_cbranch_vccnz .LBB63_129
; %bb.128:
	scratch_load_b32 v132, v7, off
	ds_load_b32 v133, v1
	s_wait_loadcnt_dscnt 0x0
	v_mul_f32_e32 v132, v132, v133
	s_cbranch_execz .LBB63_130
	s_branch .LBB63_131
.LBB63_129:
                                        ; implicit-def: $vgpr132
.LBB63_130:
	ds_load_b32 v132, v1
.LBB63_131:
	s_and_saveexec_b32 s18, s0
	s_cbranch_execz .LBB63_135
; %bb.132:
	v_subrev_nc_u32_e32 v133, 50, v0
	s_movk_i32 s0, 0xc8
	s_movk_i32 s20, 0x1c8
	s_mov_b32 s19, 0
.LBB63_133:                             ; =>This Inner Loop Header: Depth=1
	scratch_load_b32 v134, off, s0
	v_dual_mov_b32 v135, s20 :: v_dual_add_nc_u32 v133, -1, v133
	s_add_co_i32 s20, s20, 4
	s_wait_xcnt 0x0
	s_add_co_i32 s0, s0, 4
	ds_load_b32 v135, v135
	v_cmp_eq_u32_e32 vcc_lo, 0, v133
	s_or_b32 s19, vcc_lo, s19
	s_wait_loadcnt_dscnt 0x0
	v_fmac_f32_e32 v132, v134, v135
	s_and_not1_b32 exec_lo, exec_lo, s19
	s_cbranch_execnz .LBB63_133
; %bb.134:
	s_or_b32 exec_lo, exec_lo, s19
.LBB63_135:
	s_delay_alu instid0(SALU_CYCLE_1)
	s_or_b32 exec_lo, exec_lo, s18
	v_mov_b32_e32 v133, 0
	ds_load_b32 v133, v133 offset:196
	s_wait_dscnt 0x0
	v_mul_f32_e32 v132, v132, v133
	scratch_store_b32 off, v132, off offset:196
.LBB63_136:
	;; [unrolled: 58-line block ×3, first 2 shown]
	s_wait_xcnt 0x0
	s_or_b32 exec_lo, exec_lo, s17
	scratch_load_b32 v132, off, off offset:188
	v_cmp_lt_u32_e64 s1, 47, v0
	s_wait_loadcnt 0x0
	ds_store_b32 v1, v132
	s_wait_storecnt_dscnt 0x0
	s_barrier_signal -1
	s_barrier_wait -1
	s_wait_xcnt 0x0
	s_and_saveexec_b32 s17, s1
	s_cbranch_execz .LBB63_156
; %bb.147:
	s_and_not1_b32 vcc_lo, exec_lo, s3
	s_cbranch_vccnz .LBB63_149
; %bb.148:
	scratch_load_b32 v132, v7, off
	ds_load_b32 v133, v1
	s_wait_loadcnt_dscnt 0x0
	v_mul_f32_e32 v132, v132, v133
	s_cbranch_execz .LBB63_150
	s_branch .LBB63_151
.LBB63_149:
                                        ; implicit-def: $vgpr132
.LBB63_150:
	ds_load_b32 v132, v1
.LBB63_151:
	s_and_saveexec_b32 s18, s0
	s_cbranch_execz .LBB63_155
; %bb.152:
	v_subrev_nc_u32_e32 v133, 48, v0
	s_movk_i32 s19, 0x1c0
	s_mov_b32 s0, 0
.LBB63_153:                             ; =>This Inner Loop Header: Depth=1
	scratch_load_b32 v134, off, s16
	v_dual_mov_b32 v135, s19 :: v_dual_add_nc_u32 v133, -1, v133
	s_add_co_i32 s19, s19, 4
	s_wait_xcnt 0x0
	s_add_co_i32 s16, s16, 4
	ds_load_b32 v135, v135
	v_cmp_eq_u32_e32 vcc_lo, 0, v133
	s_or_b32 s0, vcc_lo, s0
	s_wait_loadcnt_dscnt 0x0
	v_fmac_f32_e32 v132, v134, v135
	s_and_not1_b32 exec_lo, exec_lo, s0
	s_cbranch_execnz .LBB63_153
; %bb.154:
	s_or_b32 exec_lo, exec_lo, s0
.LBB63_155:
	s_delay_alu instid0(SALU_CYCLE_1)
	s_or_b32 exec_lo, exec_lo, s18
	v_mov_b32_e32 v133, 0
	ds_load_b32 v133, v133 offset:188
	s_wait_dscnt 0x0
	v_mul_f32_e32 v132, v132, v133
	scratch_store_b32 off, v132, off offset:188
.LBB63_156:
	s_wait_xcnt 0x0
	s_or_b32 exec_lo, exec_lo, s17
	scratch_load_b32 v132, off, off offset:184
	v_cmp_lt_u32_e64 s0, 46, v0
	s_wait_loadcnt 0x0
	ds_store_b32 v1, v132
	s_wait_storecnt_dscnt 0x0
	s_barrier_signal -1
	s_barrier_wait -1
	s_wait_xcnt 0x0
	s_and_saveexec_b32 s16, s0
	s_cbranch_execz .LBB63_166
; %bb.157:
	s_and_not1_b32 vcc_lo, exec_lo, s3
	s_cbranch_vccnz .LBB63_159
; %bb.158:
	scratch_load_b32 v132, v7, off
	ds_load_b32 v133, v1
	s_wait_loadcnt_dscnt 0x0
	v_mul_f32_e32 v132, v132, v133
	s_cbranch_execz .LBB63_160
	s_branch .LBB63_161
.LBB63_159:
                                        ; implicit-def: $vgpr132
.LBB63_160:
	ds_load_b32 v132, v1
.LBB63_161:
	s_and_saveexec_b32 s17, s1
	s_cbranch_execz .LBB63_165
; %bb.162:
	v_subrev_nc_u32_e32 v133, 47, v0
	s_movk_i32 s1, 0xbc
	s_movk_i32 s19, 0x1bc
	s_mov_b32 s18, 0
.LBB63_163:                             ; =>This Inner Loop Header: Depth=1
	scratch_load_b32 v134, off, s1
	v_dual_mov_b32 v135, s19 :: v_dual_add_nc_u32 v133, -1, v133
	s_add_co_i32 s19, s19, 4
	s_wait_xcnt 0x0
	s_add_co_i32 s1, s1, 4
	ds_load_b32 v135, v135
	v_cmp_eq_u32_e32 vcc_lo, 0, v133
	s_or_b32 s18, vcc_lo, s18
	s_wait_loadcnt_dscnt 0x0
	v_fmac_f32_e32 v132, v134, v135
	s_and_not1_b32 exec_lo, exec_lo, s18
	s_cbranch_execnz .LBB63_163
; %bb.164:
	s_or_b32 exec_lo, exec_lo, s18
.LBB63_165:
	s_delay_alu instid0(SALU_CYCLE_1)
	s_or_b32 exec_lo, exec_lo, s17
	v_mov_b32_e32 v133, 0
	ds_load_b32 v133, v133 offset:184
	s_wait_dscnt 0x0
	v_mul_f32_e32 v132, v132, v133
	scratch_store_b32 off, v132, off offset:184
.LBB63_166:
	s_wait_xcnt 0x0
	s_or_b32 exec_lo, exec_lo, s16
	scratch_load_b32 v132, off, off offset:180
	v_cmp_lt_u32_e64 s1, 45, v0
	s_wait_loadcnt 0x0
	ds_store_b32 v1, v132
	s_wait_storecnt_dscnt 0x0
	s_barrier_signal -1
	s_barrier_wait -1
	s_wait_xcnt 0x0
	s_and_saveexec_b32 s16, s1
	s_cbranch_execz .LBB63_176
; %bb.167:
	s_and_not1_b32 vcc_lo, exec_lo, s3
	s_cbranch_vccnz .LBB63_169
; %bb.168:
	scratch_load_b32 v132, v7, off
	ds_load_b32 v133, v1
	s_wait_loadcnt_dscnt 0x0
	v_mul_f32_e32 v132, v132, v133
	s_cbranch_execz .LBB63_170
	s_branch .LBB63_171
.LBB63_169:
                                        ; implicit-def: $vgpr132
.LBB63_170:
	ds_load_b32 v132, v1
.LBB63_171:
	s_and_saveexec_b32 s17, s0
	s_cbranch_execz .LBB63_175
; %bb.172:
	v_subrev_nc_u32_e32 v133, 46, v0
	s_movk_i32 s0, 0xb8
	s_movk_i32 s19, 0x1b8
	s_mov_b32 s18, 0
.LBB63_173:                             ; =>This Inner Loop Header: Depth=1
	scratch_load_b32 v134, off, s0
	v_dual_mov_b32 v135, s19 :: v_dual_add_nc_u32 v133, -1, v133
	s_add_co_i32 s19, s19, 4
	s_wait_xcnt 0x0
	s_add_co_i32 s0, s0, 4
	ds_load_b32 v135, v135
	v_cmp_eq_u32_e32 vcc_lo, 0, v133
	s_or_b32 s18, vcc_lo, s18
	s_wait_loadcnt_dscnt 0x0
	v_fmac_f32_e32 v132, v134, v135
	s_and_not1_b32 exec_lo, exec_lo, s18
	s_cbranch_execnz .LBB63_173
; %bb.174:
	s_or_b32 exec_lo, exec_lo, s18
.LBB63_175:
	s_delay_alu instid0(SALU_CYCLE_1)
	s_or_b32 exec_lo, exec_lo, s17
	v_mov_b32_e32 v133, 0
	ds_load_b32 v133, v133 offset:180
	s_wait_dscnt 0x0
	v_mul_f32_e32 v132, v132, v133
	scratch_store_b32 off, v132, off offset:180
.LBB63_176:
	;; [unrolled: 58-line block ×3, first 2 shown]
	s_wait_xcnt 0x0
	s_or_b32 exec_lo, exec_lo, s16
	scratch_load_b32 v132, off, off offset:172
	v_cmp_lt_u32_e64 s1, 43, v0
	s_wait_loadcnt 0x0
	ds_store_b32 v1, v132
	s_wait_storecnt_dscnt 0x0
	s_barrier_signal -1
	s_barrier_wait -1
	s_wait_xcnt 0x0
	s_and_saveexec_b32 s16, s1
	s_cbranch_execz .LBB63_196
; %bb.187:
	s_and_not1_b32 vcc_lo, exec_lo, s3
	s_cbranch_vccnz .LBB63_189
; %bb.188:
	scratch_load_b32 v132, v7, off
	ds_load_b32 v133, v1
	s_wait_loadcnt_dscnt 0x0
	v_mul_f32_e32 v132, v132, v133
	s_cbranch_execz .LBB63_190
	s_branch .LBB63_191
.LBB63_189:
                                        ; implicit-def: $vgpr132
.LBB63_190:
	ds_load_b32 v132, v1
.LBB63_191:
	s_and_saveexec_b32 s17, s0
	s_cbranch_execz .LBB63_195
; %bb.192:
	v_subrev_nc_u32_e32 v133, 44, v0
	s_movk_i32 s18, 0x1b0
	s_mov_b32 s0, 0
.LBB63_193:                             ; =>This Inner Loop Header: Depth=1
	scratch_load_b32 v134, off, s15
	v_dual_mov_b32 v135, s18 :: v_dual_add_nc_u32 v133, -1, v133
	s_add_co_i32 s18, s18, 4
	s_wait_xcnt 0x0
	s_add_co_i32 s15, s15, 4
	ds_load_b32 v135, v135
	v_cmp_eq_u32_e32 vcc_lo, 0, v133
	s_or_b32 s0, vcc_lo, s0
	s_wait_loadcnt_dscnt 0x0
	v_fmac_f32_e32 v132, v134, v135
	s_and_not1_b32 exec_lo, exec_lo, s0
	s_cbranch_execnz .LBB63_193
; %bb.194:
	s_or_b32 exec_lo, exec_lo, s0
.LBB63_195:
	s_delay_alu instid0(SALU_CYCLE_1)
	s_or_b32 exec_lo, exec_lo, s17
	v_mov_b32_e32 v133, 0
	ds_load_b32 v133, v133 offset:172
	s_wait_dscnt 0x0
	v_mul_f32_e32 v132, v132, v133
	scratch_store_b32 off, v132, off offset:172
.LBB63_196:
	s_wait_xcnt 0x0
	s_or_b32 exec_lo, exec_lo, s16
	scratch_load_b32 v132, off, off offset:168
	v_cmp_lt_u32_e64 s0, 42, v0
	s_wait_loadcnt 0x0
	ds_store_b32 v1, v132
	s_wait_storecnt_dscnt 0x0
	s_barrier_signal -1
	s_barrier_wait -1
	s_wait_xcnt 0x0
	s_and_saveexec_b32 s15, s0
	s_cbranch_execz .LBB63_206
; %bb.197:
	s_and_not1_b32 vcc_lo, exec_lo, s3
	s_cbranch_vccnz .LBB63_199
; %bb.198:
	scratch_load_b32 v132, v7, off
	ds_load_b32 v133, v1
	s_wait_loadcnt_dscnt 0x0
	v_mul_f32_e32 v132, v132, v133
	s_cbranch_execz .LBB63_200
	s_branch .LBB63_201
.LBB63_199:
                                        ; implicit-def: $vgpr132
.LBB63_200:
	ds_load_b32 v132, v1
.LBB63_201:
	s_and_saveexec_b32 s16, s1
	s_cbranch_execz .LBB63_205
; %bb.202:
	v_subrev_nc_u32_e32 v133, 43, v0
	s_movk_i32 s1, 0xac
	s_movk_i32 s18, 0x1ac
	s_mov_b32 s17, 0
.LBB63_203:                             ; =>This Inner Loop Header: Depth=1
	scratch_load_b32 v134, off, s1
	v_dual_mov_b32 v135, s18 :: v_dual_add_nc_u32 v133, -1, v133
	s_add_co_i32 s18, s18, 4
	s_wait_xcnt 0x0
	s_add_co_i32 s1, s1, 4
	ds_load_b32 v135, v135
	v_cmp_eq_u32_e32 vcc_lo, 0, v133
	s_or_b32 s17, vcc_lo, s17
	s_wait_loadcnt_dscnt 0x0
	v_fmac_f32_e32 v132, v134, v135
	s_and_not1_b32 exec_lo, exec_lo, s17
	s_cbranch_execnz .LBB63_203
; %bb.204:
	s_or_b32 exec_lo, exec_lo, s17
.LBB63_205:
	s_delay_alu instid0(SALU_CYCLE_1)
	s_or_b32 exec_lo, exec_lo, s16
	v_mov_b32_e32 v133, 0
	ds_load_b32 v133, v133 offset:168
	s_wait_dscnt 0x0
	v_mul_f32_e32 v132, v132, v133
	scratch_store_b32 off, v132, off offset:168
.LBB63_206:
	s_wait_xcnt 0x0
	s_or_b32 exec_lo, exec_lo, s15
	scratch_load_b32 v132, off, off offset:164
	v_cmp_lt_u32_e64 s1, 41, v0
	s_wait_loadcnt 0x0
	ds_store_b32 v1, v132
	s_wait_storecnt_dscnt 0x0
	s_barrier_signal -1
	s_barrier_wait -1
	s_wait_xcnt 0x0
	s_and_saveexec_b32 s15, s1
	s_cbranch_execz .LBB63_216
; %bb.207:
	s_and_not1_b32 vcc_lo, exec_lo, s3
	s_cbranch_vccnz .LBB63_209
; %bb.208:
	scratch_load_b32 v132, v7, off
	ds_load_b32 v133, v1
	s_wait_loadcnt_dscnt 0x0
	v_mul_f32_e32 v132, v132, v133
	s_cbranch_execz .LBB63_210
	s_branch .LBB63_211
.LBB63_209:
                                        ; implicit-def: $vgpr132
.LBB63_210:
	ds_load_b32 v132, v1
.LBB63_211:
	s_and_saveexec_b32 s16, s0
	s_cbranch_execz .LBB63_215
; %bb.212:
	v_subrev_nc_u32_e32 v133, 42, v0
	s_movk_i32 s0, 0xa8
	s_movk_i32 s18, 0x1a8
	s_mov_b32 s17, 0
.LBB63_213:                             ; =>This Inner Loop Header: Depth=1
	scratch_load_b32 v134, off, s0
	v_dual_mov_b32 v135, s18 :: v_dual_add_nc_u32 v133, -1, v133
	s_add_co_i32 s18, s18, 4
	s_wait_xcnt 0x0
	s_add_co_i32 s0, s0, 4
	ds_load_b32 v135, v135
	v_cmp_eq_u32_e32 vcc_lo, 0, v133
	s_or_b32 s17, vcc_lo, s17
	s_wait_loadcnt_dscnt 0x0
	v_fmac_f32_e32 v132, v134, v135
	s_and_not1_b32 exec_lo, exec_lo, s17
	s_cbranch_execnz .LBB63_213
; %bb.214:
	s_or_b32 exec_lo, exec_lo, s17
.LBB63_215:
	s_delay_alu instid0(SALU_CYCLE_1)
	s_or_b32 exec_lo, exec_lo, s16
	v_mov_b32_e32 v133, 0
	ds_load_b32 v133, v133 offset:164
	s_wait_dscnt 0x0
	v_mul_f32_e32 v132, v132, v133
	scratch_store_b32 off, v132, off offset:164
.LBB63_216:
	;; [unrolled: 58-line block ×3, first 2 shown]
	s_wait_xcnt 0x0
	s_or_b32 exec_lo, exec_lo, s15
	scratch_load_b32 v132, off, off offset:156
	v_cmp_lt_u32_e64 s1, 39, v0
	s_wait_loadcnt 0x0
	ds_store_b32 v1, v132
	s_wait_storecnt_dscnt 0x0
	s_barrier_signal -1
	s_barrier_wait -1
	s_wait_xcnt 0x0
	s_and_saveexec_b32 s15, s1
	s_cbranch_execz .LBB63_236
; %bb.227:
	s_and_not1_b32 vcc_lo, exec_lo, s3
	s_cbranch_vccnz .LBB63_229
; %bb.228:
	scratch_load_b32 v132, v7, off
	ds_load_b32 v133, v1
	s_wait_loadcnt_dscnt 0x0
	v_mul_f32_e32 v132, v132, v133
	s_cbranch_execz .LBB63_230
	s_branch .LBB63_231
.LBB63_229:
                                        ; implicit-def: $vgpr132
.LBB63_230:
	ds_load_b32 v132, v1
.LBB63_231:
	s_and_saveexec_b32 s16, s0
	s_cbranch_execz .LBB63_235
; %bb.232:
	v_subrev_nc_u32_e32 v133, 40, v0
	s_movk_i32 s17, 0x1a0
	s_mov_b32 s0, 0
.LBB63_233:                             ; =>This Inner Loop Header: Depth=1
	scratch_load_b32 v134, off, s14
	v_dual_mov_b32 v135, s17 :: v_dual_add_nc_u32 v133, -1, v133
	s_add_co_i32 s17, s17, 4
	s_wait_xcnt 0x0
	s_add_co_i32 s14, s14, 4
	ds_load_b32 v135, v135
	v_cmp_eq_u32_e32 vcc_lo, 0, v133
	s_or_b32 s0, vcc_lo, s0
	s_wait_loadcnt_dscnt 0x0
	v_fmac_f32_e32 v132, v134, v135
	s_and_not1_b32 exec_lo, exec_lo, s0
	s_cbranch_execnz .LBB63_233
; %bb.234:
	s_or_b32 exec_lo, exec_lo, s0
.LBB63_235:
	s_delay_alu instid0(SALU_CYCLE_1)
	s_or_b32 exec_lo, exec_lo, s16
	v_mov_b32_e32 v133, 0
	ds_load_b32 v133, v133 offset:156
	s_wait_dscnt 0x0
	v_mul_f32_e32 v132, v132, v133
	scratch_store_b32 off, v132, off offset:156
.LBB63_236:
	s_wait_xcnt 0x0
	s_or_b32 exec_lo, exec_lo, s15
	scratch_load_b32 v132, off, off offset:152
	v_cmp_lt_u32_e64 s0, 38, v0
	s_wait_loadcnt 0x0
	ds_store_b32 v1, v132
	s_wait_storecnt_dscnt 0x0
	s_barrier_signal -1
	s_barrier_wait -1
	s_wait_xcnt 0x0
	s_and_saveexec_b32 s14, s0
	s_cbranch_execz .LBB63_246
; %bb.237:
	s_and_not1_b32 vcc_lo, exec_lo, s3
	s_cbranch_vccnz .LBB63_239
; %bb.238:
	scratch_load_b32 v132, v7, off
	ds_load_b32 v133, v1
	s_wait_loadcnt_dscnt 0x0
	v_mul_f32_e32 v132, v132, v133
	s_cbranch_execz .LBB63_240
	s_branch .LBB63_241
.LBB63_239:
                                        ; implicit-def: $vgpr132
.LBB63_240:
	ds_load_b32 v132, v1
.LBB63_241:
	s_and_saveexec_b32 s15, s1
	s_cbranch_execz .LBB63_245
; %bb.242:
	v_subrev_nc_u32_e32 v133, 39, v0
	s_movk_i32 s1, 0x9c
	s_movk_i32 s17, 0x19c
	s_mov_b32 s16, 0
.LBB63_243:                             ; =>This Inner Loop Header: Depth=1
	scratch_load_b32 v134, off, s1
	v_dual_mov_b32 v135, s17 :: v_dual_add_nc_u32 v133, -1, v133
	s_add_co_i32 s17, s17, 4
	s_wait_xcnt 0x0
	s_add_co_i32 s1, s1, 4
	ds_load_b32 v135, v135
	v_cmp_eq_u32_e32 vcc_lo, 0, v133
	s_or_b32 s16, vcc_lo, s16
	s_wait_loadcnt_dscnt 0x0
	v_fmac_f32_e32 v132, v134, v135
	s_and_not1_b32 exec_lo, exec_lo, s16
	s_cbranch_execnz .LBB63_243
; %bb.244:
	s_or_b32 exec_lo, exec_lo, s16
.LBB63_245:
	s_delay_alu instid0(SALU_CYCLE_1)
	s_or_b32 exec_lo, exec_lo, s15
	v_mov_b32_e32 v133, 0
	ds_load_b32 v133, v133 offset:152
	s_wait_dscnt 0x0
	v_mul_f32_e32 v132, v132, v133
	scratch_store_b32 off, v132, off offset:152
.LBB63_246:
	s_wait_xcnt 0x0
	s_or_b32 exec_lo, exec_lo, s14
	scratch_load_b32 v132, off, off offset:148
	v_cmp_lt_u32_e64 s1, 37, v0
	s_wait_loadcnt 0x0
	ds_store_b32 v1, v132
	s_wait_storecnt_dscnt 0x0
	s_barrier_signal -1
	s_barrier_wait -1
	s_wait_xcnt 0x0
	s_and_saveexec_b32 s14, s1
	s_cbranch_execz .LBB63_256
; %bb.247:
	s_and_not1_b32 vcc_lo, exec_lo, s3
	s_cbranch_vccnz .LBB63_249
; %bb.248:
	scratch_load_b32 v132, v7, off
	ds_load_b32 v133, v1
	s_wait_loadcnt_dscnt 0x0
	v_mul_f32_e32 v132, v132, v133
	s_cbranch_execz .LBB63_250
	s_branch .LBB63_251
.LBB63_249:
                                        ; implicit-def: $vgpr132
.LBB63_250:
	ds_load_b32 v132, v1
.LBB63_251:
	s_and_saveexec_b32 s15, s0
	s_cbranch_execz .LBB63_255
; %bb.252:
	v_subrev_nc_u32_e32 v133, 38, v0
	s_movk_i32 s0, 0x98
	s_movk_i32 s17, 0x198
	s_mov_b32 s16, 0
.LBB63_253:                             ; =>This Inner Loop Header: Depth=1
	scratch_load_b32 v134, off, s0
	v_dual_mov_b32 v135, s17 :: v_dual_add_nc_u32 v133, -1, v133
	s_add_co_i32 s17, s17, 4
	s_wait_xcnt 0x0
	s_add_co_i32 s0, s0, 4
	ds_load_b32 v135, v135
	v_cmp_eq_u32_e32 vcc_lo, 0, v133
	s_or_b32 s16, vcc_lo, s16
	s_wait_loadcnt_dscnt 0x0
	v_fmac_f32_e32 v132, v134, v135
	s_and_not1_b32 exec_lo, exec_lo, s16
	s_cbranch_execnz .LBB63_253
; %bb.254:
	s_or_b32 exec_lo, exec_lo, s16
.LBB63_255:
	s_delay_alu instid0(SALU_CYCLE_1)
	s_or_b32 exec_lo, exec_lo, s15
	v_mov_b32_e32 v133, 0
	ds_load_b32 v133, v133 offset:148
	s_wait_dscnt 0x0
	v_mul_f32_e32 v132, v132, v133
	scratch_store_b32 off, v132, off offset:148
.LBB63_256:
	;; [unrolled: 58-line block ×3, first 2 shown]
	s_wait_xcnt 0x0
	s_or_b32 exec_lo, exec_lo, s14
	scratch_load_b32 v132, off, off offset:140
	v_cmp_lt_u32_e64 s1, 35, v0
	s_wait_loadcnt 0x0
	ds_store_b32 v1, v132
	s_wait_storecnt_dscnt 0x0
	s_barrier_signal -1
	s_barrier_wait -1
	s_wait_xcnt 0x0
	s_and_saveexec_b32 s14, s1
	s_cbranch_execz .LBB63_276
; %bb.267:
	s_and_not1_b32 vcc_lo, exec_lo, s3
	s_cbranch_vccnz .LBB63_269
; %bb.268:
	scratch_load_b32 v132, v7, off
	ds_load_b32 v133, v1
	s_wait_loadcnt_dscnt 0x0
	v_mul_f32_e32 v132, v132, v133
	s_cbranch_execz .LBB63_270
	s_branch .LBB63_271
.LBB63_269:
                                        ; implicit-def: $vgpr132
.LBB63_270:
	ds_load_b32 v132, v1
.LBB63_271:
	s_and_saveexec_b32 s15, s0
	s_cbranch_execz .LBB63_275
; %bb.272:
	v_subrev_nc_u32_e32 v133, 36, v0
	s_movk_i32 s16, 0x190
	s_mov_b32 s0, 0
.LBB63_273:                             ; =>This Inner Loop Header: Depth=1
	scratch_load_b32 v134, off, s13
	v_dual_mov_b32 v135, s16 :: v_dual_add_nc_u32 v133, -1, v133
	s_add_co_i32 s16, s16, 4
	s_wait_xcnt 0x0
	s_add_co_i32 s13, s13, 4
	ds_load_b32 v135, v135
	v_cmp_eq_u32_e32 vcc_lo, 0, v133
	s_or_b32 s0, vcc_lo, s0
	s_wait_loadcnt_dscnt 0x0
	v_fmac_f32_e32 v132, v134, v135
	s_and_not1_b32 exec_lo, exec_lo, s0
	s_cbranch_execnz .LBB63_273
; %bb.274:
	s_or_b32 exec_lo, exec_lo, s0
.LBB63_275:
	s_delay_alu instid0(SALU_CYCLE_1)
	s_or_b32 exec_lo, exec_lo, s15
	v_mov_b32_e32 v133, 0
	ds_load_b32 v133, v133 offset:140
	s_wait_dscnt 0x0
	v_mul_f32_e32 v132, v132, v133
	scratch_store_b32 off, v132, off offset:140
.LBB63_276:
	s_wait_xcnt 0x0
	s_or_b32 exec_lo, exec_lo, s14
	scratch_load_b32 v132, off, off offset:136
	v_cmp_lt_u32_e64 s0, 34, v0
	s_wait_loadcnt 0x0
	ds_store_b32 v1, v132
	s_wait_storecnt_dscnt 0x0
	s_barrier_signal -1
	s_barrier_wait -1
	s_wait_xcnt 0x0
	s_and_saveexec_b32 s13, s0
	s_cbranch_execz .LBB63_286
; %bb.277:
	s_and_not1_b32 vcc_lo, exec_lo, s3
	s_cbranch_vccnz .LBB63_279
; %bb.278:
	scratch_load_b32 v132, v7, off
	ds_load_b32 v133, v1
	s_wait_loadcnt_dscnt 0x0
	v_mul_f32_e32 v132, v132, v133
	s_cbranch_execz .LBB63_280
	s_branch .LBB63_281
.LBB63_279:
                                        ; implicit-def: $vgpr132
.LBB63_280:
	ds_load_b32 v132, v1
.LBB63_281:
	s_and_saveexec_b32 s14, s1
	s_cbranch_execz .LBB63_285
; %bb.282:
	v_subrev_nc_u32_e32 v133, 35, v0
	s_movk_i32 s1, 0x8c
	s_movk_i32 s16, 0x18c
	s_mov_b32 s15, 0
.LBB63_283:                             ; =>This Inner Loop Header: Depth=1
	scratch_load_b32 v134, off, s1
	v_dual_mov_b32 v135, s16 :: v_dual_add_nc_u32 v133, -1, v133
	s_add_co_i32 s16, s16, 4
	s_wait_xcnt 0x0
	s_add_co_i32 s1, s1, 4
	ds_load_b32 v135, v135
	v_cmp_eq_u32_e32 vcc_lo, 0, v133
	s_or_b32 s15, vcc_lo, s15
	s_wait_loadcnt_dscnt 0x0
	v_fmac_f32_e32 v132, v134, v135
	s_and_not1_b32 exec_lo, exec_lo, s15
	s_cbranch_execnz .LBB63_283
; %bb.284:
	s_or_b32 exec_lo, exec_lo, s15
.LBB63_285:
	s_delay_alu instid0(SALU_CYCLE_1)
	s_or_b32 exec_lo, exec_lo, s14
	v_mov_b32_e32 v133, 0
	ds_load_b32 v133, v133 offset:136
	s_wait_dscnt 0x0
	v_mul_f32_e32 v132, v132, v133
	scratch_store_b32 off, v132, off offset:136
.LBB63_286:
	s_wait_xcnt 0x0
	s_or_b32 exec_lo, exec_lo, s13
	scratch_load_b32 v132, off, off offset:132
	v_cmp_lt_u32_e64 s1, 33, v0
	s_wait_loadcnt 0x0
	ds_store_b32 v1, v132
	s_wait_storecnt_dscnt 0x0
	s_barrier_signal -1
	s_barrier_wait -1
	s_wait_xcnt 0x0
	s_and_saveexec_b32 s13, s1
	s_cbranch_execz .LBB63_296
; %bb.287:
	s_and_not1_b32 vcc_lo, exec_lo, s3
	s_cbranch_vccnz .LBB63_289
; %bb.288:
	scratch_load_b32 v132, v7, off
	ds_load_b32 v133, v1
	s_wait_loadcnt_dscnt 0x0
	v_mul_f32_e32 v132, v132, v133
	s_cbranch_execz .LBB63_290
	s_branch .LBB63_291
.LBB63_289:
                                        ; implicit-def: $vgpr132
.LBB63_290:
	ds_load_b32 v132, v1
.LBB63_291:
	s_and_saveexec_b32 s14, s0
	s_cbranch_execz .LBB63_295
; %bb.292:
	v_subrev_nc_u32_e32 v133, 34, v0
	s_movk_i32 s0, 0x88
	s_movk_i32 s16, 0x188
	s_mov_b32 s15, 0
.LBB63_293:                             ; =>This Inner Loop Header: Depth=1
	scratch_load_b32 v134, off, s0
	v_dual_mov_b32 v135, s16 :: v_dual_add_nc_u32 v133, -1, v133
	s_add_co_i32 s16, s16, 4
	s_wait_xcnt 0x0
	s_add_co_i32 s0, s0, 4
	ds_load_b32 v135, v135
	v_cmp_eq_u32_e32 vcc_lo, 0, v133
	s_or_b32 s15, vcc_lo, s15
	s_wait_loadcnt_dscnt 0x0
	v_fmac_f32_e32 v132, v134, v135
	s_and_not1_b32 exec_lo, exec_lo, s15
	s_cbranch_execnz .LBB63_293
; %bb.294:
	s_or_b32 exec_lo, exec_lo, s15
.LBB63_295:
	s_delay_alu instid0(SALU_CYCLE_1)
	s_or_b32 exec_lo, exec_lo, s14
	v_mov_b32_e32 v133, 0
	ds_load_b32 v133, v133 offset:132
	s_wait_dscnt 0x0
	v_mul_f32_e32 v132, v132, v133
	scratch_store_b32 off, v132, off offset:132
.LBB63_296:
	;; [unrolled: 58-line block ×3, first 2 shown]
	s_wait_xcnt 0x0
	s_or_b32 exec_lo, exec_lo, s13
	scratch_load_b32 v132, off, off offset:124
	v_cmp_lt_u32_e64 s1, 31, v0
	s_wait_loadcnt 0x0
	ds_store_b32 v1, v132
	s_wait_storecnt_dscnt 0x0
	s_barrier_signal -1
	s_barrier_wait -1
	s_wait_xcnt 0x0
	s_and_saveexec_b32 s13, s1
	s_cbranch_execz .LBB63_316
; %bb.307:
	s_and_not1_b32 vcc_lo, exec_lo, s3
	s_cbranch_vccnz .LBB63_309
; %bb.308:
	scratch_load_b32 v132, v7, off
	ds_load_b32 v133, v1
	s_wait_loadcnt_dscnt 0x0
	v_mul_f32_e32 v132, v132, v133
	s_cbranch_execz .LBB63_310
	s_branch .LBB63_311
.LBB63_309:
                                        ; implicit-def: $vgpr132
.LBB63_310:
	ds_load_b32 v132, v1
.LBB63_311:
	s_and_saveexec_b32 s14, s0
	s_cbranch_execz .LBB63_315
; %bb.312:
	v_subrev_nc_u32_e32 v133, 32, v0
	s_movk_i32 s15, 0x180
	s_mov_b32 s0, 0
.LBB63_313:                             ; =>This Inner Loop Header: Depth=1
	scratch_load_b32 v134, off, s12
	v_dual_mov_b32 v135, s15 :: v_dual_add_nc_u32 v133, -1, v133
	s_add_co_i32 s15, s15, 4
	s_wait_xcnt 0x0
	s_add_co_i32 s12, s12, 4
	ds_load_b32 v135, v135
	v_cmp_eq_u32_e32 vcc_lo, 0, v133
	s_or_b32 s0, vcc_lo, s0
	s_wait_loadcnt_dscnt 0x0
	v_fmac_f32_e32 v132, v134, v135
	s_and_not1_b32 exec_lo, exec_lo, s0
	s_cbranch_execnz .LBB63_313
; %bb.314:
	s_or_b32 exec_lo, exec_lo, s0
.LBB63_315:
	s_delay_alu instid0(SALU_CYCLE_1)
	s_or_b32 exec_lo, exec_lo, s14
	v_mov_b32_e32 v133, 0
	ds_load_b32 v133, v133 offset:124
	s_wait_dscnt 0x0
	v_mul_f32_e32 v132, v132, v133
	scratch_store_b32 off, v132, off offset:124
.LBB63_316:
	s_wait_xcnt 0x0
	s_or_b32 exec_lo, exec_lo, s13
	scratch_load_b32 v132, off, off offset:120
	v_cmp_lt_u32_e64 s0, 30, v0
	s_wait_loadcnt 0x0
	ds_store_b32 v1, v132
	s_wait_storecnt_dscnt 0x0
	s_barrier_signal -1
	s_barrier_wait -1
	s_wait_xcnt 0x0
	s_and_saveexec_b32 s12, s0
	s_cbranch_execz .LBB63_326
; %bb.317:
	s_and_not1_b32 vcc_lo, exec_lo, s3
	s_cbranch_vccnz .LBB63_319
; %bb.318:
	scratch_load_b32 v132, v7, off
	ds_load_b32 v133, v1
	s_wait_loadcnt_dscnt 0x0
	v_mul_f32_e32 v132, v132, v133
	s_cbranch_execz .LBB63_320
	s_branch .LBB63_321
.LBB63_319:
                                        ; implicit-def: $vgpr132
.LBB63_320:
	ds_load_b32 v132, v1
.LBB63_321:
	s_and_saveexec_b32 s13, s1
	s_cbranch_execz .LBB63_325
; %bb.322:
	v_subrev_nc_u32_e32 v133, 31, v0
	s_movk_i32 s1, 0x7c
	s_movk_i32 s15, 0x17c
	s_mov_b32 s14, 0
.LBB63_323:                             ; =>This Inner Loop Header: Depth=1
	scratch_load_b32 v134, off, s1
	v_dual_mov_b32 v135, s15 :: v_dual_add_nc_u32 v133, -1, v133
	s_add_co_i32 s15, s15, 4
	s_wait_xcnt 0x0
	s_add_co_i32 s1, s1, 4
	ds_load_b32 v135, v135
	v_cmp_eq_u32_e32 vcc_lo, 0, v133
	s_or_b32 s14, vcc_lo, s14
	s_wait_loadcnt_dscnt 0x0
	v_fmac_f32_e32 v132, v134, v135
	s_and_not1_b32 exec_lo, exec_lo, s14
	s_cbranch_execnz .LBB63_323
; %bb.324:
	s_or_b32 exec_lo, exec_lo, s14
.LBB63_325:
	s_delay_alu instid0(SALU_CYCLE_1)
	s_or_b32 exec_lo, exec_lo, s13
	v_mov_b32_e32 v133, 0
	ds_load_b32 v133, v133 offset:120
	s_wait_dscnt 0x0
	v_mul_f32_e32 v132, v132, v133
	scratch_store_b32 off, v132, off offset:120
.LBB63_326:
	s_wait_xcnt 0x0
	s_or_b32 exec_lo, exec_lo, s12
	scratch_load_b32 v132, off, off offset:116
	v_cmp_lt_u32_e64 s1, 29, v0
	s_wait_loadcnt 0x0
	ds_store_b32 v1, v132
	s_wait_storecnt_dscnt 0x0
	s_barrier_signal -1
	s_barrier_wait -1
	s_wait_xcnt 0x0
	s_and_saveexec_b32 s12, s1
	s_cbranch_execz .LBB63_336
; %bb.327:
	s_and_not1_b32 vcc_lo, exec_lo, s3
	s_cbranch_vccnz .LBB63_329
; %bb.328:
	scratch_load_b32 v132, v7, off
	ds_load_b32 v133, v1
	s_wait_loadcnt_dscnt 0x0
	v_mul_f32_e32 v132, v132, v133
	s_cbranch_execz .LBB63_330
	s_branch .LBB63_331
.LBB63_329:
                                        ; implicit-def: $vgpr132
.LBB63_330:
	ds_load_b32 v132, v1
.LBB63_331:
	s_and_saveexec_b32 s13, s0
	s_cbranch_execz .LBB63_335
; %bb.332:
	v_subrev_nc_u32_e32 v133, 30, v0
	s_movk_i32 s0, 0x78
	s_movk_i32 s15, 0x178
	s_mov_b32 s14, 0
.LBB63_333:                             ; =>This Inner Loop Header: Depth=1
	scratch_load_b32 v134, off, s0
	v_dual_mov_b32 v135, s15 :: v_dual_add_nc_u32 v133, -1, v133
	s_add_co_i32 s15, s15, 4
	s_wait_xcnt 0x0
	s_add_co_i32 s0, s0, 4
	ds_load_b32 v135, v135
	v_cmp_eq_u32_e32 vcc_lo, 0, v133
	s_or_b32 s14, vcc_lo, s14
	s_wait_loadcnt_dscnt 0x0
	v_fmac_f32_e32 v132, v134, v135
	s_and_not1_b32 exec_lo, exec_lo, s14
	s_cbranch_execnz .LBB63_333
; %bb.334:
	s_or_b32 exec_lo, exec_lo, s14
.LBB63_335:
	s_delay_alu instid0(SALU_CYCLE_1)
	s_or_b32 exec_lo, exec_lo, s13
	v_mov_b32_e32 v133, 0
	ds_load_b32 v133, v133 offset:116
	s_wait_dscnt 0x0
	v_mul_f32_e32 v132, v132, v133
	scratch_store_b32 off, v132, off offset:116
.LBB63_336:
	;; [unrolled: 58-line block ×3, first 2 shown]
	s_wait_xcnt 0x0
	s_or_b32 exec_lo, exec_lo, s12
	scratch_load_b32 v132, off, off offset:108
	v_cmp_lt_u32_e64 s1, 27, v0
	s_wait_loadcnt 0x0
	ds_store_b32 v1, v132
	s_wait_storecnt_dscnt 0x0
	s_barrier_signal -1
	s_barrier_wait -1
	s_wait_xcnt 0x0
	s_and_saveexec_b32 s12, s1
	s_cbranch_execz .LBB63_356
; %bb.347:
	s_and_not1_b32 vcc_lo, exec_lo, s3
	s_cbranch_vccnz .LBB63_349
; %bb.348:
	scratch_load_b32 v132, v7, off
	ds_load_b32 v133, v1
	s_wait_loadcnt_dscnt 0x0
	v_mul_f32_e32 v132, v132, v133
	s_cbranch_execz .LBB63_350
	s_branch .LBB63_351
.LBB63_349:
                                        ; implicit-def: $vgpr132
.LBB63_350:
	ds_load_b32 v132, v1
.LBB63_351:
	s_and_saveexec_b32 s13, s0
	s_cbranch_execz .LBB63_355
; %bb.352:
	v_subrev_nc_u32_e32 v133, 28, v0
	s_movk_i32 s14, 0x170
	s_mov_b32 s0, 0
.LBB63_353:                             ; =>This Inner Loop Header: Depth=1
	scratch_load_b32 v134, off, s11
	v_dual_mov_b32 v135, s14 :: v_dual_add_nc_u32 v133, -1, v133
	s_add_co_i32 s14, s14, 4
	s_wait_xcnt 0x0
	s_add_co_i32 s11, s11, 4
	ds_load_b32 v135, v135
	v_cmp_eq_u32_e32 vcc_lo, 0, v133
	s_or_b32 s0, vcc_lo, s0
	s_wait_loadcnt_dscnt 0x0
	v_fmac_f32_e32 v132, v134, v135
	s_and_not1_b32 exec_lo, exec_lo, s0
	s_cbranch_execnz .LBB63_353
; %bb.354:
	s_or_b32 exec_lo, exec_lo, s0
.LBB63_355:
	s_delay_alu instid0(SALU_CYCLE_1)
	s_or_b32 exec_lo, exec_lo, s13
	v_mov_b32_e32 v133, 0
	ds_load_b32 v133, v133 offset:108
	s_wait_dscnt 0x0
	v_mul_f32_e32 v132, v132, v133
	scratch_store_b32 off, v132, off offset:108
.LBB63_356:
	s_wait_xcnt 0x0
	s_or_b32 exec_lo, exec_lo, s12
	scratch_load_b32 v132, off, off offset:104
	v_cmp_lt_u32_e64 s0, 26, v0
	s_wait_loadcnt 0x0
	ds_store_b32 v1, v132
	s_wait_storecnt_dscnt 0x0
	s_barrier_signal -1
	s_barrier_wait -1
	s_wait_xcnt 0x0
	s_and_saveexec_b32 s11, s0
	s_cbranch_execz .LBB63_366
; %bb.357:
	s_and_not1_b32 vcc_lo, exec_lo, s3
	s_cbranch_vccnz .LBB63_359
; %bb.358:
	scratch_load_b32 v132, v7, off
	ds_load_b32 v133, v1
	s_wait_loadcnt_dscnt 0x0
	v_mul_f32_e32 v132, v132, v133
	s_cbranch_execz .LBB63_360
	s_branch .LBB63_361
.LBB63_359:
                                        ; implicit-def: $vgpr132
.LBB63_360:
	ds_load_b32 v132, v1
.LBB63_361:
	s_and_saveexec_b32 s12, s1
	s_cbranch_execz .LBB63_365
; %bb.362:
	v_subrev_nc_u32_e32 v133, 27, v0
	s_movk_i32 s1, 0x6c
	s_movk_i32 s14, 0x16c
	s_mov_b32 s13, 0
.LBB63_363:                             ; =>This Inner Loop Header: Depth=1
	scratch_load_b32 v134, off, s1
	v_dual_mov_b32 v135, s14 :: v_dual_add_nc_u32 v133, -1, v133
	s_add_co_i32 s14, s14, 4
	s_wait_xcnt 0x0
	s_add_co_i32 s1, s1, 4
	ds_load_b32 v135, v135
	v_cmp_eq_u32_e32 vcc_lo, 0, v133
	s_or_b32 s13, vcc_lo, s13
	s_wait_loadcnt_dscnt 0x0
	v_fmac_f32_e32 v132, v134, v135
	s_and_not1_b32 exec_lo, exec_lo, s13
	s_cbranch_execnz .LBB63_363
; %bb.364:
	s_or_b32 exec_lo, exec_lo, s13
.LBB63_365:
	s_delay_alu instid0(SALU_CYCLE_1)
	s_or_b32 exec_lo, exec_lo, s12
	v_mov_b32_e32 v133, 0
	ds_load_b32 v133, v133 offset:104
	s_wait_dscnt 0x0
	v_mul_f32_e32 v132, v132, v133
	scratch_store_b32 off, v132, off offset:104
.LBB63_366:
	s_wait_xcnt 0x0
	s_or_b32 exec_lo, exec_lo, s11
	scratch_load_b32 v132, off, off offset:100
	v_cmp_lt_u32_e64 s1, 25, v0
	s_wait_loadcnt 0x0
	ds_store_b32 v1, v132
	s_wait_storecnt_dscnt 0x0
	s_barrier_signal -1
	s_barrier_wait -1
	s_wait_xcnt 0x0
	s_and_saveexec_b32 s11, s1
	s_cbranch_execz .LBB63_376
; %bb.367:
	s_and_not1_b32 vcc_lo, exec_lo, s3
	s_cbranch_vccnz .LBB63_369
; %bb.368:
	scratch_load_b32 v132, v7, off
	ds_load_b32 v133, v1
	s_wait_loadcnt_dscnt 0x0
	v_mul_f32_e32 v132, v132, v133
	s_cbranch_execz .LBB63_370
	s_branch .LBB63_371
.LBB63_369:
                                        ; implicit-def: $vgpr132
.LBB63_370:
	ds_load_b32 v132, v1
.LBB63_371:
	s_and_saveexec_b32 s12, s0
	s_cbranch_execz .LBB63_375
; %bb.372:
	v_subrev_nc_u32_e32 v133, 26, v0
	s_movk_i32 s0, 0x68
	s_movk_i32 s14, 0x168
	s_mov_b32 s13, 0
.LBB63_373:                             ; =>This Inner Loop Header: Depth=1
	scratch_load_b32 v134, off, s0
	v_dual_mov_b32 v135, s14 :: v_dual_add_nc_u32 v133, -1, v133
	s_add_co_i32 s14, s14, 4
	s_wait_xcnt 0x0
	s_add_co_i32 s0, s0, 4
	ds_load_b32 v135, v135
	v_cmp_eq_u32_e32 vcc_lo, 0, v133
	s_or_b32 s13, vcc_lo, s13
	s_wait_loadcnt_dscnt 0x0
	v_fmac_f32_e32 v132, v134, v135
	s_and_not1_b32 exec_lo, exec_lo, s13
	s_cbranch_execnz .LBB63_373
; %bb.374:
	s_or_b32 exec_lo, exec_lo, s13
.LBB63_375:
	s_delay_alu instid0(SALU_CYCLE_1)
	s_or_b32 exec_lo, exec_lo, s12
	v_mov_b32_e32 v133, 0
	ds_load_b32 v133, v133 offset:100
	s_wait_dscnt 0x0
	v_mul_f32_e32 v132, v132, v133
	scratch_store_b32 off, v132, off offset:100
.LBB63_376:
	;; [unrolled: 58-line block ×3, first 2 shown]
	s_wait_xcnt 0x0
	s_or_b32 exec_lo, exec_lo, s11
	scratch_load_b32 v132, off, off offset:92
	v_cmp_lt_u32_e64 s1, 23, v0
	s_wait_loadcnt 0x0
	ds_store_b32 v1, v132
	s_wait_storecnt_dscnt 0x0
	s_barrier_signal -1
	s_barrier_wait -1
	s_wait_xcnt 0x0
	s_and_saveexec_b32 s11, s1
	s_cbranch_execz .LBB63_396
; %bb.387:
	s_and_not1_b32 vcc_lo, exec_lo, s3
	s_cbranch_vccnz .LBB63_389
; %bb.388:
	scratch_load_b32 v132, v7, off
	ds_load_b32 v133, v1
	s_wait_loadcnt_dscnt 0x0
	v_mul_f32_e32 v132, v132, v133
	s_cbranch_execz .LBB63_390
	s_branch .LBB63_391
.LBB63_389:
                                        ; implicit-def: $vgpr132
.LBB63_390:
	ds_load_b32 v132, v1
.LBB63_391:
	s_and_saveexec_b32 s12, s0
	s_cbranch_execz .LBB63_395
; %bb.392:
	v_subrev_nc_u32_e32 v133, 24, v0
	s_movk_i32 s13, 0x160
	s_mov_b32 s0, 0
.LBB63_393:                             ; =>This Inner Loop Header: Depth=1
	scratch_load_b32 v134, off, s10
	v_dual_mov_b32 v135, s13 :: v_dual_add_nc_u32 v133, -1, v133
	s_add_co_i32 s13, s13, 4
	s_wait_xcnt 0x0
	s_add_co_i32 s10, s10, 4
	ds_load_b32 v135, v135
	v_cmp_eq_u32_e32 vcc_lo, 0, v133
	s_or_b32 s0, vcc_lo, s0
	s_wait_loadcnt_dscnt 0x0
	v_fmac_f32_e32 v132, v134, v135
	s_and_not1_b32 exec_lo, exec_lo, s0
	s_cbranch_execnz .LBB63_393
; %bb.394:
	s_or_b32 exec_lo, exec_lo, s0
.LBB63_395:
	s_delay_alu instid0(SALU_CYCLE_1)
	s_or_b32 exec_lo, exec_lo, s12
	v_mov_b32_e32 v133, 0
	ds_load_b32 v133, v133 offset:92
	s_wait_dscnt 0x0
	v_mul_f32_e32 v132, v132, v133
	scratch_store_b32 off, v132, off offset:92
.LBB63_396:
	s_wait_xcnt 0x0
	s_or_b32 exec_lo, exec_lo, s11
	scratch_load_b32 v132, off, off offset:88
	v_cmp_lt_u32_e64 s0, 22, v0
	s_wait_loadcnt 0x0
	ds_store_b32 v1, v132
	s_wait_storecnt_dscnt 0x0
	s_barrier_signal -1
	s_barrier_wait -1
	s_wait_xcnt 0x0
	s_and_saveexec_b32 s10, s0
	s_cbranch_execz .LBB63_406
; %bb.397:
	s_and_not1_b32 vcc_lo, exec_lo, s3
	s_cbranch_vccnz .LBB63_399
; %bb.398:
	scratch_load_b32 v132, v7, off
	ds_load_b32 v133, v1
	s_wait_loadcnt_dscnt 0x0
	v_mul_f32_e32 v132, v132, v133
	s_cbranch_execz .LBB63_400
	s_branch .LBB63_401
.LBB63_399:
                                        ; implicit-def: $vgpr132
.LBB63_400:
	ds_load_b32 v132, v1
.LBB63_401:
	s_and_saveexec_b32 s11, s1
	s_cbranch_execz .LBB63_405
; %bb.402:
	v_subrev_nc_u32_e32 v133, 23, v0
	s_movk_i32 s1, 0x5c
	s_movk_i32 s13, 0x15c
	s_mov_b32 s12, 0
.LBB63_403:                             ; =>This Inner Loop Header: Depth=1
	scratch_load_b32 v134, off, s1
	v_dual_mov_b32 v135, s13 :: v_dual_add_nc_u32 v133, -1, v133
	s_add_co_i32 s13, s13, 4
	s_wait_xcnt 0x0
	s_add_co_i32 s1, s1, 4
	ds_load_b32 v135, v135
	v_cmp_eq_u32_e32 vcc_lo, 0, v133
	s_or_b32 s12, vcc_lo, s12
	s_wait_loadcnt_dscnt 0x0
	v_fmac_f32_e32 v132, v134, v135
	s_and_not1_b32 exec_lo, exec_lo, s12
	s_cbranch_execnz .LBB63_403
; %bb.404:
	s_or_b32 exec_lo, exec_lo, s12
.LBB63_405:
	s_delay_alu instid0(SALU_CYCLE_1)
	s_or_b32 exec_lo, exec_lo, s11
	v_mov_b32_e32 v133, 0
	ds_load_b32 v133, v133 offset:88
	s_wait_dscnt 0x0
	v_mul_f32_e32 v132, v132, v133
	scratch_store_b32 off, v132, off offset:88
.LBB63_406:
	s_wait_xcnt 0x0
	s_or_b32 exec_lo, exec_lo, s10
	scratch_load_b32 v132, off, off offset:84
	v_cmp_lt_u32_e64 s1, 21, v0
	s_wait_loadcnt 0x0
	ds_store_b32 v1, v132
	s_wait_storecnt_dscnt 0x0
	s_barrier_signal -1
	s_barrier_wait -1
	s_wait_xcnt 0x0
	s_and_saveexec_b32 s10, s1
	s_cbranch_execz .LBB63_416
; %bb.407:
	s_and_not1_b32 vcc_lo, exec_lo, s3
	s_cbranch_vccnz .LBB63_409
; %bb.408:
	scratch_load_b32 v132, v7, off
	ds_load_b32 v133, v1
	s_wait_loadcnt_dscnt 0x0
	v_mul_f32_e32 v132, v132, v133
	s_cbranch_execz .LBB63_410
	s_branch .LBB63_411
.LBB63_409:
                                        ; implicit-def: $vgpr132
.LBB63_410:
	ds_load_b32 v132, v1
.LBB63_411:
	s_and_saveexec_b32 s11, s0
	s_cbranch_execz .LBB63_415
; %bb.412:
	v_subrev_nc_u32_e32 v133, 22, v0
	s_movk_i32 s0, 0x58
	s_movk_i32 s13, 0x158
	s_mov_b32 s12, 0
.LBB63_413:                             ; =>This Inner Loop Header: Depth=1
	scratch_load_b32 v134, off, s0
	v_dual_mov_b32 v135, s13 :: v_dual_add_nc_u32 v133, -1, v133
	s_add_co_i32 s13, s13, 4
	s_wait_xcnt 0x0
	s_add_co_i32 s0, s0, 4
	ds_load_b32 v135, v135
	v_cmp_eq_u32_e32 vcc_lo, 0, v133
	s_or_b32 s12, vcc_lo, s12
	s_wait_loadcnt_dscnt 0x0
	v_fmac_f32_e32 v132, v134, v135
	s_and_not1_b32 exec_lo, exec_lo, s12
	s_cbranch_execnz .LBB63_413
; %bb.414:
	s_or_b32 exec_lo, exec_lo, s12
.LBB63_415:
	s_delay_alu instid0(SALU_CYCLE_1)
	s_or_b32 exec_lo, exec_lo, s11
	v_mov_b32_e32 v133, 0
	ds_load_b32 v133, v133 offset:84
	s_wait_dscnt 0x0
	v_mul_f32_e32 v132, v132, v133
	scratch_store_b32 off, v132, off offset:84
.LBB63_416:
	;; [unrolled: 58-line block ×3, first 2 shown]
	s_wait_xcnt 0x0
	s_or_b32 exec_lo, exec_lo, s10
	scratch_load_b32 v132, off, off offset:76
	v_cmp_lt_u32_e64 s1, 19, v0
	s_wait_loadcnt 0x0
	ds_store_b32 v1, v132
	s_wait_storecnt_dscnt 0x0
	s_barrier_signal -1
	s_barrier_wait -1
	s_wait_xcnt 0x0
	s_and_saveexec_b32 s10, s1
	s_cbranch_execz .LBB63_436
; %bb.427:
	s_and_not1_b32 vcc_lo, exec_lo, s3
	s_cbranch_vccnz .LBB63_429
; %bb.428:
	scratch_load_b32 v132, v7, off
	ds_load_b32 v133, v1
	s_wait_loadcnt_dscnt 0x0
	v_mul_f32_e32 v132, v132, v133
	s_cbranch_execz .LBB63_430
	s_branch .LBB63_431
.LBB63_429:
                                        ; implicit-def: $vgpr132
.LBB63_430:
	ds_load_b32 v132, v1
.LBB63_431:
	s_and_saveexec_b32 s11, s0
	s_cbranch_execz .LBB63_435
; %bb.432:
	v_subrev_nc_u32_e32 v133, 20, v0
	s_movk_i32 s12, 0x150
	s_mov_b32 s0, 0
.LBB63_433:                             ; =>This Inner Loop Header: Depth=1
	scratch_load_b32 v134, off, s9
	v_dual_mov_b32 v135, s12 :: v_dual_add_nc_u32 v133, -1, v133
	s_add_co_i32 s12, s12, 4
	s_wait_xcnt 0x0
	s_add_co_i32 s9, s9, 4
	ds_load_b32 v135, v135
	v_cmp_eq_u32_e32 vcc_lo, 0, v133
	s_or_b32 s0, vcc_lo, s0
	s_wait_loadcnt_dscnt 0x0
	v_fmac_f32_e32 v132, v134, v135
	s_and_not1_b32 exec_lo, exec_lo, s0
	s_cbranch_execnz .LBB63_433
; %bb.434:
	s_or_b32 exec_lo, exec_lo, s0
.LBB63_435:
	s_delay_alu instid0(SALU_CYCLE_1)
	s_or_b32 exec_lo, exec_lo, s11
	v_mov_b32_e32 v133, 0
	ds_load_b32 v133, v133 offset:76
	s_wait_dscnt 0x0
	v_mul_f32_e32 v132, v132, v133
	scratch_store_b32 off, v132, off offset:76
.LBB63_436:
	s_wait_xcnt 0x0
	s_or_b32 exec_lo, exec_lo, s10
	scratch_load_b32 v132, off, off offset:72
	v_cmp_lt_u32_e64 s0, 18, v0
	s_wait_loadcnt 0x0
	ds_store_b32 v1, v132
	s_wait_storecnt_dscnt 0x0
	s_barrier_signal -1
	s_barrier_wait -1
	s_wait_xcnt 0x0
	s_and_saveexec_b32 s9, s0
	s_cbranch_execz .LBB63_446
; %bb.437:
	s_and_not1_b32 vcc_lo, exec_lo, s3
	s_cbranch_vccnz .LBB63_439
; %bb.438:
	scratch_load_b32 v132, v7, off
	ds_load_b32 v133, v1
	s_wait_loadcnt_dscnt 0x0
	v_mul_f32_e32 v132, v132, v133
	s_cbranch_execz .LBB63_440
	s_branch .LBB63_441
.LBB63_439:
                                        ; implicit-def: $vgpr132
.LBB63_440:
	ds_load_b32 v132, v1
.LBB63_441:
	s_and_saveexec_b32 s10, s1
	s_cbranch_execz .LBB63_445
; %bb.442:
	v_subrev_nc_u32_e32 v133, 19, v0
	s_movk_i32 s1, 0x4c
	s_movk_i32 s12, 0x14c
	s_mov_b32 s11, 0
.LBB63_443:                             ; =>This Inner Loop Header: Depth=1
	scratch_load_b32 v134, off, s1
	v_dual_mov_b32 v135, s12 :: v_dual_add_nc_u32 v133, -1, v133
	s_add_co_i32 s12, s12, 4
	s_wait_xcnt 0x0
	s_add_co_i32 s1, s1, 4
	ds_load_b32 v135, v135
	v_cmp_eq_u32_e32 vcc_lo, 0, v133
	s_or_b32 s11, vcc_lo, s11
	s_wait_loadcnt_dscnt 0x0
	v_fmac_f32_e32 v132, v134, v135
	s_and_not1_b32 exec_lo, exec_lo, s11
	s_cbranch_execnz .LBB63_443
; %bb.444:
	s_or_b32 exec_lo, exec_lo, s11
.LBB63_445:
	s_delay_alu instid0(SALU_CYCLE_1)
	s_or_b32 exec_lo, exec_lo, s10
	v_mov_b32_e32 v133, 0
	ds_load_b32 v133, v133 offset:72
	s_wait_dscnt 0x0
	v_mul_f32_e32 v132, v132, v133
	scratch_store_b32 off, v132, off offset:72
.LBB63_446:
	s_wait_xcnt 0x0
	s_or_b32 exec_lo, exec_lo, s9
	scratch_load_b32 v132, off, off offset:68
	v_cmp_lt_u32_e64 s1, 17, v0
	s_wait_loadcnt 0x0
	ds_store_b32 v1, v132
	s_wait_storecnt_dscnt 0x0
	s_barrier_signal -1
	s_barrier_wait -1
	s_wait_xcnt 0x0
	s_and_saveexec_b32 s9, s1
	s_cbranch_execz .LBB63_456
; %bb.447:
	s_and_not1_b32 vcc_lo, exec_lo, s3
	s_cbranch_vccnz .LBB63_449
; %bb.448:
	scratch_load_b32 v132, v7, off
	ds_load_b32 v133, v1
	s_wait_loadcnt_dscnt 0x0
	v_mul_f32_e32 v132, v132, v133
	s_cbranch_execz .LBB63_450
	s_branch .LBB63_451
.LBB63_449:
                                        ; implicit-def: $vgpr132
.LBB63_450:
	ds_load_b32 v132, v1
.LBB63_451:
	s_and_saveexec_b32 s10, s0
	s_cbranch_execz .LBB63_455
; %bb.452:
	v_subrev_nc_u32_e32 v133, 18, v0
	s_movk_i32 s0, 0x48
	s_movk_i32 s12, 0x148
	s_mov_b32 s11, 0
.LBB63_453:                             ; =>This Inner Loop Header: Depth=1
	scratch_load_b32 v134, off, s0
	v_dual_mov_b32 v135, s12 :: v_dual_add_nc_u32 v133, -1, v133
	s_add_co_i32 s12, s12, 4
	s_wait_xcnt 0x0
	s_add_co_i32 s0, s0, 4
	ds_load_b32 v135, v135
	v_cmp_eq_u32_e32 vcc_lo, 0, v133
	s_or_b32 s11, vcc_lo, s11
	s_wait_loadcnt_dscnt 0x0
	v_fmac_f32_e32 v132, v134, v135
	s_and_not1_b32 exec_lo, exec_lo, s11
	s_cbranch_execnz .LBB63_453
; %bb.454:
	s_or_b32 exec_lo, exec_lo, s11
.LBB63_455:
	s_delay_alu instid0(SALU_CYCLE_1)
	s_or_b32 exec_lo, exec_lo, s10
	v_mov_b32_e32 v133, 0
	ds_load_b32 v133, v133 offset:68
	s_wait_dscnt 0x0
	v_mul_f32_e32 v132, v132, v133
	scratch_store_b32 off, v132, off offset:68
.LBB63_456:
	;; [unrolled: 58-line block ×3, first 2 shown]
	s_wait_xcnt 0x0
	s_or_b32 exec_lo, exec_lo, s9
	scratch_load_b32 v132, off, off offset:60
	v_cmp_lt_u32_e64 s1, 15, v0
	s_wait_loadcnt 0x0
	ds_store_b32 v1, v132
	s_wait_storecnt_dscnt 0x0
	s_barrier_signal -1
	s_barrier_wait -1
	s_wait_xcnt 0x0
	s_and_saveexec_b32 s9, s1
	s_cbranch_execz .LBB63_476
; %bb.467:
	s_and_not1_b32 vcc_lo, exec_lo, s3
	s_cbranch_vccnz .LBB63_469
; %bb.468:
	scratch_load_b32 v132, v7, off
	ds_load_b32 v133, v1
	s_wait_loadcnt_dscnt 0x0
	v_mul_f32_e32 v132, v132, v133
	s_cbranch_execz .LBB63_470
	s_branch .LBB63_471
.LBB63_469:
                                        ; implicit-def: $vgpr132
.LBB63_470:
	ds_load_b32 v132, v1
.LBB63_471:
	s_and_saveexec_b32 s10, s0
	s_cbranch_execz .LBB63_475
; %bb.472:
	v_add_nc_u32_e32 v133, -16, v0
	s_movk_i32 s11, 0x140
	s_mov_b32 s0, 0
.LBB63_473:                             ; =>This Inner Loop Header: Depth=1
	scratch_load_b32 v134, off, s8
	v_dual_mov_b32 v135, s11 :: v_dual_add_nc_u32 v133, -1, v133
	s_add_co_i32 s11, s11, 4
	s_wait_xcnt 0x0
	s_add_co_i32 s8, s8, 4
	ds_load_b32 v135, v135
	v_cmp_eq_u32_e32 vcc_lo, 0, v133
	s_or_b32 s0, vcc_lo, s0
	s_wait_loadcnt_dscnt 0x0
	v_fmac_f32_e32 v132, v134, v135
	s_and_not1_b32 exec_lo, exec_lo, s0
	s_cbranch_execnz .LBB63_473
; %bb.474:
	s_or_b32 exec_lo, exec_lo, s0
.LBB63_475:
	s_delay_alu instid0(SALU_CYCLE_1)
	s_or_b32 exec_lo, exec_lo, s10
	v_mov_b32_e32 v133, 0
	ds_load_b32 v133, v133 offset:60
	s_wait_dscnt 0x0
	v_mul_f32_e32 v132, v132, v133
	scratch_store_b32 off, v132, off offset:60
.LBB63_476:
	s_wait_xcnt 0x0
	s_or_b32 exec_lo, exec_lo, s9
	scratch_load_b32 v132, off, off offset:56
	v_cmp_lt_u32_e64 s0, 14, v0
	s_wait_loadcnt 0x0
	ds_store_b32 v1, v132
	s_wait_storecnt_dscnt 0x0
	s_barrier_signal -1
	s_barrier_wait -1
	s_wait_xcnt 0x0
	s_and_saveexec_b32 s8, s0
	s_cbranch_execz .LBB63_486
; %bb.477:
	s_and_not1_b32 vcc_lo, exec_lo, s3
	s_cbranch_vccnz .LBB63_479
; %bb.478:
	scratch_load_b32 v132, v7, off
	ds_load_b32 v133, v1
	s_wait_loadcnt_dscnt 0x0
	v_mul_f32_e32 v132, v132, v133
	s_cbranch_execz .LBB63_480
	s_branch .LBB63_481
.LBB63_479:
                                        ; implicit-def: $vgpr132
.LBB63_480:
	ds_load_b32 v132, v1
.LBB63_481:
	s_and_saveexec_b32 s9, s1
	s_cbranch_execz .LBB63_485
; %bb.482:
	v_add_nc_u32_e32 v133, -15, v0
	s_mov_b32 s1, 60
	s_movk_i32 s11, 0x13c
	s_mov_b32 s10, 0
.LBB63_483:                             ; =>This Inner Loop Header: Depth=1
	scratch_load_b32 v134, off, s1
	v_dual_mov_b32 v135, s11 :: v_dual_add_nc_u32 v133, -1, v133
	s_add_co_i32 s11, s11, 4
	s_wait_xcnt 0x0
	s_add_co_i32 s1, s1, 4
	ds_load_b32 v135, v135
	v_cmp_eq_u32_e32 vcc_lo, 0, v133
	s_or_b32 s10, vcc_lo, s10
	s_wait_loadcnt_dscnt 0x0
	v_fmac_f32_e32 v132, v134, v135
	s_and_not1_b32 exec_lo, exec_lo, s10
	s_cbranch_execnz .LBB63_483
; %bb.484:
	s_or_b32 exec_lo, exec_lo, s10
.LBB63_485:
	s_delay_alu instid0(SALU_CYCLE_1)
	s_or_b32 exec_lo, exec_lo, s9
	v_mov_b32_e32 v133, 0
	ds_load_b32 v133, v133 offset:56
	s_wait_dscnt 0x0
	v_mul_f32_e32 v132, v132, v133
	scratch_store_b32 off, v132, off offset:56
.LBB63_486:
	s_wait_xcnt 0x0
	s_or_b32 exec_lo, exec_lo, s8
	scratch_load_b32 v132, off, off offset:52
	v_cmp_lt_u32_e64 s1, 13, v0
	s_wait_loadcnt 0x0
	ds_store_b32 v1, v132
	s_wait_storecnt_dscnt 0x0
	s_barrier_signal -1
	s_barrier_wait -1
	s_wait_xcnt 0x0
	s_and_saveexec_b32 s8, s1
	s_cbranch_execz .LBB63_496
; %bb.487:
	s_and_not1_b32 vcc_lo, exec_lo, s3
	s_cbranch_vccnz .LBB63_489
; %bb.488:
	scratch_load_b32 v132, v7, off
	ds_load_b32 v133, v1
	s_wait_loadcnt_dscnt 0x0
	v_mul_f32_e32 v132, v132, v133
	s_cbranch_execz .LBB63_490
	s_branch .LBB63_491
.LBB63_489:
                                        ; implicit-def: $vgpr132
.LBB63_490:
	ds_load_b32 v132, v1
.LBB63_491:
	s_and_saveexec_b32 s9, s0
	s_cbranch_execz .LBB63_495
; %bb.492:
	v_add_nc_u32_e32 v133, -14, v0
	s_mov_b32 s0, 56
	s_movk_i32 s11, 0x138
	s_mov_b32 s10, 0
.LBB63_493:                             ; =>This Inner Loop Header: Depth=1
	scratch_load_b32 v134, off, s0
	v_dual_mov_b32 v135, s11 :: v_dual_add_nc_u32 v133, -1, v133
	s_add_co_i32 s11, s11, 4
	s_wait_xcnt 0x0
	s_add_co_i32 s0, s0, 4
	ds_load_b32 v135, v135
	v_cmp_eq_u32_e32 vcc_lo, 0, v133
	s_or_b32 s10, vcc_lo, s10
	s_wait_loadcnt_dscnt 0x0
	v_fmac_f32_e32 v132, v134, v135
	s_and_not1_b32 exec_lo, exec_lo, s10
	s_cbranch_execnz .LBB63_493
; %bb.494:
	s_or_b32 exec_lo, exec_lo, s10
.LBB63_495:
	s_delay_alu instid0(SALU_CYCLE_1)
	s_or_b32 exec_lo, exec_lo, s9
	v_mov_b32_e32 v133, 0
	ds_load_b32 v133, v133 offset:52
	s_wait_dscnt 0x0
	v_mul_f32_e32 v132, v132, v133
	scratch_store_b32 off, v132, off offset:52
.LBB63_496:
	;; [unrolled: 58-line block ×3, first 2 shown]
	s_wait_xcnt 0x0
	s_or_b32 exec_lo, exec_lo, s8
	scratch_load_b32 v132, off, off offset:44
	v_cmp_lt_u32_e64 s1, 11, v0
	s_wait_loadcnt 0x0
	ds_store_b32 v1, v132
	s_wait_storecnt_dscnt 0x0
	s_barrier_signal -1
	s_barrier_wait -1
	s_wait_xcnt 0x0
	s_and_saveexec_b32 s8, s1
	s_cbranch_execz .LBB63_516
; %bb.507:
	s_and_not1_b32 vcc_lo, exec_lo, s3
	s_cbranch_vccnz .LBB63_509
; %bb.508:
	scratch_load_b32 v132, v7, off
	ds_load_b32 v133, v1
	s_wait_loadcnt_dscnt 0x0
	v_mul_f32_e32 v132, v132, v133
	s_cbranch_execz .LBB63_510
	s_branch .LBB63_511
.LBB63_509:
                                        ; implicit-def: $vgpr132
.LBB63_510:
	ds_load_b32 v132, v1
.LBB63_511:
	s_and_saveexec_b32 s9, s0
	s_cbranch_execz .LBB63_515
; %bb.512:
	v_add_nc_u32_e32 v133, -12, v0
	s_movk_i32 s10, 0x130
	s_mov_b32 s0, 0
.LBB63_513:                             ; =>This Inner Loop Header: Depth=1
	scratch_load_b32 v134, off, s5
	v_dual_mov_b32 v135, s10 :: v_dual_add_nc_u32 v133, -1, v133
	s_add_co_i32 s10, s10, 4
	s_wait_xcnt 0x0
	s_add_co_i32 s5, s5, 4
	ds_load_b32 v135, v135
	v_cmp_eq_u32_e32 vcc_lo, 0, v133
	s_or_b32 s0, vcc_lo, s0
	s_wait_loadcnt_dscnt 0x0
	v_fmac_f32_e32 v132, v134, v135
	s_and_not1_b32 exec_lo, exec_lo, s0
	s_cbranch_execnz .LBB63_513
; %bb.514:
	s_or_b32 exec_lo, exec_lo, s0
.LBB63_515:
	s_delay_alu instid0(SALU_CYCLE_1)
	s_or_b32 exec_lo, exec_lo, s9
	v_mov_b32_e32 v133, 0
	ds_load_b32 v133, v133 offset:44
	s_wait_dscnt 0x0
	v_mul_f32_e32 v132, v132, v133
	scratch_store_b32 off, v132, off offset:44
.LBB63_516:
	s_wait_xcnt 0x0
	s_or_b32 exec_lo, exec_lo, s8
	scratch_load_b32 v132, off, off offset:40
	v_cmp_lt_u32_e64 s0, 10, v0
	s_wait_loadcnt 0x0
	ds_store_b32 v1, v132
	s_wait_storecnt_dscnt 0x0
	s_barrier_signal -1
	s_barrier_wait -1
	s_wait_xcnt 0x0
	s_and_saveexec_b32 s5, s0
	s_cbranch_execz .LBB63_526
; %bb.517:
	s_and_not1_b32 vcc_lo, exec_lo, s3
	s_cbranch_vccnz .LBB63_519
; %bb.518:
	scratch_load_b32 v132, v7, off
	ds_load_b32 v133, v1
	s_wait_loadcnt_dscnt 0x0
	v_mul_f32_e32 v132, v132, v133
	s_cbranch_execz .LBB63_520
	s_branch .LBB63_521
.LBB63_519:
                                        ; implicit-def: $vgpr132
.LBB63_520:
	ds_load_b32 v132, v1
.LBB63_521:
	s_and_saveexec_b32 s8, s1
	s_cbranch_execz .LBB63_525
; %bb.522:
	v_add_nc_u32_e32 v133, -11, v0
	s_mov_b32 s1, 44
	s_movk_i32 s10, 0x12c
	s_mov_b32 s9, 0
.LBB63_523:                             ; =>This Inner Loop Header: Depth=1
	scratch_load_b32 v134, off, s1
	v_dual_mov_b32 v135, s10 :: v_dual_add_nc_u32 v133, -1, v133
	s_add_co_i32 s10, s10, 4
	s_wait_xcnt 0x0
	s_add_co_i32 s1, s1, 4
	ds_load_b32 v135, v135
	v_cmp_eq_u32_e32 vcc_lo, 0, v133
	s_or_b32 s9, vcc_lo, s9
	s_wait_loadcnt_dscnt 0x0
	v_fmac_f32_e32 v132, v134, v135
	s_and_not1_b32 exec_lo, exec_lo, s9
	s_cbranch_execnz .LBB63_523
; %bb.524:
	s_or_b32 exec_lo, exec_lo, s9
.LBB63_525:
	s_delay_alu instid0(SALU_CYCLE_1)
	s_or_b32 exec_lo, exec_lo, s8
	v_mov_b32_e32 v133, 0
	ds_load_b32 v133, v133 offset:40
	s_wait_dscnt 0x0
	v_mul_f32_e32 v132, v132, v133
	scratch_store_b32 off, v132, off offset:40
.LBB63_526:
	s_wait_xcnt 0x0
	s_or_b32 exec_lo, exec_lo, s5
	scratch_load_b32 v132, off, off offset:36
	v_cmp_lt_u32_e64 s1, 9, v0
	s_wait_loadcnt 0x0
	ds_store_b32 v1, v132
	s_wait_storecnt_dscnt 0x0
	s_barrier_signal -1
	s_barrier_wait -1
	s_wait_xcnt 0x0
	s_and_saveexec_b32 s5, s1
	s_cbranch_execz .LBB63_536
; %bb.527:
	s_and_not1_b32 vcc_lo, exec_lo, s3
	s_cbranch_vccnz .LBB63_529
; %bb.528:
	scratch_load_b32 v132, v7, off
	ds_load_b32 v133, v1
	s_wait_loadcnt_dscnt 0x0
	v_mul_f32_e32 v132, v132, v133
	s_cbranch_execz .LBB63_530
	s_branch .LBB63_531
.LBB63_529:
                                        ; implicit-def: $vgpr132
.LBB63_530:
	ds_load_b32 v132, v1
.LBB63_531:
	s_and_saveexec_b32 s8, s0
	s_cbranch_execz .LBB63_535
; %bb.532:
	v_add_nc_u32_e32 v133, -10, v0
	s_mov_b32 s0, 40
	s_movk_i32 s10, 0x128
	s_mov_b32 s9, 0
.LBB63_533:                             ; =>This Inner Loop Header: Depth=1
	scratch_load_b32 v134, off, s0
	v_dual_mov_b32 v135, s10 :: v_dual_add_nc_u32 v133, -1, v133
	s_add_co_i32 s10, s10, 4
	s_wait_xcnt 0x0
	s_add_co_i32 s0, s0, 4
	ds_load_b32 v135, v135
	v_cmp_eq_u32_e32 vcc_lo, 0, v133
	s_or_b32 s9, vcc_lo, s9
	s_wait_loadcnt_dscnt 0x0
	v_fmac_f32_e32 v132, v134, v135
	s_and_not1_b32 exec_lo, exec_lo, s9
	s_cbranch_execnz .LBB63_533
; %bb.534:
	s_or_b32 exec_lo, exec_lo, s9
.LBB63_535:
	s_delay_alu instid0(SALU_CYCLE_1)
	s_or_b32 exec_lo, exec_lo, s8
	v_mov_b32_e32 v133, 0
	ds_load_b32 v133, v133 offset:36
	s_wait_dscnt 0x0
	v_mul_f32_e32 v132, v132, v133
	scratch_store_b32 off, v132, off offset:36
.LBB63_536:
	;; [unrolled: 58-line block ×3, first 2 shown]
	s_wait_xcnt 0x0
	s_or_b32 exec_lo, exec_lo, s5
	scratch_load_b32 v132, off, off offset:28
	v_cmp_lt_u32_e64 s1, 7, v0
	s_wait_loadcnt 0x0
	ds_store_b32 v1, v132
	s_wait_storecnt_dscnt 0x0
	s_barrier_signal -1
	s_barrier_wait -1
	s_wait_xcnt 0x0
	s_and_saveexec_b32 s5, s1
	s_cbranch_execz .LBB63_556
; %bb.547:
	s_and_not1_b32 vcc_lo, exec_lo, s3
	s_cbranch_vccnz .LBB63_549
; %bb.548:
	scratch_load_b32 v132, v7, off
	ds_load_b32 v133, v1
	s_wait_loadcnt_dscnt 0x0
	v_mul_f32_e32 v132, v132, v133
	s_cbranch_execz .LBB63_550
	s_branch .LBB63_551
.LBB63_549:
                                        ; implicit-def: $vgpr132
.LBB63_550:
	ds_load_b32 v132, v1
.LBB63_551:
	s_and_saveexec_b32 s8, s0
	s_cbranch_execz .LBB63_555
; %bb.552:
	v_add_nc_u32_e32 v133, -8, v0
	s_movk_i32 s9, 0x120
	s_mov_b32 s0, 0
.LBB63_553:                             ; =>This Inner Loop Header: Depth=1
	scratch_load_b32 v134, off, s2
	v_dual_mov_b32 v135, s9 :: v_dual_add_nc_u32 v133, -1, v133
	s_add_co_i32 s9, s9, 4
	s_wait_xcnt 0x0
	s_add_co_i32 s2, s2, 4
	ds_load_b32 v135, v135
	v_cmp_eq_u32_e32 vcc_lo, 0, v133
	s_or_b32 s0, vcc_lo, s0
	s_wait_loadcnt_dscnt 0x0
	v_fmac_f32_e32 v132, v134, v135
	s_and_not1_b32 exec_lo, exec_lo, s0
	s_cbranch_execnz .LBB63_553
; %bb.554:
	s_or_b32 exec_lo, exec_lo, s0
.LBB63_555:
	s_delay_alu instid0(SALU_CYCLE_1)
	s_or_b32 exec_lo, exec_lo, s8
	v_mov_b32_e32 v133, 0
	ds_load_b32 v133, v133 offset:28
	s_wait_dscnt 0x0
	v_mul_f32_e32 v132, v132, v133
	scratch_store_b32 off, v132, off offset:28
.LBB63_556:
	s_wait_xcnt 0x0
	s_or_b32 exec_lo, exec_lo, s5
	scratch_load_b32 v132, off, off offset:24
	v_cmp_lt_u32_e64 s0, 6, v0
	s_wait_loadcnt 0x0
	ds_store_b32 v1, v132
	s_wait_storecnt_dscnt 0x0
	s_barrier_signal -1
	s_barrier_wait -1
	s_wait_xcnt 0x0
	s_and_saveexec_b32 s2, s0
	s_cbranch_execz .LBB63_566
; %bb.557:
	s_and_not1_b32 vcc_lo, exec_lo, s3
	s_cbranch_vccnz .LBB63_559
; %bb.558:
	scratch_load_b32 v132, v7, off
	ds_load_b32 v133, v1
	s_wait_loadcnt_dscnt 0x0
	v_mul_f32_e32 v132, v132, v133
	s_cbranch_execz .LBB63_560
	s_branch .LBB63_561
.LBB63_559:
                                        ; implicit-def: $vgpr132
.LBB63_560:
	ds_load_b32 v132, v1
.LBB63_561:
	s_and_saveexec_b32 s5, s1
	s_cbranch_execz .LBB63_565
; %bb.562:
	v_add_nc_u32_e32 v133, -7, v0
	s_mov_b32 s1, 28
	s_movk_i32 s9, 0x11c
	s_mov_b32 s8, 0
.LBB63_563:                             ; =>This Inner Loop Header: Depth=1
	scratch_load_b32 v134, off, s1
	v_dual_mov_b32 v135, s9 :: v_dual_add_nc_u32 v133, -1, v133
	s_add_co_i32 s9, s9, 4
	s_wait_xcnt 0x0
	s_add_co_i32 s1, s1, 4
	ds_load_b32 v135, v135
	v_cmp_eq_u32_e32 vcc_lo, 0, v133
	s_or_b32 s8, vcc_lo, s8
	s_wait_loadcnt_dscnt 0x0
	v_fmac_f32_e32 v132, v134, v135
	s_and_not1_b32 exec_lo, exec_lo, s8
	s_cbranch_execnz .LBB63_563
; %bb.564:
	s_or_b32 exec_lo, exec_lo, s8
.LBB63_565:
	s_delay_alu instid0(SALU_CYCLE_1)
	s_or_b32 exec_lo, exec_lo, s5
	v_mov_b32_e32 v133, 0
	ds_load_b32 v133, v133 offset:24
	s_wait_dscnt 0x0
	v_mul_f32_e32 v132, v132, v133
	scratch_store_b32 off, v132, off offset:24
.LBB63_566:
	s_wait_xcnt 0x0
	s_or_b32 exec_lo, exec_lo, s2
	scratch_load_b32 v132, off, off offset:20
	v_cmp_lt_u32_e64 s1, 5, v0
	s_wait_loadcnt 0x0
	ds_store_b32 v1, v132
	s_wait_storecnt_dscnt 0x0
	s_barrier_signal -1
	s_barrier_wait -1
	s_wait_xcnt 0x0
	s_and_saveexec_b32 s2, s1
	s_cbranch_execz .LBB63_576
; %bb.567:
	s_and_not1_b32 vcc_lo, exec_lo, s3
	s_cbranch_vccnz .LBB63_569
; %bb.568:
	scratch_load_b32 v132, v7, off
	ds_load_b32 v133, v1
	s_wait_loadcnt_dscnt 0x0
	v_mul_f32_e32 v132, v132, v133
	s_cbranch_execz .LBB63_570
	s_branch .LBB63_571
.LBB63_569:
                                        ; implicit-def: $vgpr132
.LBB63_570:
	ds_load_b32 v132, v1
.LBB63_571:
	s_and_saveexec_b32 s5, s0
	s_cbranch_execz .LBB63_575
; %bb.572:
	v_add_nc_u32_e32 v133, -6, v0
	s_mov_b32 s0, 24
	s_movk_i32 s9, 0x118
	s_mov_b32 s8, 0
.LBB63_573:                             ; =>This Inner Loop Header: Depth=1
	scratch_load_b32 v134, off, s0
	v_dual_mov_b32 v135, s9 :: v_dual_add_nc_u32 v133, -1, v133
	s_add_co_i32 s9, s9, 4
	s_wait_xcnt 0x0
	s_add_co_i32 s0, s0, 4
	ds_load_b32 v135, v135
	v_cmp_eq_u32_e32 vcc_lo, 0, v133
	s_or_b32 s8, vcc_lo, s8
	s_wait_loadcnt_dscnt 0x0
	v_fmac_f32_e32 v132, v134, v135
	s_and_not1_b32 exec_lo, exec_lo, s8
	s_cbranch_execnz .LBB63_573
; %bb.574:
	s_or_b32 exec_lo, exec_lo, s8
.LBB63_575:
	s_delay_alu instid0(SALU_CYCLE_1)
	s_or_b32 exec_lo, exec_lo, s5
	v_mov_b32_e32 v133, 0
	ds_load_b32 v133, v133 offset:20
	s_wait_dscnt 0x0
	v_mul_f32_e32 v132, v132, v133
	scratch_store_b32 off, v132, off offset:20
.LBB63_576:
	s_wait_xcnt 0x0
	s_or_b32 exec_lo, exec_lo, s2
	scratch_load_b32 v132, off, off offset:16
	v_cmp_lt_u32_e64 s0, 4, v0
	s_wait_loadcnt 0x0
	ds_store_b32 v1, v132
	s_wait_storecnt_dscnt 0x0
	s_barrier_signal -1
	s_barrier_wait -1
	s_wait_xcnt 0x0
	s_and_saveexec_b32 s2, s0
	s_cbranch_execz .LBB63_586
; %bb.577:
	s_and_not1_b32 vcc_lo, exec_lo, s3
	s_cbranch_vccnz .LBB63_579
; %bb.578:
	scratch_load_b32 v132, v7, off
	ds_load_b32 v133, v1
	s_wait_loadcnt_dscnt 0x0
	v_mul_f32_e32 v132, v132, v133
	s_cbranch_execz .LBB63_580
	s_branch .LBB63_581
.LBB63_579:
                                        ; implicit-def: $vgpr132
.LBB63_580:
	ds_load_b32 v132, v1
.LBB63_581:
	s_and_saveexec_b32 s5, s1
	s_cbranch_execz .LBB63_585
; %bb.582:
	v_add_nc_u32_e32 v133, -5, v0
	s_mov_b32 s1, 20
	s_movk_i32 s9, 0x114
	s_mov_b32 s8, 0
.LBB63_583:                             ; =>This Inner Loop Header: Depth=1
	scratch_load_b32 v134, off, s1
	v_dual_mov_b32 v135, s9 :: v_dual_add_nc_u32 v133, -1, v133
	s_add_co_i32 s9, s9, 4
	s_wait_xcnt 0x0
	s_add_co_i32 s1, s1, 4
	ds_load_b32 v135, v135
	v_cmp_eq_u32_e32 vcc_lo, 0, v133
	s_or_b32 s8, vcc_lo, s8
	s_wait_loadcnt_dscnt 0x0
	v_fmac_f32_e32 v132, v134, v135
	s_and_not1_b32 exec_lo, exec_lo, s8
	s_cbranch_execnz .LBB63_583
; %bb.584:
	s_or_b32 exec_lo, exec_lo, s8
.LBB63_585:
	s_delay_alu instid0(SALU_CYCLE_1)
	s_or_b32 exec_lo, exec_lo, s5
	v_mov_b32_e32 v133, 0
	ds_load_b32 v133, v133 offset:16
	s_wait_dscnt 0x0
	v_mul_f32_e32 v132, v132, v133
	scratch_store_b32 off, v132, off offset:16
.LBB63_586:
	s_wait_xcnt 0x0
	s_or_b32 exec_lo, exec_lo, s2
	scratch_load_b32 v132, off, off offset:12
	v_cmp_lt_u32_e64 s2, 3, v0
	s_wait_loadcnt 0x0
	ds_store_b32 v1, v132
	s_wait_storecnt_dscnt 0x0
	s_barrier_signal -1
	s_barrier_wait -1
	s_wait_xcnt 0x0
	s_and_saveexec_b32 s1, s2
	s_cbranch_execz .LBB63_596
; %bb.587:
	s_and_not1_b32 vcc_lo, exec_lo, s3
	s_cbranch_vccnz .LBB63_589
; %bb.588:
	scratch_load_b32 v132, v7, off
	ds_load_b32 v133, v1
	s_wait_loadcnt_dscnt 0x0
	v_mul_f32_e32 v132, v132, v133
	s_cbranch_execz .LBB63_590
	s_branch .LBB63_591
.LBB63_589:
                                        ; implicit-def: $vgpr132
.LBB63_590:
	ds_load_b32 v132, v1
.LBB63_591:
	s_and_saveexec_b32 s5, s0
	s_cbranch_execz .LBB63_595
; %bb.592:
	v_add_nc_u32_e32 v133, -4, v0
	s_movk_i32 s8, 0x110
	s_mov_b32 s0, 0
.LBB63_593:                             ; =>This Inner Loop Header: Depth=1
	scratch_load_b32 v134, off, s4
	v_dual_mov_b32 v135, s8 :: v_dual_add_nc_u32 v133, -1, v133
	s_add_co_i32 s8, s8, 4
	s_wait_xcnt 0x0
	s_add_co_i32 s4, s4, 4
	ds_load_b32 v135, v135
	v_cmp_eq_u32_e32 vcc_lo, 0, v133
	s_or_b32 s0, vcc_lo, s0
	s_wait_loadcnt_dscnt 0x0
	v_fmac_f32_e32 v132, v134, v135
	s_and_not1_b32 exec_lo, exec_lo, s0
	s_cbranch_execnz .LBB63_593
; %bb.594:
	s_or_b32 exec_lo, exec_lo, s0
.LBB63_595:
	s_delay_alu instid0(SALU_CYCLE_1)
	s_or_b32 exec_lo, exec_lo, s5
	v_mov_b32_e32 v133, 0
	ds_load_b32 v133, v133 offset:12
	s_wait_dscnt 0x0
	v_mul_f32_e32 v132, v132, v133
	scratch_store_b32 off, v132, off offset:12
.LBB63_596:
	s_wait_xcnt 0x0
	s_or_b32 exec_lo, exec_lo, s1
	scratch_load_b32 v132, off, off offset:8
	v_cmp_lt_u32_e64 s1, 2, v0
	s_wait_loadcnt 0x0
	ds_store_b32 v1, v132
	s_wait_storecnt_dscnt 0x0
	s_barrier_signal -1
	s_barrier_wait -1
	s_wait_xcnt 0x0
	s_and_saveexec_b32 s0, s1
	s_cbranch_execz .LBB63_606
; %bb.597:
	s_and_not1_b32 vcc_lo, exec_lo, s3
	s_cbranch_vccnz .LBB63_599
; %bb.598:
	scratch_load_b32 v132, v7, off
	ds_load_b32 v133, v1
	s_wait_loadcnt_dscnt 0x0
	v_mul_f32_e32 v132, v132, v133
	s_cbranch_execz .LBB63_600
	s_branch .LBB63_601
.LBB63_599:
                                        ; implicit-def: $vgpr132
.LBB63_600:
	ds_load_b32 v132, v1
.LBB63_601:
	s_and_saveexec_b32 s4, s2
	s_cbranch_execz .LBB63_605
; %bb.602:
	v_add_nc_u32_e32 v133, -3, v0
	s_or_b32 s2, 0, 12
	s_movk_i32 s8, 0x10c
	s_mov_b32 s5, 0
.LBB63_603:                             ; =>This Inner Loop Header: Depth=1
	scratch_load_b32 v134, off, s2
	v_dual_mov_b32 v135, s8 :: v_dual_add_nc_u32 v133, -1, v133
	s_add_co_i32 s8, s8, 4
	s_wait_xcnt 0x0
	s_add_co_i32 s2, s2, 4
	ds_load_b32 v135, v135
	v_cmp_eq_u32_e32 vcc_lo, 0, v133
	s_or_b32 s5, vcc_lo, s5
	s_wait_loadcnt_dscnt 0x0
	v_fmac_f32_e32 v132, v134, v135
	s_and_not1_b32 exec_lo, exec_lo, s5
	s_cbranch_execnz .LBB63_603
; %bb.604:
	s_or_b32 exec_lo, exec_lo, s5
.LBB63_605:
	s_delay_alu instid0(SALU_CYCLE_1)
	s_or_b32 exec_lo, exec_lo, s4
	v_mov_b32_e32 v133, 0
	ds_load_b32 v133, v133 offset:8
	s_wait_dscnt 0x0
	v_mul_f32_e32 v132, v132, v133
	scratch_store_b32 off, v132, off offset:8
.LBB63_606:
	s_wait_xcnt 0x0
	s_or_b32 exec_lo, exec_lo, s0
	scratch_load_b32 v132, off, off offset:4
	v_cmp_lt_u32_e64 s0, 1, v0
	s_wait_loadcnt 0x0
	ds_store_b32 v1, v132
	s_wait_storecnt_dscnt 0x0
	s_barrier_signal -1
	s_barrier_wait -1
	s_wait_xcnt 0x0
	s_and_saveexec_b32 s2, s0
	s_cbranch_execz .LBB63_616
; %bb.607:
	s_and_not1_b32 vcc_lo, exec_lo, s3
	s_cbranch_vccnz .LBB63_609
; %bb.608:
	scratch_load_b32 v132, v7, off
	ds_load_b32 v133, v1
	s_wait_loadcnt_dscnt 0x0
	v_mul_f32_e32 v132, v132, v133
	s_cbranch_execz .LBB63_610
	s_branch .LBB63_611
.LBB63_609:
                                        ; implicit-def: $vgpr132
.LBB63_610:
	ds_load_b32 v132, v1
.LBB63_611:
	s_and_saveexec_b32 s4, s1
	s_cbranch_execz .LBB63_615
; %bb.612:
	v_add_nc_u32_e32 v133, -2, v0
	s_or_b32 s1, 0, 8
	s_movk_i32 s8, 0x108
	s_mov_b32 s5, 0
.LBB63_613:                             ; =>This Inner Loop Header: Depth=1
	scratch_load_b32 v134, off, s1
	v_dual_mov_b32 v135, s8 :: v_dual_add_nc_u32 v133, -1, v133
	s_add_co_i32 s8, s8, 4
	s_wait_xcnt 0x0
	s_add_co_i32 s1, s1, 4
	ds_load_b32 v135, v135
	v_cmp_eq_u32_e32 vcc_lo, 0, v133
	s_or_b32 s5, vcc_lo, s5
	s_wait_loadcnt_dscnt 0x0
	v_fmac_f32_e32 v132, v134, v135
	s_and_not1_b32 exec_lo, exec_lo, s5
	s_cbranch_execnz .LBB63_613
; %bb.614:
	s_or_b32 exec_lo, exec_lo, s5
.LBB63_615:
	s_delay_alu instid0(SALU_CYCLE_1)
	s_or_b32 exec_lo, exec_lo, s4
	v_mov_b32_e32 v133, 0
	ds_load_b32 v133, v133 offset:4
	s_wait_dscnt 0x0
	v_mul_f32_e32 v132, v132, v133
	scratch_store_b32 off, v132, off offset:4
.LBB63_616:
	s_wait_xcnt 0x0
	s_or_b32 exec_lo, exec_lo, s2
	scratch_load_b32 v132, off, off
	s_mov_b32 s1, 0
	s_mov_b32 s2, exec_lo
	s_wait_loadcnt 0x0
	ds_store_b32 v1, v132
	s_wait_storecnt_dscnt 0x0
	s_barrier_signal -1
	s_barrier_wait -1
	s_wait_xcnt 0x0
	v_cmpx_ne_u32_e32 0, v0
	s_cbranch_execz .LBB63_626
; %bb.617:
	s_and_not1_b32 vcc_lo, exec_lo, s3
	s_cbranch_vccnz .LBB63_619
; %bb.618:
	scratch_load_b32 v132, v7, off
	ds_load_b32 v133, v1
	s_wait_loadcnt_dscnt 0x0
	v_mul_f32_e32 v132, v132, v133
	s_cbranch_execz .LBB63_620
	s_branch .LBB63_621
.LBB63_619:
                                        ; implicit-def: $vgpr132
.LBB63_620:
	ds_load_b32 v132, v1
.LBB63_621:
	s_and_saveexec_b32 s4, s0
	s_cbranch_execz .LBB63_625
; %bb.622:
	v_add_nc_u32_e32 v133, -1, v0
	s_or_b32 s0, 0, 4
	s_movk_i32 s8, 0x104
	s_mov_b32 s5, 0
.LBB63_623:                             ; =>This Inner Loop Header: Depth=1
	scratch_load_b32 v134, off, s0
	v_dual_mov_b32 v135, s8 :: v_dual_add_nc_u32 v133, -1, v133
	s_add_co_i32 s8, s8, 4
	s_wait_xcnt 0x0
	s_add_co_i32 s0, s0, 4
	ds_load_b32 v135, v135
	v_cmp_eq_u32_e32 vcc_lo, 0, v133
	s_or_b32 s5, vcc_lo, s5
	s_wait_loadcnt_dscnt 0x0
	v_fmac_f32_e32 v132, v134, v135
	s_and_not1_b32 exec_lo, exec_lo, s5
	s_cbranch_execnz .LBB63_623
; %bb.624:
	s_or_b32 exec_lo, exec_lo, s5
.LBB63_625:
	s_delay_alu instid0(SALU_CYCLE_1)
	s_or_b32 exec_lo, exec_lo, s4
	v_mov_b32_e32 v133, 0
	ds_load_b32 v133, v133
	s_wait_dscnt 0x0
	v_mul_f32_e32 v132, v132, v133
	scratch_store_b32 off, v132, off
.LBB63_626:
	s_wait_xcnt 0x0
	s_or_b32 exec_lo, exec_lo, s2
.LBB63_627:
	v_lshl_add_u64 v[160:161], v[8:9], 2, s[6:7]
	v_lshl_add_u64 v[162:163], v[10:11], 2, s[6:7]
	v_lshl_add_u64 v[156:157], v[12:13], 2, s[6:7]
	v_lshl_add_u64 v[158:159], v[14:15], 2, s[6:7]
	v_lshl_add_u64 v[152:153], v[16:17], 2, s[6:7]
	v_lshl_add_u64 v[154:155], v[18:19], 2, s[6:7]
	v_lshl_add_u64 v[148:149], v[20:21], 2, s[6:7]
	v_lshl_add_u64 v[150:151], v[22:23], 2, s[6:7]
	v_lshl_add_u64 v[144:145], v[24:25], 2, s[6:7]
	v_lshl_add_u64 v[146:147], v[26:27], 2, s[6:7]
	v_lshl_add_u64 v[140:141], v[28:29], 2, s[6:7]
	v_lshl_add_u64 v[142:143], v[30:31], 2, s[6:7]
	v_lshl_add_u64 v[136:137], v[32:33], 2, s[6:7]
	v_lshl_add_u64 v[138:139], v[34:35], 2, s[6:7]
	v_lshl_add_u64 v[132:133], v[36:37], 2, s[6:7]
	v_lshl_add_u64 v[134:135], v[38:39], 2, s[6:7]
	v_lshl_add_u64 v[8:9], v[40:41], 2, s[6:7]
	v_lshl_add_u64 v[10:11], v[42:43], 2, s[6:7]
	v_lshl_add_u64 v[12:13], v[44:45], 2, s[6:7]
	v_lshl_add_u64 v[14:15], v[46:47], 2, s[6:7]
	v_lshl_add_u64 v[16:17], v[48:49], 2, s[6:7]
	v_lshl_add_u64 v[18:19], v[50:51], 2, s[6:7]
	v_lshl_add_u64 v[20:21], v[52:53], 2, s[6:7]
	v_lshl_add_u64 v[22:23], v[54:55], 2, s[6:7]
	v_lshl_add_u64 v[24:25], v[56:57], 2, s[6:7]
	v_lshl_add_u64 v[26:27], v[58:59], 2, s[6:7]
	v_lshl_add_u64 v[28:29], v[60:61], 2, s[6:7]
	v_lshl_add_u64 v[30:31], v[62:63], 2, s[6:7]
	v_lshl_add_u64 v[32:33], v[64:65], 2, s[6:7]
	v_lshl_add_u64 v[34:35], v[66:67], 2, s[6:7]
	v_lshl_add_u64 v[36:37], v[68:69], 2, s[6:7]
	v_lshl_add_u64 v[38:39], v[70:71], 2, s[6:7]
	v_lshl_add_u64 v[40:41], v[72:73], 2, s[6:7]
	v_lshl_add_u64 v[42:43], v[74:75], 2, s[6:7]
	v_lshl_add_u64 v[44:45], v[76:77], 2, s[6:7]
	v_lshl_add_u64 v[46:47], v[78:79], 2, s[6:7]
	v_lshl_add_u64 v[48:49], v[80:81], 2, s[6:7]
	v_lshl_add_u64 v[50:51], v[82:83], 2, s[6:7]
	v_lshl_add_u64 v[52:53], v[84:85], 2, s[6:7]
	v_lshl_add_u64 v[54:55], v[86:87], 2, s[6:7]
	v_lshl_add_u64 v[56:57], v[88:89], 2, s[6:7]
	v_lshl_add_u64 v[58:59], v[90:91], 2, s[6:7]
	v_lshl_add_u64 v[60:61], v[92:93], 2, s[6:7]
	v_lshl_add_u64 v[62:63], v[94:95], 2, s[6:7]
	v_lshl_add_u64 v[64:65], v[96:97], 2, s[6:7]
	v_lshl_add_u64 v[66:67], v[98:99], 2, s[6:7]
	v_lshl_add_u64 v[68:69], v[100:101], 2, s[6:7]
	v_lshl_add_u64 v[70:71], v[102:103], 2, s[6:7]
	v_lshl_add_u64 v[72:73], v[104:105], 2, s[6:7]
	v_lshl_add_u64 v[74:75], v[106:107], 2, s[6:7]
	v_lshl_add_u64 v[76:77], v[108:109], 2, s[6:7]
	v_lshl_add_u64 v[78:79], v[110:111], 2, s[6:7]
	v_lshl_add_u64 v[80:81], v[112:113], 2, s[6:7]
	v_lshl_add_u64 v[82:83], v[114:115], 2, s[6:7]
	v_lshl_add_u64 v[84:85], v[116:117], 2, s[6:7]
	v_lshl_add_u64 v[86:87], v[118:119], 2, s[6:7]
	v_lshl_add_u64 v[88:89], v[120:121], 2, s[6:7]
	v_lshl_add_u64 v[90:91], v[122:123], 2, s[6:7]
	v_lshl_add_u64 v[92:93], v[124:125], 2, s[6:7]
	v_lshl_add_u64 v[94:95], v[126:127], 2, s[6:7]
	v_lshl_add_u64 v[96:97], v[128:129], 2, s[6:7]
	v_lshl_add_u64 v[98:99], v[130:131], 2, s[6:7]
	s_and_b32 vcc_lo, exec_lo, s1
	s_cbranch_vccz .LBB63_1249
; %bb.628:
	scratch_load_b32 v100, off, off offset:4
	v_cmp_eq_u32_e64 s0, 0, v0
	s_wait_loadcnt 0x0
	ds_store_b32 v1, v100
	s_wait_storecnt_dscnt 0x0
	s_barrier_signal -1
	s_barrier_wait -1
	s_wait_xcnt 0x0
	s_and_saveexec_b32 s1, s0
	s_cbranch_execz .LBB63_634
; %bb.629:
	s_and_b32 vcc_lo, exec_lo, s3
	s_cbranch_vccz .LBB63_631
; %bb.630:
	scratch_load_b32 v100, v7, off
	ds_load_b32 v101, v1
	s_wait_loadcnt_dscnt 0x0
	v_mul_f32_e32 v100, v100, v101
	s_cbranch_execz .LBB63_632
	s_branch .LBB63_633
.LBB63_631:
                                        ; implicit-def: $vgpr100
.LBB63_632:
	ds_load_b32 v100, v1
.LBB63_633:
	v_mov_b32_e32 v101, 0
	ds_load_b32 v101, v101 offset:4
	s_wait_dscnt 0x0
	v_mul_f32_e32 v100, v100, v101
	scratch_store_b32 off, v100, off offset:4
.LBB63_634:
	s_wait_xcnt 0x0
	s_or_b32 exec_lo, exec_lo, s1
	scratch_load_b32 v101, off, off offset:8
	v_cndmask_b32_e64 v100, 0, 1, s3
	s_mov_b32 s1, exec_lo
	s_wait_loadcnt 0x0
	ds_store_b32 v1, v101
	s_wait_storecnt_dscnt 0x0
	s_barrier_signal -1
	s_barrier_wait -1
	s_wait_xcnt 0x0
	v_cmpx_gt_u32_e32 2, v0
	s_cbranch_execz .LBB63_640
; %bb.635:
	s_and_not1_b32 vcc_lo, exec_lo, s3
	s_cbranch_vccnz .LBB63_637
; %bb.636:
	scratch_load_b32 v101, v7, off
	ds_load_b32 v102, v1
	s_wait_loadcnt_dscnt 0x0
	v_mul_f32_e32 v101, v101, v102
	s_cbranch_execz .LBB63_638
	s_branch .LBB63_639
.LBB63_637:
                                        ; implicit-def: $vgpr101
.LBB63_638:
	ds_load_b32 v101, v1
.LBB63_639:
	scratch_load_b32 v104, off, off offset:4
	v_mov_b32_e32 v102, 0
	ds_load_2addr_b32 v[102:103], v102 offset0:2 offset1:65
	s_wait_loadcnt_dscnt 0x0
	v_fma_f32 v103, v104, v103, v101
	s_delay_alu instid0(VALU_DEP_1) | instskip(NEXT) | instid1(VALU_DEP_1)
	v_cndmask_b32_e64 v101, v101, v103, s0
	v_mul_f32_e32 v101, v101, v102
	scratch_store_b32 off, v101, off offset:8
.LBB63_640:
	s_wait_xcnt 0x0
	s_or_b32 exec_lo, exec_lo, s1
	scratch_load_b32 v101, off, off offset:12
	s_mov_b32 s1, exec_lo
	s_wait_loadcnt 0x0
	ds_store_b32 v1, v101
	s_wait_storecnt_dscnt 0x0
	s_barrier_signal -1
	s_barrier_wait -1
	s_wait_xcnt 0x0
	v_cmpx_gt_u32_e32 3, v0
	s_cbranch_execz .LBB63_648
; %bb.641:
	v_cmp_ne_u32_e32 vcc_lo, 1, v100
	s_cbranch_vccnz .LBB63_643
; %bb.642:
	scratch_load_b32 v101, v7, off
	ds_load_b32 v102, v1
	s_wait_loadcnt_dscnt 0x0
	v_mul_f32_e32 v101, v101, v102
	s_cbranch_execz .LBB63_644
	s_branch .LBB63_645
.LBB63_643:
                                        ; implicit-def: $vgpr101
.LBB63_644:
	ds_load_b32 v101, v1
.LBB63_645:
	s_mov_b32 s2, exec_lo
	v_cmpx_ne_u32_e32 2, v0
	s_cbranch_execz .LBB63_647
; %bb.646:
	scratch_load_b32 v102, v7, off offset:4
	scratch_load_b32 v103, off, off offset:8
	ds_load_b32 v104, v1 offset:4
	v_mov_b32_e32 v105, 0
	ds_load_b32 v105, v105 offset:264
	s_wait_loadcnt_dscnt 0x101
	v_fmac_f32_e32 v101, v102, v104
	s_wait_loadcnt_dscnt 0x0
	s_delay_alu instid0(VALU_DEP_1) | instskip(NEXT) | instid1(VALU_DEP_1)
	v_fma_f32 v102, v103, v105, v101
	v_cndmask_b32_e64 v101, v101, v102, s0
.LBB63_647:
	s_or_b32 exec_lo, exec_lo, s2
	v_mov_b32_e32 v102, 0
	ds_load_b32 v102, v102 offset:12
	s_wait_dscnt 0x0
	v_mul_f32_e32 v101, v101, v102
	scratch_store_b32 off, v101, off offset:12
.LBB63_648:
	s_wait_xcnt 0x0
	s_or_b32 exec_lo, exec_lo, s1
	scratch_load_b32 v101, off, off offset:16
	s_mov_b32 s0, exec_lo
	s_wait_loadcnt 0x0
	ds_store_b32 v1, v101
	s_wait_storecnt_dscnt 0x0
	s_barrier_signal -1
	s_barrier_wait -1
	s_wait_xcnt 0x0
	v_cmpx_gt_u32_e32 4, v0
	s_cbranch_execz .LBB63_658
; %bb.649:
	v_cmp_ne_u32_e32 vcc_lo, 1, v100
	s_cbranch_vccnz .LBB63_651
; %bb.650:
	scratch_load_b32 v101, v7, off
	ds_load_b32 v102, v1
	s_wait_loadcnt_dscnt 0x0
	v_mul_f32_e32 v101, v101, v102
	s_cbranch_execz .LBB63_652
	s_branch .LBB63_653
.LBB63_651:
                                        ; implicit-def: $vgpr101
.LBB63_652:
	ds_load_b32 v101, v1
.LBB63_653:
	s_mov_b32 s1, exec_lo
	v_cmpx_ne_u32_e32 3, v0
	s_cbranch_execz .LBB63_657
; %bb.654:
	v_add_nc_u32_e32 v102, 0x104, v6
	v_add3_u32 v103, 0, v6, 4
	v_mov_b32_e32 v104, v0
	s_mov_b32 s2, 0
.LBB63_655:                             ; =>This Inner Loop Header: Depth=1
	scratch_load_b32 v105, v103, off
	ds_load_b32 v106, v102
	v_dual_add_nc_u32 v104, 1, v104 :: v_dual_add_nc_u32 v102, 4, v102
	s_wait_xcnt 0x0
	v_add_nc_u32_e32 v103, 4, v103
	s_delay_alu instid0(VALU_DEP_2)
	v_cmp_lt_u32_e32 vcc_lo, 2, v104
	s_or_b32 s2, vcc_lo, s2
	s_wait_loadcnt_dscnt 0x0
	v_fmac_f32_e32 v101, v105, v106
	s_and_not1_b32 exec_lo, exec_lo, s2
	s_cbranch_execnz .LBB63_655
; %bb.656:
	s_or_b32 exec_lo, exec_lo, s2
.LBB63_657:
	s_delay_alu instid0(SALU_CYCLE_1)
	s_or_b32 exec_lo, exec_lo, s1
	v_mov_b32_e32 v102, 0
	ds_load_b32 v102, v102 offset:16
	s_wait_dscnt 0x0
	v_mul_f32_e32 v101, v101, v102
	scratch_store_b32 off, v101, off offset:16
.LBB63_658:
	s_wait_xcnt 0x0
	s_or_b32 exec_lo, exec_lo, s0
	scratch_load_b32 v101, off, off offset:20
	s_mov_b32 s0, exec_lo
	s_wait_loadcnt 0x0
	ds_store_b32 v1, v101
	s_wait_storecnt_dscnt 0x0
	s_barrier_signal -1
	s_barrier_wait -1
	s_wait_xcnt 0x0
	v_cmpx_gt_u32_e32 5, v0
	s_cbranch_execz .LBB63_668
; %bb.659:
	v_cmp_ne_u32_e32 vcc_lo, 1, v100
	s_cbranch_vccnz .LBB63_661
; %bb.660:
	scratch_load_b32 v101, v7, off
	ds_load_b32 v102, v1
	s_wait_loadcnt_dscnt 0x0
	v_mul_f32_e32 v101, v101, v102
	s_cbranch_execz .LBB63_662
	s_branch .LBB63_663
.LBB63_661:
                                        ; implicit-def: $vgpr101
.LBB63_662:
	ds_load_b32 v101, v1
.LBB63_663:
	s_mov_b32 s1, exec_lo
	v_cmpx_ne_u32_e32 4, v0
	s_cbranch_execz .LBB63_667
; %bb.664:
	v_add_nc_u32_e32 v102, 0x104, v6
	v_add3_u32 v103, 0, v6, 4
	v_mov_b32_e32 v104, v0
	s_mov_b32 s2, 0
.LBB63_665:                             ; =>This Inner Loop Header: Depth=1
	scratch_load_b32 v105, v103, off
	ds_load_b32 v106, v102
	v_dual_add_nc_u32 v104, 1, v104 :: v_dual_add_nc_u32 v102, 4, v102
	s_wait_xcnt 0x0
	v_add_nc_u32_e32 v103, 4, v103
	s_delay_alu instid0(VALU_DEP_2)
	v_cmp_lt_u32_e32 vcc_lo, 3, v104
	s_or_b32 s2, vcc_lo, s2
	s_wait_loadcnt_dscnt 0x0
	v_fmac_f32_e32 v101, v105, v106
	s_and_not1_b32 exec_lo, exec_lo, s2
	s_cbranch_execnz .LBB63_665
; %bb.666:
	s_or_b32 exec_lo, exec_lo, s2
.LBB63_667:
	s_delay_alu instid0(SALU_CYCLE_1)
	s_or_b32 exec_lo, exec_lo, s1
	v_mov_b32_e32 v102, 0
	ds_load_b32 v102, v102 offset:20
	s_wait_dscnt 0x0
	v_mul_f32_e32 v101, v101, v102
	scratch_store_b32 off, v101, off offset:20
.LBB63_668:
	;; [unrolled: 59-line block ×35, first 2 shown]
	s_wait_xcnt 0x0
	s_or_b32 exec_lo, exec_lo, s0
	scratch_load_b32 v101, off, off offset:156
	s_mov_b32 s0, exec_lo
	s_wait_loadcnt 0x0
	ds_store_b32 v1, v101
	s_wait_storecnt_dscnt 0x0
	s_barrier_signal -1
	s_barrier_wait -1
	s_wait_xcnt 0x0
	v_cmpx_gt_u32_e32 39, v0
	s_cbranch_execz .LBB63_1008
; %bb.999:
	v_cmp_ne_u32_e32 vcc_lo, 1, v100
	s_cbranch_vccnz .LBB63_1001
; %bb.1000:
	scratch_load_b32 v101, v7, off
	ds_load_b32 v102, v1
	s_wait_loadcnt_dscnt 0x0
	v_mul_f32_e32 v101, v101, v102
	s_cbranch_execz .LBB63_1002
	s_branch .LBB63_1003
.LBB63_1001:
                                        ; implicit-def: $vgpr101
.LBB63_1002:
	ds_load_b32 v101, v1
.LBB63_1003:
	s_mov_b32 s1, exec_lo
	v_cmpx_ne_u32_e32 38, v0
	s_cbranch_execz .LBB63_1007
; %bb.1004:
	v_add_nc_u32_e32 v102, 0x104, v6
	v_add3_u32 v103, 0, v6, 4
	v_mov_b32_e32 v104, v0
	s_mov_b32 s2, 0
.LBB63_1005:                            ; =>This Inner Loop Header: Depth=1
	scratch_load_b32 v105, v103, off
	ds_load_b32 v106, v102
	v_dual_add_nc_u32 v104, 1, v104 :: v_dual_add_nc_u32 v102, 4, v102
	s_wait_xcnt 0x0
	v_add_nc_u32_e32 v103, 4, v103
	s_delay_alu instid0(VALU_DEP_2)
	v_cmp_lt_u32_e32 vcc_lo, 37, v104
	s_or_b32 s2, vcc_lo, s2
	s_wait_loadcnt_dscnt 0x0
	v_fmac_f32_e32 v101, v105, v106
	s_and_not1_b32 exec_lo, exec_lo, s2
	s_cbranch_execnz .LBB63_1005
; %bb.1006:
	s_or_b32 exec_lo, exec_lo, s2
.LBB63_1007:
	s_delay_alu instid0(SALU_CYCLE_1)
	s_or_b32 exec_lo, exec_lo, s1
	v_mov_b32_e32 v102, 0
	ds_load_b32 v102, v102 offset:156
	s_wait_dscnt 0x0
	v_mul_f32_e32 v101, v101, v102
	scratch_store_b32 off, v101, off offset:156
.LBB63_1008:
	s_wait_xcnt 0x0
	s_or_b32 exec_lo, exec_lo, s0
	scratch_load_b32 v101, off, off offset:160
	s_mov_b32 s0, exec_lo
	s_wait_loadcnt 0x0
	ds_store_b32 v1, v101
	s_wait_storecnt_dscnt 0x0
	s_barrier_signal -1
	s_barrier_wait -1
	s_wait_xcnt 0x0
	v_cmpx_gt_u32_e32 40, v0
	s_cbranch_execz .LBB63_1018
; %bb.1009:
	v_cmp_ne_u32_e32 vcc_lo, 1, v100
	s_cbranch_vccnz .LBB63_1011
; %bb.1010:
	scratch_load_b32 v101, v7, off
	ds_load_b32 v102, v1
	s_wait_loadcnt_dscnt 0x0
	v_mul_f32_e32 v101, v101, v102
	s_cbranch_execz .LBB63_1012
	s_branch .LBB63_1013
.LBB63_1011:
                                        ; implicit-def: $vgpr101
.LBB63_1012:
	ds_load_b32 v101, v1
.LBB63_1013:
	s_mov_b32 s1, exec_lo
	v_cmpx_ne_u32_e32 39, v0
	s_cbranch_execz .LBB63_1017
; %bb.1014:
	v_add_nc_u32_e32 v102, 0x104, v6
	v_add3_u32 v103, 0, v6, 4
	v_mov_b32_e32 v104, v0
	s_mov_b32 s2, 0
.LBB63_1015:                            ; =>This Inner Loop Header: Depth=1
	scratch_load_b32 v105, v103, off
	ds_load_b32 v106, v102
	v_dual_add_nc_u32 v104, 1, v104 :: v_dual_add_nc_u32 v102, 4, v102
	s_wait_xcnt 0x0
	v_add_nc_u32_e32 v103, 4, v103
	s_delay_alu instid0(VALU_DEP_2)
	v_cmp_lt_u32_e32 vcc_lo, 38, v104
	s_or_b32 s2, vcc_lo, s2
	s_wait_loadcnt_dscnt 0x0
	v_fmac_f32_e32 v101, v105, v106
	s_and_not1_b32 exec_lo, exec_lo, s2
	s_cbranch_execnz .LBB63_1015
; %bb.1016:
	s_or_b32 exec_lo, exec_lo, s2
.LBB63_1017:
	s_delay_alu instid0(SALU_CYCLE_1)
	s_or_b32 exec_lo, exec_lo, s1
	v_mov_b32_e32 v102, 0
	ds_load_b32 v102, v102 offset:160
	s_wait_dscnt 0x0
	v_mul_f32_e32 v101, v101, v102
	scratch_store_b32 off, v101, off offset:160
.LBB63_1018:
	;; [unrolled: 59-line block ×23, first 2 shown]
	s_wait_xcnt 0x0
	s_or_b32 exec_lo, exec_lo, s0
	scratch_load_b32 v101, off, off offset:248
	v_cmp_gt_u32_e64 s0, 62, v0
	s_wait_loadcnt 0x0
	ds_store_b32 v1, v101
	s_wait_storecnt_dscnt 0x0
	s_barrier_signal -1
	s_barrier_wait -1
	s_wait_xcnt 0x0
	s_and_saveexec_b32 s1, s0
	s_cbranch_execz .LBB63_1238
; %bb.1229:
	v_cmp_ne_u32_e32 vcc_lo, 1, v100
	s_cbranch_vccnz .LBB63_1231
; %bb.1230:
	scratch_load_b32 v101, v7, off
	ds_load_b32 v102, v1
	s_wait_loadcnt_dscnt 0x0
	v_mul_f32_e32 v101, v101, v102
	s_cbranch_execz .LBB63_1232
	s_branch .LBB63_1233
.LBB63_1231:
                                        ; implicit-def: $vgpr101
.LBB63_1232:
	ds_load_b32 v101, v1
.LBB63_1233:
	s_mov_b32 s2, exec_lo
	v_cmpx_ne_u32_e32 61, v0
	s_cbranch_execz .LBB63_1237
; %bb.1234:
	v_add_nc_u32_e32 v102, 0x104, v6
	v_add3_u32 v103, 0, v6, 4
	v_mov_b32_e32 v104, v0
	s_mov_b32 s3, 0
.LBB63_1235:                            ; =>This Inner Loop Header: Depth=1
	scratch_load_b32 v105, v103, off
	ds_load_b32 v106, v102
	v_dual_add_nc_u32 v104, 1, v104 :: v_dual_add_nc_u32 v102, 4, v102
	s_wait_xcnt 0x0
	v_add_nc_u32_e32 v103, 4, v103
	s_delay_alu instid0(VALU_DEP_2)
	v_cmp_lt_u32_e32 vcc_lo, 60, v104
	s_or_b32 s3, vcc_lo, s3
	s_wait_loadcnt_dscnt 0x0
	v_fmac_f32_e32 v101, v105, v106
	s_and_not1_b32 exec_lo, exec_lo, s3
	s_cbranch_execnz .LBB63_1235
; %bb.1236:
	s_or_b32 exec_lo, exec_lo, s3
.LBB63_1237:
	s_delay_alu instid0(SALU_CYCLE_1)
	s_or_b32 exec_lo, exec_lo, s2
	v_mov_b32_e32 v102, 0
	ds_load_b32 v102, v102 offset:248
	s_wait_dscnt 0x0
	v_mul_f32_e32 v101, v101, v102
	scratch_store_b32 off, v101, off offset:248
.LBB63_1238:
	s_wait_xcnt 0x0
	s_or_b32 exec_lo, exec_lo, s1
	scratch_load_b32 v101, off, off offset:252
	s_mov_b32 s1, exec_lo
	s_wait_loadcnt 0x0
	ds_store_b32 v1, v101
	s_wait_storecnt_dscnt 0x0
	s_barrier_signal -1
	s_barrier_wait -1
	s_wait_xcnt 0x0
	v_cmpx_ne_u32_e32 63, v0
	s_cbranch_execz .LBB63_1248
; %bb.1239:
	v_cmp_ne_u32_e32 vcc_lo, 1, v100
	s_cbranch_vccnz .LBB63_1241
; %bb.1240:
	scratch_load_b32 v7, v7, off
	ds_load_b32 v100, v1
	s_wait_loadcnt_dscnt 0x0
	v_mul_f32_e32 v7, v7, v100
	s_cbranch_execz .LBB63_1242
	s_branch .LBB63_1243
.LBB63_1241:
                                        ; implicit-def: $vgpr7
.LBB63_1242:
	ds_load_b32 v7, v1
.LBB63_1243:
	s_and_saveexec_b32 s2, s0
	s_cbranch_execz .LBB63_1247
; %bb.1244:
	v_add_nc_u32_e32 v1, 0x104, v6
	v_add3_u32 v6, 0, v6, 4
	s_mov_b32 s0, 0
.LBB63_1245:                            ; =>This Inner Loop Header: Depth=1
	scratch_load_b32 v100, v6, off
	ds_load_b32 v101, v1
	v_dual_add_nc_u32 v0, 1, v0 :: v_dual_add_nc_u32 v1, 4, v1
	s_wait_xcnt 0x0
	v_add_nc_u32_e32 v6, 4, v6
	s_delay_alu instid0(VALU_DEP_2)
	v_cmp_lt_u32_e32 vcc_lo, 61, v0
	s_or_b32 s0, vcc_lo, s0
	s_wait_loadcnt_dscnt 0x0
	v_fmac_f32_e32 v7, v100, v101
	s_and_not1_b32 exec_lo, exec_lo, s0
	s_cbranch_execnz .LBB63_1245
; %bb.1246:
	s_or_b32 exec_lo, exec_lo, s0
.LBB63_1247:
	s_delay_alu instid0(SALU_CYCLE_1)
	s_or_b32 exec_lo, exec_lo, s2
	v_mov_b32_e32 v0, 0
	ds_load_b32 v0, v0 offset:252
	s_wait_dscnt 0x0
	v_mul_f32_e32 v0, v7, v0
	scratch_store_b32 off, v0, off offset:252
.LBB63_1248:
	s_wait_xcnt 0x0
	s_or_b32 exec_lo, exec_lo, s1
.LBB63_1249:
	s_clause 0x2
	scratch_load_b128 v[100:103], off, off
	scratch_load_b128 v[104:107], off, off offset:16
	scratch_load_b128 v[108:111], off, off offset:32
	s_wait_loadcnt 0x2
	s_clause 0x1
	global_store_b32 v[2:3], v100, off
	global_store_b32 v[4:5], v101, off
	scratch_load_b128 v[0:3], off, off offset:48
	s_clause 0x1
	global_store_b32 v[160:161], v102, off
	global_store_b32 v[162:163], v103, off
	s_clause 0x1
	scratch_load_b128 v[4:7], off, off offset:64
	scratch_load_b128 v[100:103], off, off offset:80
	s_wait_loadcnt 0x4
	s_clause 0x1
	global_store_b32 v[156:157], v104, off
	global_store_b32 v[158:159], v105, off
	scratch_load_b128 v[112:115], off, off offset:96
	s_clause 0x1
	global_store_b32 v[152:153], v106, off
	global_store_b32 v[154:155], v107, off
	s_clause 0x1
	;; [unrolled: 11-line block ×4, first 2 shown]
	scratch_load_b128 v[0:3], off, off offset:208
	scratch_load_b128 v[136:139], off, off offset:224
	s_wait_loadcnt 0xa
	s_clause 0x1
	global_store_b32 v[132:133], v4, off
	global_store_b32 v[134:135], v5, off
	scratch_load_b128 v[132:135], off, off offset:240
	s_clause 0x1
	global_store_b32 v[8:9], v6, off
	global_store_b32 v[10:11], v7, off
	s_wait_loadcnt 0xa
	s_clause 0x3
	global_store_b32 v[12:13], v100, off
	global_store_b32 v[14:15], v101, off
	global_store_b32 v[16:17], v102, off
	global_store_b32 v[18:19], v103, off
	s_wait_loadcnt 0x9
	s_clause 0x3
	global_store_b32 v[20:21], v112, off
	global_store_b32 v[22:23], v113, off
	;; [unrolled: 6-line block ×11, first 2 shown]
	global_store_b32 v[96:97], v134, off
	global_store_b32 v[98:99], v135, off
.LBB63_1250:
	s_sendmsg sendmsg(MSG_DEALLOC_VGPRS)
	s_endpgm
	.section	.rodata,"a",@progbits
	.p2align	6, 0x0
	.amdhsa_kernel _ZN9rocsolver6v33100L18trti2_kernel_smallILi64EfPfEEv13rocblas_fill_17rocblas_diagonal_T1_iil
		.amdhsa_group_segment_fixed_size 512
		.amdhsa_private_segment_fixed_size 272
		.amdhsa_kernarg_size 32
		.amdhsa_user_sgpr_count 2
		.amdhsa_user_sgpr_dispatch_ptr 0
		.amdhsa_user_sgpr_queue_ptr 0
		.amdhsa_user_sgpr_kernarg_segment_ptr 1
		.amdhsa_user_sgpr_dispatch_id 0
		.amdhsa_user_sgpr_kernarg_preload_length 0
		.amdhsa_user_sgpr_kernarg_preload_offset 0
		.amdhsa_user_sgpr_private_segment_size 0
		.amdhsa_wavefront_size32 1
		.amdhsa_uses_dynamic_stack 0
		.amdhsa_enable_private_segment 1
		.amdhsa_system_sgpr_workgroup_id_x 1
		.amdhsa_system_sgpr_workgroup_id_y 0
		.amdhsa_system_sgpr_workgroup_id_z 0
		.amdhsa_system_sgpr_workgroup_info 0
		.amdhsa_system_vgpr_workitem_id 0
		.amdhsa_next_free_vgpr 164
		.amdhsa_next_free_sgpr 24
		.amdhsa_named_barrier_count 0
		.amdhsa_reserve_vcc 1
		.amdhsa_float_round_mode_32 0
		.amdhsa_float_round_mode_16_64 0
		.amdhsa_float_denorm_mode_32 3
		.amdhsa_float_denorm_mode_16_64 3
		.amdhsa_fp16_overflow 0
		.amdhsa_memory_ordered 1
		.amdhsa_forward_progress 1
		.amdhsa_inst_pref_size 255
		.amdhsa_round_robin_scheduling 0
		.amdhsa_exception_fp_ieee_invalid_op 0
		.amdhsa_exception_fp_denorm_src 0
		.amdhsa_exception_fp_ieee_div_zero 0
		.amdhsa_exception_fp_ieee_overflow 0
		.amdhsa_exception_fp_ieee_underflow 0
		.amdhsa_exception_fp_ieee_inexact 0
		.amdhsa_exception_int_div_zero 0
	.end_amdhsa_kernel
	.section	.text._ZN9rocsolver6v33100L18trti2_kernel_smallILi64EfPfEEv13rocblas_fill_17rocblas_diagonal_T1_iil,"axG",@progbits,_ZN9rocsolver6v33100L18trti2_kernel_smallILi64EfPfEEv13rocblas_fill_17rocblas_diagonal_T1_iil,comdat
.Lfunc_end63:
	.size	_ZN9rocsolver6v33100L18trti2_kernel_smallILi64EfPfEEv13rocblas_fill_17rocblas_diagonal_T1_iil, .Lfunc_end63-_ZN9rocsolver6v33100L18trti2_kernel_smallILi64EfPfEEv13rocblas_fill_17rocblas_diagonal_T1_iil
                                        ; -- End function
	.set _ZN9rocsolver6v33100L18trti2_kernel_smallILi64EfPfEEv13rocblas_fill_17rocblas_diagonal_T1_iil.num_vgpr, 164
	.set _ZN9rocsolver6v33100L18trti2_kernel_smallILi64EfPfEEv13rocblas_fill_17rocblas_diagonal_T1_iil.num_agpr, 0
	.set _ZN9rocsolver6v33100L18trti2_kernel_smallILi64EfPfEEv13rocblas_fill_17rocblas_diagonal_T1_iil.numbered_sgpr, 24
	.set _ZN9rocsolver6v33100L18trti2_kernel_smallILi64EfPfEEv13rocblas_fill_17rocblas_diagonal_T1_iil.num_named_barrier, 0
	.set _ZN9rocsolver6v33100L18trti2_kernel_smallILi64EfPfEEv13rocblas_fill_17rocblas_diagonal_T1_iil.private_seg_size, 272
	.set _ZN9rocsolver6v33100L18trti2_kernel_smallILi64EfPfEEv13rocblas_fill_17rocblas_diagonal_T1_iil.uses_vcc, 1
	.set _ZN9rocsolver6v33100L18trti2_kernel_smallILi64EfPfEEv13rocblas_fill_17rocblas_diagonal_T1_iil.uses_flat_scratch, 1
	.set _ZN9rocsolver6v33100L18trti2_kernel_smallILi64EfPfEEv13rocblas_fill_17rocblas_diagonal_T1_iil.has_dyn_sized_stack, 0
	.set _ZN9rocsolver6v33100L18trti2_kernel_smallILi64EfPfEEv13rocblas_fill_17rocblas_diagonal_T1_iil.has_recursion, 0
	.set _ZN9rocsolver6v33100L18trti2_kernel_smallILi64EfPfEEv13rocblas_fill_17rocblas_diagonal_T1_iil.has_indirect_call, 0
	.section	.AMDGPU.csdata,"",@progbits
; Kernel info:
; codeLenInByte = 35704
; TotalNumSgprs: 26
; NumVgprs: 164
; ScratchSize: 272
; MemoryBound: 0
; FloatMode: 240
; IeeeMode: 1
; LDSByteSize: 512 bytes/workgroup (compile time only)
; SGPRBlocks: 0
; VGPRBlocks: 10
; NumSGPRsForWavesPerEU: 26
; NumVGPRsForWavesPerEU: 164
; NamedBarCnt: 0
; Occupancy: 5
; WaveLimiterHint : 0
; COMPUTE_PGM_RSRC2:SCRATCH_EN: 1
; COMPUTE_PGM_RSRC2:USER_SGPR: 2
; COMPUTE_PGM_RSRC2:TRAP_HANDLER: 0
; COMPUTE_PGM_RSRC2:TGID_X_EN: 1
; COMPUTE_PGM_RSRC2:TGID_Y_EN: 0
; COMPUTE_PGM_RSRC2:TGID_Z_EN: 0
; COMPUTE_PGM_RSRC2:TIDIG_COMP_CNT: 0
	.section	.text._ZN9rocsolver6v33100L18trti2_kernel_smallILi1EfPKPfEEv13rocblas_fill_17rocblas_diagonal_T1_iil,"axG",@progbits,_ZN9rocsolver6v33100L18trti2_kernel_smallILi1EfPKPfEEv13rocblas_fill_17rocblas_diagonal_T1_iil,comdat
	.globl	_ZN9rocsolver6v33100L18trti2_kernel_smallILi1EfPKPfEEv13rocblas_fill_17rocblas_diagonal_T1_iil ; -- Begin function _ZN9rocsolver6v33100L18trti2_kernel_smallILi1EfPKPfEEv13rocblas_fill_17rocblas_diagonal_T1_iil
	.p2align	8
	.type	_ZN9rocsolver6v33100L18trti2_kernel_smallILi1EfPKPfEEv13rocblas_fill_17rocblas_diagonal_T1_iil,@function
_ZN9rocsolver6v33100L18trti2_kernel_smallILi1EfPKPfEEv13rocblas_fill_17rocblas_diagonal_T1_iil: ; @_ZN9rocsolver6v33100L18trti2_kernel_smallILi1EfPKPfEEv13rocblas_fill_17rocblas_diagonal_T1_iil
; %bb.0:
	s_mov_b32 s2, exec_lo
	v_cmpx_eq_u32_e32 0, v0
	s_cbranch_execz .LBB64_2
; %bb.1:
	s_load_b96 s[4:6], s[0:1], 0x8
	s_bfe_u32 s2, ttmp6, 0x4000c
	s_and_b32 s3, ttmp6, 15
	s_add_co_i32 s2, s2, 1
	s_getreg_b32 s7, hwreg(HW_REG_IB_STS2, 6, 4)
	s_mul_i32 s2, ttmp9, s2
	s_wait_xcnt 0x0
	s_load_b32 s0, s[0:1], 0x4
	s_add_co_i32 s3, s3, s2
	s_cmp_eq_u32 s7, 0
	s_cselect_b32 s2, ttmp9, s3
	s_delay_alu instid0(SALU_CYCLE_1) | instskip(NEXT) | instid1(SALU_CYCLE_1)
	s_ashr_i32 s3, s2, 31
	s_lshl_b64 s[2:3], s[2:3], 3
	s_wait_kmcnt 0x0
	s_add_nc_u64 s[2:3], s[4:5], s[2:3]
	v_mov_b32_e32 v0, s6
	s_load_b64 s[2:3], s[2:3], 0x0
	s_cmp_eq_u32 s0, 0x84
	s_wait_kmcnt 0x0
	flat_load_b32 v1, v0, s[2:3] scale_offset
	s_wait_loadcnt_dscnt 0x0
	v_div_scale_f32 v2, null, v1, v1, 1.0
	s_delay_alu instid0(VALU_DEP_1) | instskip(SKIP_1) | instid1(TRANS32_DEP_1)
	v_rcp_f32_e32 v3, v2
	v_nop
	v_fma_f32 v4, -v2, v3, 1.0
	s_delay_alu instid0(VALU_DEP_1) | instskip(SKIP_1) | instid1(VALU_DEP_1)
	v_fmac_f32_e32 v3, v4, v3
	v_div_scale_f32 v4, vcc_lo, 1.0, v1, 1.0
	v_mul_f32_e32 v5, v4, v3
	s_delay_alu instid0(VALU_DEP_1) | instskip(NEXT) | instid1(VALU_DEP_1)
	v_fma_f32 v6, -v2, v5, v4
	v_fmac_f32_e32 v5, v6, v3
	s_delay_alu instid0(VALU_DEP_1) | instskip(NEXT) | instid1(VALU_DEP_1)
	v_fma_f32 v2, -v2, v5, v4
	v_div_fmas_f32 v2, v2, v3, v5
	s_cselect_b32 vcc_lo, -1, 0
	s_delay_alu instid0(VALU_DEP_1) | instskip(NEXT) | instid1(VALU_DEP_1)
	v_div_fixup_f32 v2, v2, v1, 1.0
	v_cndmask_b32_e32 v1, v2, v1, vcc_lo
	flat_store_b32 v0, v1, s[2:3] scale_offset
.LBB64_2:
	s_endpgm
	.section	.rodata,"a",@progbits
	.p2align	6, 0x0
	.amdhsa_kernel _ZN9rocsolver6v33100L18trti2_kernel_smallILi1EfPKPfEEv13rocblas_fill_17rocblas_diagonal_T1_iil
		.amdhsa_group_segment_fixed_size 0
		.amdhsa_private_segment_fixed_size 0
		.amdhsa_kernarg_size 32
		.amdhsa_user_sgpr_count 2
		.amdhsa_user_sgpr_dispatch_ptr 0
		.amdhsa_user_sgpr_queue_ptr 0
		.amdhsa_user_sgpr_kernarg_segment_ptr 1
		.amdhsa_user_sgpr_dispatch_id 0
		.amdhsa_user_sgpr_kernarg_preload_length 0
		.amdhsa_user_sgpr_kernarg_preload_offset 0
		.amdhsa_user_sgpr_private_segment_size 0
		.amdhsa_wavefront_size32 1
		.amdhsa_uses_dynamic_stack 0
		.amdhsa_enable_private_segment 0
		.amdhsa_system_sgpr_workgroup_id_x 1
		.amdhsa_system_sgpr_workgroup_id_y 0
		.amdhsa_system_sgpr_workgroup_id_z 0
		.amdhsa_system_sgpr_workgroup_info 0
		.amdhsa_system_vgpr_workitem_id 0
		.amdhsa_next_free_vgpr 7
		.amdhsa_next_free_sgpr 8
		.amdhsa_named_barrier_count 0
		.amdhsa_reserve_vcc 1
		.amdhsa_float_round_mode_32 0
		.amdhsa_float_round_mode_16_64 0
		.amdhsa_float_denorm_mode_32 3
		.amdhsa_float_denorm_mode_16_64 3
		.amdhsa_fp16_overflow 0
		.amdhsa_memory_ordered 1
		.amdhsa_forward_progress 1
		.amdhsa_inst_pref_size 2
		.amdhsa_round_robin_scheduling 0
		.amdhsa_exception_fp_ieee_invalid_op 0
		.amdhsa_exception_fp_denorm_src 0
		.amdhsa_exception_fp_ieee_div_zero 0
		.amdhsa_exception_fp_ieee_overflow 0
		.amdhsa_exception_fp_ieee_underflow 0
		.amdhsa_exception_fp_ieee_inexact 0
		.amdhsa_exception_int_div_zero 0
	.end_amdhsa_kernel
	.section	.text._ZN9rocsolver6v33100L18trti2_kernel_smallILi1EfPKPfEEv13rocblas_fill_17rocblas_diagonal_T1_iil,"axG",@progbits,_ZN9rocsolver6v33100L18trti2_kernel_smallILi1EfPKPfEEv13rocblas_fill_17rocblas_diagonal_T1_iil,comdat
.Lfunc_end64:
	.size	_ZN9rocsolver6v33100L18trti2_kernel_smallILi1EfPKPfEEv13rocblas_fill_17rocblas_diagonal_T1_iil, .Lfunc_end64-_ZN9rocsolver6v33100L18trti2_kernel_smallILi1EfPKPfEEv13rocblas_fill_17rocblas_diagonal_T1_iil
                                        ; -- End function
	.set _ZN9rocsolver6v33100L18trti2_kernel_smallILi1EfPKPfEEv13rocblas_fill_17rocblas_diagonal_T1_iil.num_vgpr, 7
	.set _ZN9rocsolver6v33100L18trti2_kernel_smallILi1EfPKPfEEv13rocblas_fill_17rocblas_diagonal_T1_iil.num_agpr, 0
	.set _ZN9rocsolver6v33100L18trti2_kernel_smallILi1EfPKPfEEv13rocblas_fill_17rocblas_diagonal_T1_iil.numbered_sgpr, 8
	.set _ZN9rocsolver6v33100L18trti2_kernel_smallILi1EfPKPfEEv13rocblas_fill_17rocblas_diagonal_T1_iil.num_named_barrier, 0
	.set _ZN9rocsolver6v33100L18trti2_kernel_smallILi1EfPKPfEEv13rocblas_fill_17rocblas_diagonal_T1_iil.private_seg_size, 0
	.set _ZN9rocsolver6v33100L18trti2_kernel_smallILi1EfPKPfEEv13rocblas_fill_17rocblas_diagonal_T1_iil.uses_vcc, 1
	.set _ZN9rocsolver6v33100L18trti2_kernel_smallILi1EfPKPfEEv13rocblas_fill_17rocblas_diagonal_T1_iil.uses_flat_scratch, 0
	.set _ZN9rocsolver6v33100L18trti2_kernel_smallILi1EfPKPfEEv13rocblas_fill_17rocblas_diagonal_T1_iil.has_dyn_sized_stack, 0
	.set _ZN9rocsolver6v33100L18trti2_kernel_smallILi1EfPKPfEEv13rocblas_fill_17rocblas_diagonal_T1_iil.has_recursion, 0
	.set _ZN9rocsolver6v33100L18trti2_kernel_smallILi1EfPKPfEEv13rocblas_fill_17rocblas_diagonal_T1_iil.has_indirect_call, 0
	.section	.AMDGPU.csdata,"",@progbits
; Kernel info:
; codeLenInByte = 248
; TotalNumSgprs: 10
; NumVgprs: 7
; ScratchSize: 0
; MemoryBound: 0
; FloatMode: 240
; IeeeMode: 1
; LDSByteSize: 0 bytes/workgroup (compile time only)
; SGPRBlocks: 0
; VGPRBlocks: 0
; NumSGPRsForWavesPerEU: 10
; NumVGPRsForWavesPerEU: 7
; NamedBarCnt: 0
; Occupancy: 16
; WaveLimiterHint : 1
; COMPUTE_PGM_RSRC2:SCRATCH_EN: 0
; COMPUTE_PGM_RSRC2:USER_SGPR: 2
; COMPUTE_PGM_RSRC2:TRAP_HANDLER: 0
; COMPUTE_PGM_RSRC2:TGID_X_EN: 1
; COMPUTE_PGM_RSRC2:TGID_Y_EN: 0
; COMPUTE_PGM_RSRC2:TGID_Z_EN: 0
; COMPUTE_PGM_RSRC2:TIDIG_COMP_CNT: 0
	.section	.text._ZN9rocsolver6v33100L18trti2_kernel_smallILi2EfPKPfEEv13rocblas_fill_17rocblas_diagonal_T1_iil,"axG",@progbits,_ZN9rocsolver6v33100L18trti2_kernel_smallILi2EfPKPfEEv13rocblas_fill_17rocblas_diagonal_T1_iil,comdat
	.globl	_ZN9rocsolver6v33100L18trti2_kernel_smallILi2EfPKPfEEv13rocblas_fill_17rocblas_diagonal_T1_iil ; -- Begin function _ZN9rocsolver6v33100L18trti2_kernel_smallILi2EfPKPfEEv13rocblas_fill_17rocblas_diagonal_T1_iil
	.p2align	8
	.type	_ZN9rocsolver6v33100L18trti2_kernel_smallILi2EfPKPfEEv13rocblas_fill_17rocblas_diagonal_T1_iil,@function
_ZN9rocsolver6v33100L18trti2_kernel_smallILi2EfPKPfEEv13rocblas_fill_17rocblas_diagonal_T1_iil: ; @_ZN9rocsolver6v33100L18trti2_kernel_smallILi2EfPKPfEEv13rocblas_fill_17rocblas_diagonal_T1_iil
; %bb.0:
	s_mov_b32 s2, exec_lo
	v_cmpx_gt_u32_e32 2, v0
	s_cbranch_execz .LBB65_20
; %bb.1:
	s_clause 0x1
	s_load_b64 s[2:3], s[0:1], 0x10
	s_load_b128 s[4:7], s[0:1], 0x0
	s_wait_xcnt 0x0
	s_bfe_u32 s0, ttmp6, 0x4000c
	s_and_b32 s8, ttmp6, 15
	s_add_co_i32 s0, s0, 1
	s_getreg_b32 s9, hwreg(HW_REG_IB_STS2, 6, 4)
	s_mul_i32 s0, ttmp9, s0
	v_dual_mov_b32 v9, 0 :: v_dual_lshlrev_b32 v8, 2, v0
	s_add_co_i32 s8, s8, s0
	s_wait_kmcnt 0x0
	s_ashr_i32 s1, s2, 31
	s_cmp_eq_u32 s9, 0
	s_mov_b32 s0, s2
	s_cselect_b32 s8, ttmp9, s8
	s_lshl_b64 s[0:1], s[0:1], 2
	s_ashr_i32 s9, s8, 31
	s_delay_alu instid0(SALU_CYCLE_1) | instskip(NEXT) | instid1(SALU_CYCLE_1)
	s_lshl_b64 s[8:9], s[8:9], 3
	s_add_nc_u64 s[6:7], s[6:7], s[8:9]
	s_load_b64 s[6:7], s[6:7], 0x0
	s_wait_kmcnt 0x0
	s_add_nc_u64 s[0:1], s[6:7], s[0:1]
	s_ashr_i32 s7, s3, 31
	v_add_nc_u64_e32 v[2:3], s[0:1], v[8:9]
	s_mov_b32 s6, s3
	v_mov_b32_e32 v9, -1.0
	s_cmp_lg_u32 s5, 0x84
	s_cselect_b32 s2, -1, 0
	s_cmp_eq_u32 s5, 0x84
	s_delay_alu instid0(VALU_DEP_2)
	v_lshl_add_u64 v[4:5], s[6:7], 2, v[2:3]
	s_clause 0x1
	flat_load_b32 v6, v0, s[0:1] scale_offset
	flat_load_b32 v7, v[4:5]
	s_wait_xcnt 0x1
	v_cmp_eq_u32_e64 s0, 0, v0
	s_cbranch_scc1 .LBB65_3
; %bb.2:
	v_cmp_eq_u32_e64 s1, 1, v0
	s_wait_loadcnt_dscnt 0x0
	s_delay_alu instid0(VALU_DEP_1) | instskip(NEXT) | instid1(VALU_DEP_1)
	v_cndmask_b32_e64 v1, v6, v7, s1
	v_div_scale_f32 v9, null, v1, v1, 1.0
	s_delay_alu instid0(VALU_DEP_1) | instskip(SKIP_1) | instid1(TRANS32_DEP_1)
	v_rcp_f32_e32 v10, v9
	v_nop
	v_fma_f32 v11, -v9, v10, 1.0
	s_delay_alu instid0(VALU_DEP_1) | instskip(SKIP_1) | instid1(VALU_DEP_1)
	v_fmac_f32_e32 v10, v11, v10
	v_div_scale_f32 v12, vcc_lo, 1.0, v1, 1.0
	v_mul_f32_e32 v11, v12, v10
	s_delay_alu instid0(VALU_DEP_1) | instskip(NEXT) | instid1(VALU_DEP_1)
	v_fma_f32 v13, -v9, v11, v12
	v_fmac_f32_e32 v11, v13, v10
	s_delay_alu instid0(VALU_DEP_1) | instskip(NEXT) | instid1(VALU_DEP_1)
	v_fma_f32 v9, -v9, v11, v12
	v_div_fmas_f32 v9, v9, v10, v11
	s_delay_alu instid0(VALU_DEP_1) | instskip(NEXT) | instid1(VALU_DEP_1)
	v_div_fixup_f32 v1, v9, v1, 1.0
	v_dual_cndmask_b32 v7, v7, v1, s1 :: v_dual_cndmask_b32 v6, v6, v1, s0
	v_xor_b32_e32 v9, 0x80000000, v1
.LBB65_3:
	v_add_nc_u32_e32 v1, 8, v8
	s_cmp_eq_u32 s4, 0x79
	ds_store_b32 v8, v9
	s_cbranch_scc1 .LBB65_7
; %bb.4:
	s_wait_loadcnt_dscnt 0x1
	v_mov_b64_e32 v[8:9], v[6:7]
	s_mov_b32 s0, exec_lo
	ds_store_b32 v1, v6
	s_wait_dscnt 0x0
	s_barrier_signal -1
	s_barrier_wait -1
	v_cmpx_eq_u32_e32 1, v0
	s_cbranch_execz .LBB65_11
; %bb.5:
	s_and_b32 vcc_lo, exec_lo, s2
	s_cbranch_vccz .LBB65_8
; %bb.6:
	ds_load_b32 v8, v1
	v_cmp_eq_u32_e32 vcc_lo, 1, v0
	v_cndmask_b32_e32 v9, v6, v7, vcc_lo
	s_wait_dscnt 0x0
	s_delay_alu instid0(VALU_DEP_1)
	v_mul_f32_e32 v8, v9, v8
	s_cbranch_execz .LBB65_9
	s_branch .LBB65_10
.LBB65_7:
                                        ; implicit-def: $vgpr8_vgpr9
	s_branch .LBB65_12
.LBB65_8:
                                        ; implicit-def: $vgpr8
.LBB65_9:
	ds_load_b32 v8, v1
.LBB65_10:
	v_mov_b32_e32 v9, 0
	ds_load_b32 v9, v9
	s_wait_dscnt 0x0
	v_dual_mul_f32 v8, v8, v9 :: v_dual_mov_b32 v9, v7
.LBB65_11:
	s_or_b32 exec_lo, exec_lo, s0
	s_cbranch_execnz .LBB65_19
.LBB65_12:
	s_mov_b32 s0, exec_lo
	s_wait_loadcnt_dscnt 0x1
	ds_store_b32 v1, v7
	s_wait_dscnt 0x0
	s_barrier_signal -1
	s_barrier_wait -1
	v_cmpx_eq_u32_e32 0, v0
	s_cbranch_execz .LBB65_18
; %bb.13:
	s_and_b32 vcc_lo, exec_lo, s2
	s_cbranch_vccz .LBB65_15
; %bb.14:
	ds_load_b32 v8, v1
	v_cmp_eq_u32_e32 vcc_lo, 1, v0
	v_cndmask_b32_e32 v0, v6, v7, vcc_lo
	s_wait_dscnt 0x0
	s_delay_alu instid0(VALU_DEP_1)
	v_mul_f32_e32 v0, v0, v8
	s_cbranch_execz .LBB65_16
	s_branch .LBB65_17
.LBB65_15:
                                        ; implicit-def: $vgpr0
.LBB65_16:
	ds_load_b32 v0, v1
.LBB65_17:
	v_mov_b32_e32 v1, 0
	ds_load_b32 v1, v1 offset:4
	s_wait_dscnt 0x0
	v_mul_f32_e32 v7, v0, v1
.LBB65_18:
	s_or_b32 exec_lo, exec_lo, s0
	s_delay_alu instid0(VALU_DEP_1)
	v_mov_b64_e32 v[8:9], v[6:7]
.LBB65_19:
	s_clause 0x1
	flat_store_b32 v[2:3], v8
	flat_store_b32 v[4:5], v9
.LBB65_20:
	s_endpgm
	.section	.rodata,"a",@progbits
	.p2align	6, 0x0
	.amdhsa_kernel _ZN9rocsolver6v33100L18trti2_kernel_smallILi2EfPKPfEEv13rocblas_fill_17rocblas_diagonal_T1_iil
		.amdhsa_group_segment_fixed_size 16
		.amdhsa_private_segment_fixed_size 0
		.amdhsa_kernarg_size 32
		.amdhsa_user_sgpr_count 2
		.amdhsa_user_sgpr_dispatch_ptr 0
		.amdhsa_user_sgpr_queue_ptr 0
		.amdhsa_user_sgpr_kernarg_segment_ptr 1
		.amdhsa_user_sgpr_dispatch_id 0
		.amdhsa_user_sgpr_kernarg_preload_length 0
		.amdhsa_user_sgpr_kernarg_preload_offset 0
		.amdhsa_user_sgpr_private_segment_size 0
		.amdhsa_wavefront_size32 1
		.amdhsa_uses_dynamic_stack 0
		.amdhsa_enable_private_segment 0
		.amdhsa_system_sgpr_workgroup_id_x 1
		.amdhsa_system_sgpr_workgroup_id_y 0
		.amdhsa_system_sgpr_workgroup_id_z 0
		.amdhsa_system_sgpr_workgroup_info 0
		.amdhsa_system_vgpr_workitem_id 0
		.amdhsa_next_free_vgpr 14
		.amdhsa_next_free_sgpr 10
		.amdhsa_named_barrier_count 0
		.amdhsa_reserve_vcc 1
		.amdhsa_float_round_mode_32 0
		.amdhsa_float_round_mode_16_64 0
		.amdhsa_float_denorm_mode_32 3
		.amdhsa_float_denorm_mode_16_64 3
		.amdhsa_fp16_overflow 0
		.amdhsa_memory_ordered 1
		.amdhsa_forward_progress 1
		.amdhsa_inst_pref_size 6
		.amdhsa_round_robin_scheduling 0
		.amdhsa_exception_fp_ieee_invalid_op 0
		.amdhsa_exception_fp_denorm_src 0
		.amdhsa_exception_fp_ieee_div_zero 0
		.amdhsa_exception_fp_ieee_overflow 0
		.amdhsa_exception_fp_ieee_underflow 0
		.amdhsa_exception_fp_ieee_inexact 0
		.amdhsa_exception_int_div_zero 0
	.end_amdhsa_kernel
	.section	.text._ZN9rocsolver6v33100L18trti2_kernel_smallILi2EfPKPfEEv13rocblas_fill_17rocblas_diagonal_T1_iil,"axG",@progbits,_ZN9rocsolver6v33100L18trti2_kernel_smallILi2EfPKPfEEv13rocblas_fill_17rocblas_diagonal_T1_iil,comdat
.Lfunc_end65:
	.size	_ZN9rocsolver6v33100L18trti2_kernel_smallILi2EfPKPfEEv13rocblas_fill_17rocblas_diagonal_T1_iil, .Lfunc_end65-_ZN9rocsolver6v33100L18trti2_kernel_smallILi2EfPKPfEEv13rocblas_fill_17rocblas_diagonal_T1_iil
                                        ; -- End function
	.set _ZN9rocsolver6v33100L18trti2_kernel_smallILi2EfPKPfEEv13rocblas_fill_17rocblas_diagonal_T1_iil.num_vgpr, 14
	.set _ZN9rocsolver6v33100L18trti2_kernel_smallILi2EfPKPfEEv13rocblas_fill_17rocblas_diagonal_T1_iil.num_agpr, 0
	.set _ZN9rocsolver6v33100L18trti2_kernel_smallILi2EfPKPfEEv13rocblas_fill_17rocblas_diagonal_T1_iil.numbered_sgpr, 10
	.set _ZN9rocsolver6v33100L18trti2_kernel_smallILi2EfPKPfEEv13rocblas_fill_17rocblas_diagonal_T1_iil.num_named_barrier, 0
	.set _ZN9rocsolver6v33100L18trti2_kernel_smallILi2EfPKPfEEv13rocblas_fill_17rocblas_diagonal_T1_iil.private_seg_size, 0
	.set _ZN9rocsolver6v33100L18trti2_kernel_smallILi2EfPKPfEEv13rocblas_fill_17rocblas_diagonal_T1_iil.uses_vcc, 1
	.set _ZN9rocsolver6v33100L18trti2_kernel_smallILi2EfPKPfEEv13rocblas_fill_17rocblas_diagonal_T1_iil.uses_flat_scratch, 1
	.set _ZN9rocsolver6v33100L18trti2_kernel_smallILi2EfPKPfEEv13rocblas_fill_17rocblas_diagonal_T1_iil.has_dyn_sized_stack, 0
	.set _ZN9rocsolver6v33100L18trti2_kernel_smallILi2EfPKPfEEv13rocblas_fill_17rocblas_diagonal_T1_iil.has_recursion, 0
	.set _ZN9rocsolver6v33100L18trti2_kernel_smallILi2EfPKPfEEv13rocblas_fill_17rocblas_diagonal_T1_iil.has_indirect_call, 0
	.section	.AMDGPU.csdata,"",@progbits
; Kernel info:
; codeLenInByte = 664
; TotalNumSgprs: 12
; NumVgprs: 14
; ScratchSize: 0
; MemoryBound: 0
; FloatMode: 240
; IeeeMode: 1
; LDSByteSize: 16 bytes/workgroup (compile time only)
; SGPRBlocks: 0
; VGPRBlocks: 0
; NumSGPRsForWavesPerEU: 12
; NumVGPRsForWavesPerEU: 14
; NamedBarCnt: 0
; Occupancy: 16
; WaveLimiterHint : 1
; COMPUTE_PGM_RSRC2:SCRATCH_EN: 0
; COMPUTE_PGM_RSRC2:USER_SGPR: 2
; COMPUTE_PGM_RSRC2:TRAP_HANDLER: 0
; COMPUTE_PGM_RSRC2:TGID_X_EN: 1
; COMPUTE_PGM_RSRC2:TGID_Y_EN: 0
; COMPUTE_PGM_RSRC2:TGID_Z_EN: 0
; COMPUTE_PGM_RSRC2:TIDIG_COMP_CNT: 0
	.section	.text._ZN9rocsolver6v33100L18trti2_kernel_smallILi3EfPKPfEEv13rocblas_fill_17rocblas_diagonal_T1_iil,"axG",@progbits,_ZN9rocsolver6v33100L18trti2_kernel_smallILi3EfPKPfEEv13rocblas_fill_17rocblas_diagonal_T1_iil,comdat
	.globl	_ZN9rocsolver6v33100L18trti2_kernel_smallILi3EfPKPfEEv13rocblas_fill_17rocblas_diagonal_T1_iil ; -- Begin function _ZN9rocsolver6v33100L18trti2_kernel_smallILi3EfPKPfEEv13rocblas_fill_17rocblas_diagonal_T1_iil
	.p2align	8
	.type	_ZN9rocsolver6v33100L18trti2_kernel_smallILi3EfPKPfEEv13rocblas_fill_17rocblas_diagonal_T1_iil,@function
_ZN9rocsolver6v33100L18trti2_kernel_smallILi3EfPKPfEEv13rocblas_fill_17rocblas_diagonal_T1_iil: ; @_ZN9rocsolver6v33100L18trti2_kernel_smallILi3EfPKPfEEv13rocblas_fill_17rocblas_diagonal_T1_iil
; %bb.0:
	s_mov_b32 s2, exec_lo
	v_cmpx_gt_u32_e32 3, v0
	s_cbranch_execz .LBB66_32
; %bb.1:
	s_clause 0x1
	s_load_b64 s[2:3], s[0:1], 0x10
	s_load_b128 s[4:7], s[0:1], 0x0
	s_wait_xcnt 0x0
	s_bfe_u32 s0, ttmp6, 0x4000c
	s_and_b32 s8, ttmp6, 15
	s_add_co_i32 s0, s0, 1
	s_getreg_b32 s9, hwreg(HW_REG_IB_STS2, 6, 4)
	s_mul_i32 s0, ttmp9, s0
	v_dual_mov_b32 v7, 0 :: v_dual_lshlrev_b32 v6, 2, v0
	s_add_co_i32 s8, s8, s0
	v_mov_b32_e32 v5, -1.0
	s_wait_kmcnt 0x0
	s_ashr_i32 s1, s2, 31
	s_cmp_eq_u32 s9, 0
	s_mov_b32 s0, s2
	s_cselect_b32 s8, ttmp9, s8
	s_lshl_b64 s[0:1], s[0:1], 2
	s_ashr_i32 s9, s8, 31
	v_add3_u32 v14, s3, s3, v0
	s_lshl_b64 s[8:9], s[8:9], 3
	s_delay_alu instid0(SALU_CYCLE_1)
	s_add_nc_u64 s[6:7], s[6:7], s[8:9]
	s_load_b64 s[6:7], s[6:7], 0x0
	s_wait_kmcnt 0x0
	s_add_nc_u64 s[6:7], s[6:7], s[0:1]
	s_ashr_i32 s1, s3, 31
	v_add_nc_u64_e32 v[10:11], s[6:7], v[6:7]
	s_mov_b32 s0, s3
	s_cmp_lg_u32 s5, 0x84
	s_cselect_b32 s3, -1, 0
	s_cmp_eq_u32 s5, 0x84
	s_delay_alu instid0(VALU_DEP_1)
	v_lshl_add_u64 v[12:13], s[0:1], 2, v[10:11]
	v_cmp_eq_u32_e64 s0, 0, v0
	s_clause 0x2
	flat_load_b32 v2, v0, s[6:7] scale_offset
	flat_load_b32 v4, v14, s[6:7] scale_offset
	flat_load_b32 v3, v[12:13]
	s_cbranch_scc1 .LBB66_3
; %bb.2:
	v_cmp_eq_u32_e64 s1, 1, v0
	v_cmp_eq_u32_e64 s2, 2, v0
	s_wait_loadcnt_dscnt 0x0
	s_delay_alu instid0(VALU_DEP_2) | instskip(NEXT) | instid1(VALU_DEP_1)
	v_cndmask_b32_e64 v1, v2, v3, s1
	v_cndmask_b32_e64 v1, v1, v4, s2
	s_delay_alu instid0(VALU_DEP_1) | instskip(NEXT) | instid1(VALU_DEP_1)
	v_div_scale_f32 v5, null, v1, v1, 1.0
	v_rcp_f32_e32 v7, v5
	v_nop
	s_delay_alu instid0(TRANS32_DEP_1) | instskip(NEXT) | instid1(VALU_DEP_1)
	v_fma_f32 v8, -v5, v7, 1.0
	v_fmac_f32_e32 v7, v8, v7
	v_div_scale_f32 v9, vcc_lo, 1.0, v1, 1.0
	s_delay_alu instid0(VALU_DEP_1) | instskip(NEXT) | instid1(VALU_DEP_1)
	v_mul_f32_e32 v8, v9, v7
	v_fma_f32 v15, -v5, v8, v9
	s_delay_alu instid0(VALU_DEP_1) | instskip(NEXT) | instid1(VALU_DEP_1)
	v_fmac_f32_e32 v8, v15, v7
	v_fma_f32 v5, -v5, v8, v9
	s_delay_alu instid0(VALU_DEP_1) | instskip(NEXT) | instid1(VALU_DEP_1)
	v_div_fmas_f32 v5, v5, v7, v8
	v_div_fixup_f32 v1, v5, v1, 1.0
	s_delay_alu instid0(VALU_DEP_1)
	v_dual_cndmask_b32 v4, v4, v1, s2 :: v_dual_cndmask_b32 v3, v3, v1, s1
	v_cndmask_b32_e64 v2, v2, v1, s0
	v_xor_b32_e32 v5, 0x80000000, v1
.LBB66_3:
	v_ashrrev_i32_e32 v15, 31, v14
	v_add_nc_u32_e32 v1, 16, v6
	s_cmp_eq_u32 s4, 0x79
	s_wait_loadcnt_dscnt 0x0
	ds_store_2addr_b32 v6, v5, v3 offset1:4
	s_wait_dscnt 0x0
	s_cbranch_scc1 .LBB66_7
; %bb.4:
	v_dual_mov_b32 v8, v4 :: v_dual_mov_b32 v7, v3
	v_cmp_eq_u32_e64 s0, 2, v0
	v_mov_b32_e32 v6, v2
	s_barrier_signal -1
	s_barrier_wait -1
	s_and_saveexec_b32 s1, s0
	s_cbranch_execz .LBB66_11
; %bb.5:
	s_and_b32 vcc_lo, exec_lo, s3
	s_cbranch_vccz .LBB66_8
; %bb.6:
	ds_load_b32 v5, v1
	v_cmp_eq_u32_e32 vcc_lo, 1, v0
	v_cndmask_b32_e32 v6, v2, v3, vcc_lo
	v_cmp_eq_u32_e32 vcc_lo, 2, v0
	s_delay_alu instid0(VALU_DEP_2) | instskip(SKIP_1) | instid1(VALU_DEP_1)
	v_cndmask_b32_e32 v6, v6, v4, vcc_lo
	s_wait_dscnt 0x0
	v_mul_f32_e32 v5, v6, v5
	s_cbranch_execz .LBB66_9
	s_branch .LBB66_10
.LBB66_7:
                                        ; implicit-def: $vgpr6_vgpr7_vgpr8
	s_cbranch_execnz .LBB66_18
	s_branch .LBB66_31
.LBB66_8:
                                        ; implicit-def: $vgpr5
.LBB66_9:
	ds_load_b32 v5, v1
.LBB66_10:
	v_mov_b32_e32 v6, 0
	ds_load_b32 v6, v6 offset:4
	s_wait_dscnt 0x0
	v_dual_mul_f32 v5, v5, v6 :: v_dual_mov_b32 v8, v4
	v_dual_mov_b32 v7, v3 :: v_dual_mov_b32 v6, v2
	s_delay_alu instid0(VALU_DEP_2)
	v_mov_b32_e32 v7, v5
.LBB66_11:
	s_or_b32 exec_lo, exec_lo, s1
	s_mov_b32 s1, 0
	s_mov_b32 s2, exec_lo
	ds_store_b32 v1, v6
	s_wait_dscnt 0x0
	s_barrier_signal -1
	s_barrier_wait -1
	v_cmpx_ne_u32_e32 0, v0
	s_cbranch_execz .LBB66_17
; %bb.12:
	s_and_not1_b32 vcc_lo, exec_lo, s3
	s_cbranch_vccnz .LBB66_14
; %bb.13:
	ds_load_b32 v5, v1
	v_cmp_eq_u32_e32 vcc_lo, 1, v0
	v_cndmask_b32_e32 v6, v6, v7, vcc_lo
	v_cmp_eq_u32_e32 vcc_lo, 2, v0
	s_delay_alu instid0(VALU_DEP_2) | instskip(SKIP_1) | instid1(VALU_DEP_1)
	v_cndmask_b32_e32 v6, v6, v8, vcc_lo
	s_wait_dscnt 0x0
	v_mul_f32_e32 v5, v6, v5
	s_cbranch_execz .LBB66_15
	s_branch .LBB66_16
.LBB66_14:
                                        ; implicit-def: $vgpr5
.LBB66_15:
	ds_load_b32 v5, v1
.LBB66_16:
	v_mov_b32_e32 v6, 0
	ds_load_2addr_b32 v[16:17], v6 offset1:5
	s_wait_dscnt 0x0
	v_fma_f32 v6, v7, v17, v5
	s_delay_alu instid0(VALU_DEP_1) | instskip(NEXT) | instid1(VALU_DEP_1)
	v_cndmask_b32_e64 v5, v5, v6, s0
	v_mul_f32_e32 v6, v5, v16
.LBB66_17:
	s_or_b32 exec_lo, exec_lo, s2
	s_delay_alu instid0(SALU_CYCLE_1)
	s_and_b32 vcc_lo, exec_lo, s1
	s_cbranch_vccz .LBB66_31
.LBB66_18:
	v_cmp_eq_u32_e64 s0, 0, v0
	s_barrier_signal -1
	s_barrier_wait -1
	s_and_saveexec_b32 s1, s0
	s_cbranch_execz .LBB66_24
; %bb.19:
	s_and_b32 vcc_lo, exec_lo, s3
	s_cbranch_vccz .LBB66_21
; %bb.20:
	ds_load_b32 v5, v1
	v_cmp_eq_u32_e32 vcc_lo, 1, v0
	v_cndmask_b32_e32 v3, v2, v3, vcc_lo
	v_cmp_eq_u32_e32 vcc_lo, 2, v0
	s_delay_alu instid0(VALU_DEP_2) | instskip(SKIP_1) | instid1(VALU_DEP_1)
	v_cndmask_b32_e32 v3, v3, v4, vcc_lo
	s_wait_dscnt 0x0
	v_mul_f32_e32 v3, v3, v5
	s_cbranch_execz .LBB66_22
	s_branch .LBB66_23
.LBB66_21:
                                        ; implicit-def: $vgpr3
.LBB66_22:
	ds_load_b32 v3, v1
.LBB66_23:
	v_mov_b32_e32 v5, 0
	ds_load_b32 v5, v5 offset:4
	s_wait_dscnt 0x0
	v_mul_f32_e32 v3, v3, v5
.LBB66_24:
	s_or_b32 exec_lo, exec_lo, s1
	s_delay_alu instid0(SALU_CYCLE_1)
	s_mov_b32 s1, exec_lo
	ds_store_b32 v1, v4
	s_wait_dscnt 0x0
	s_barrier_signal -1
	s_barrier_wait -1
	v_cmpx_ne_u32_e32 2, v0
	s_cbranch_execz .LBB66_30
; %bb.25:
	s_and_not1_b32 vcc_lo, exec_lo, s3
	s_cbranch_vccnz .LBB66_27
; %bb.26:
	ds_load_b32 v5, v1
	v_cmp_eq_u32_e32 vcc_lo, 1, v0
	v_cndmask_b32_e32 v6, v2, v3, vcc_lo
	v_cmp_eq_u32_e32 vcc_lo, 2, v0
	s_delay_alu instid0(VALU_DEP_2) | instskip(SKIP_1) | instid1(VALU_DEP_1)
	v_cndmask_b32_e32 v0, v6, v4, vcc_lo
	s_wait_dscnt 0x0
	v_mul_f32_e32 v0, v0, v5
	s_cbranch_execz .LBB66_28
	s_branch .LBB66_29
.LBB66_27:
                                        ; implicit-def: $vgpr0
.LBB66_28:
	ds_load_b32 v0, v1
.LBB66_29:
	v_mov_b32_e32 v1, 0
	ds_load_2addr_b32 v[4:5], v1 offset0:2 offset1:5
	s_wait_dscnt 0x0
	v_fma_f32 v1, v3, v5, v0
	s_delay_alu instid0(VALU_DEP_1) | instskip(NEXT) | instid1(VALU_DEP_1)
	v_cndmask_b32_e64 v0, v0, v1, s0
	v_mul_f32_e32 v4, v0, v4
.LBB66_30:
	s_or_b32 exec_lo, exec_lo, s1
	s_delay_alu instid0(VALU_DEP_1)
	v_dual_mov_b32 v8, v4 :: v_dual_mov_b32 v7, v3
	v_mov_b32_e32 v6, v2
.LBB66_31:
	v_lshl_add_u64 v[0:1], v[14:15], 2, s[6:7]
	s_clause 0x2
	flat_store_b32 v[10:11], v6
	flat_store_b32 v[12:13], v7
	flat_store_b32 v[0:1], v8
.LBB66_32:
	s_endpgm
	.section	.rodata,"a",@progbits
	.p2align	6, 0x0
	.amdhsa_kernel _ZN9rocsolver6v33100L18trti2_kernel_smallILi3EfPKPfEEv13rocblas_fill_17rocblas_diagonal_T1_iil
		.amdhsa_group_segment_fixed_size 28
		.amdhsa_private_segment_fixed_size 0
		.amdhsa_kernarg_size 32
		.amdhsa_user_sgpr_count 2
		.amdhsa_user_sgpr_dispatch_ptr 0
		.amdhsa_user_sgpr_queue_ptr 0
		.amdhsa_user_sgpr_kernarg_segment_ptr 1
		.amdhsa_user_sgpr_dispatch_id 0
		.amdhsa_user_sgpr_kernarg_preload_length 0
		.amdhsa_user_sgpr_kernarg_preload_offset 0
		.amdhsa_user_sgpr_private_segment_size 0
		.amdhsa_wavefront_size32 1
		.amdhsa_uses_dynamic_stack 0
		.amdhsa_enable_private_segment 0
		.amdhsa_system_sgpr_workgroup_id_x 1
		.amdhsa_system_sgpr_workgroup_id_y 0
		.amdhsa_system_sgpr_workgroup_id_z 0
		.amdhsa_system_sgpr_workgroup_info 0
		.amdhsa_system_vgpr_workitem_id 0
		.amdhsa_next_free_vgpr 18
		.amdhsa_next_free_sgpr 10
		.amdhsa_named_barrier_count 0
		.amdhsa_reserve_vcc 1
		.amdhsa_float_round_mode_32 0
		.amdhsa_float_round_mode_16_64 0
		.amdhsa_float_denorm_mode_32 3
		.amdhsa_float_denorm_mode_16_64 3
		.amdhsa_fp16_overflow 0
		.amdhsa_memory_ordered 1
		.amdhsa_forward_progress 1
		.amdhsa_inst_pref_size 9
		.amdhsa_round_robin_scheduling 0
		.amdhsa_exception_fp_ieee_invalid_op 0
		.amdhsa_exception_fp_denorm_src 0
		.amdhsa_exception_fp_ieee_div_zero 0
		.amdhsa_exception_fp_ieee_overflow 0
		.amdhsa_exception_fp_ieee_underflow 0
		.amdhsa_exception_fp_ieee_inexact 0
		.amdhsa_exception_int_div_zero 0
	.end_amdhsa_kernel
	.section	.text._ZN9rocsolver6v33100L18trti2_kernel_smallILi3EfPKPfEEv13rocblas_fill_17rocblas_diagonal_T1_iil,"axG",@progbits,_ZN9rocsolver6v33100L18trti2_kernel_smallILi3EfPKPfEEv13rocblas_fill_17rocblas_diagonal_T1_iil,comdat
.Lfunc_end66:
	.size	_ZN9rocsolver6v33100L18trti2_kernel_smallILi3EfPKPfEEv13rocblas_fill_17rocblas_diagonal_T1_iil, .Lfunc_end66-_ZN9rocsolver6v33100L18trti2_kernel_smallILi3EfPKPfEEv13rocblas_fill_17rocblas_diagonal_T1_iil
                                        ; -- End function
	.set _ZN9rocsolver6v33100L18trti2_kernel_smallILi3EfPKPfEEv13rocblas_fill_17rocblas_diagonal_T1_iil.num_vgpr, 18
	.set _ZN9rocsolver6v33100L18trti2_kernel_smallILi3EfPKPfEEv13rocblas_fill_17rocblas_diagonal_T1_iil.num_agpr, 0
	.set _ZN9rocsolver6v33100L18trti2_kernel_smallILi3EfPKPfEEv13rocblas_fill_17rocblas_diagonal_T1_iil.numbered_sgpr, 10
	.set _ZN9rocsolver6v33100L18trti2_kernel_smallILi3EfPKPfEEv13rocblas_fill_17rocblas_diagonal_T1_iil.num_named_barrier, 0
	.set _ZN9rocsolver6v33100L18trti2_kernel_smallILi3EfPKPfEEv13rocblas_fill_17rocblas_diagonal_T1_iil.private_seg_size, 0
	.set _ZN9rocsolver6v33100L18trti2_kernel_smallILi3EfPKPfEEv13rocblas_fill_17rocblas_diagonal_T1_iil.uses_vcc, 1
	.set _ZN9rocsolver6v33100L18trti2_kernel_smallILi3EfPKPfEEv13rocblas_fill_17rocblas_diagonal_T1_iil.uses_flat_scratch, 1
	.set _ZN9rocsolver6v33100L18trti2_kernel_smallILi3EfPKPfEEv13rocblas_fill_17rocblas_diagonal_T1_iil.has_dyn_sized_stack, 0
	.set _ZN9rocsolver6v33100L18trti2_kernel_smallILi3EfPKPfEEv13rocblas_fill_17rocblas_diagonal_T1_iil.has_recursion, 0
	.set _ZN9rocsolver6v33100L18trti2_kernel_smallILi3EfPKPfEEv13rocblas_fill_17rocblas_diagonal_T1_iil.has_indirect_call, 0
	.section	.AMDGPU.csdata,"",@progbits
; Kernel info:
; codeLenInByte = 1056
; TotalNumSgprs: 12
; NumVgprs: 18
; ScratchSize: 0
; MemoryBound: 0
; FloatMode: 240
; IeeeMode: 1
; LDSByteSize: 28 bytes/workgroup (compile time only)
; SGPRBlocks: 0
; VGPRBlocks: 1
; NumSGPRsForWavesPerEU: 12
; NumVGPRsForWavesPerEU: 18
; NamedBarCnt: 0
; Occupancy: 16
; WaveLimiterHint : 1
; COMPUTE_PGM_RSRC2:SCRATCH_EN: 0
; COMPUTE_PGM_RSRC2:USER_SGPR: 2
; COMPUTE_PGM_RSRC2:TRAP_HANDLER: 0
; COMPUTE_PGM_RSRC2:TGID_X_EN: 1
; COMPUTE_PGM_RSRC2:TGID_Y_EN: 0
; COMPUTE_PGM_RSRC2:TGID_Z_EN: 0
; COMPUTE_PGM_RSRC2:TIDIG_COMP_CNT: 0
	.section	.text._ZN9rocsolver6v33100L18trti2_kernel_smallILi4EfPKPfEEv13rocblas_fill_17rocblas_diagonal_T1_iil,"axG",@progbits,_ZN9rocsolver6v33100L18trti2_kernel_smallILi4EfPKPfEEv13rocblas_fill_17rocblas_diagonal_T1_iil,comdat
	.globl	_ZN9rocsolver6v33100L18trti2_kernel_smallILi4EfPKPfEEv13rocblas_fill_17rocblas_diagonal_T1_iil ; -- Begin function _ZN9rocsolver6v33100L18trti2_kernel_smallILi4EfPKPfEEv13rocblas_fill_17rocblas_diagonal_T1_iil
	.p2align	8
	.type	_ZN9rocsolver6v33100L18trti2_kernel_smallILi4EfPKPfEEv13rocblas_fill_17rocblas_diagonal_T1_iil,@function
_ZN9rocsolver6v33100L18trti2_kernel_smallILi4EfPKPfEEv13rocblas_fill_17rocblas_diagonal_T1_iil: ; @_ZN9rocsolver6v33100L18trti2_kernel_smallILi4EfPKPfEEv13rocblas_fill_17rocblas_diagonal_T1_iil
; %bb.0:
	s_mov_b32 s2, exec_lo
	v_cmpx_gt_u32_e32 4, v0
	s_cbranch_execz .LBB67_56
; %bb.1:
	s_clause 0x1
	s_load_b64 s[2:3], s[0:1], 0x10
	s_load_b128 s[4:7], s[0:1], 0x0
	s_wait_xcnt 0x0
	s_bfe_u32 s0, ttmp6, 0x4000c
	s_and_b32 s8, ttmp6, 15
	s_add_co_i32 s0, s0, 1
	s_getreg_b32 s9, hwreg(HW_REG_IB_STS2, 6, 4)
	s_mul_i32 s0, ttmp9, s0
	v_dual_mov_b32 v7, 0 :: v_dual_lshlrev_b32 v6, 2, v0
	s_add_co_i32 s8, s8, s0
	s_wait_kmcnt 0x0
	s_ashr_i32 s1, s2, 31
	s_cmp_eq_u32 s9, 0
	s_mov_b32 s0, s2
	s_cselect_b32 s8, ttmp9, s8
	s_lshl_b64 s[0:1], s[0:1], 2
	s_ashr_i32 s9, s8, 31
	v_add3_u32 v14, s3, s3, v0
	s_lshl_b64 s[8:9], s[8:9], 3
	s_delay_alu instid0(SALU_CYCLE_1) | instskip(NEXT) | instid1(VALU_DEP_1)
	s_add_nc_u64 s[6:7], s[6:7], s[8:9]
	v_add_nc_u32_e32 v16, s3, v14
	s_load_b64 s[6:7], s[6:7], 0x0
	s_wait_kmcnt 0x0
	s_add_nc_u64 s[6:7], s[6:7], s[0:1]
	s_ashr_i32 s1, s3, 31
	v_add_nc_u64_e32 v[10:11], s[6:7], v[6:7]
	s_mov_b32 s0, s3
	v_mov_b32_e32 v7, -1.0
	s_cmp_lg_u32 s5, 0x84
	s_cselect_b32 s8, -1, 0
	s_cmp_eq_u32 s5, 0x84
	s_delay_alu instid0(VALU_DEP_2)
	v_lshl_add_u64 v[12:13], s[0:1], 2, v[10:11]
	s_clause 0x3
	flat_load_b32 v2, v0, s[6:7] scale_offset
	flat_load_b32 v4, v14, s[6:7] scale_offset
	flat_load_b32 v5, v16, s[6:7] scale_offset
	flat_load_b32 v3, v[12:13]
	v_cmp_eq_u32_e64 s0, 0, v0
	s_cbranch_scc1 .LBB67_3
; %bb.2:
	v_cmp_eq_u32_e64 s1, 1, v0
	v_cmp_eq_u32_e64 s2, 2, v0
	;; [unrolled: 1-line block ×3, first 2 shown]
	s_wait_loadcnt_dscnt 0x0
	s_delay_alu instid0(VALU_DEP_3) | instskip(NEXT) | instid1(VALU_DEP_1)
	v_cndmask_b32_e64 v1, v2, v3, s1
	v_cndmask_b32_e64 v1, v1, v4, s2
	s_delay_alu instid0(VALU_DEP_1) | instskip(NEXT) | instid1(VALU_DEP_1)
	v_cndmask_b32_e64 v1, v1, v5, s3
	v_div_scale_f32 v7, null, v1, v1, 1.0
	v_div_scale_f32 v15, vcc_lo, 1.0, v1, 1.0
	s_delay_alu instid0(VALU_DEP_2) | instskip(SKIP_1) | instid1(TRANS32_DEP_1)
	v_rcp_f32_e32 v8, v7
	v_nop
	v_fma_f32 v9, -v7, v8, 1.0
	s_delay_alu instid0(VALU_DEP_1) | instskip(NEXT) | instid1(VALU_DEP_1)
	v_fmac_f32_e32 v8, v9, v8
	v_mul_f32_e32 v9, v15, v8
	s_delay_alu instid0(VALU_DEP_1) | instskip(NEXT) | instid1(VALU_DEP_1)
	v_fma_f32 v17, -v7, v9, v15
	v_fmac_f32_e32 v9, v17, v8
	s_delay_alu instid0(VALU_DEP_1) | instskip(NEXT) | instid1(VALU_DEP_1)
	v_fma_f32 v7, -v7, v9, v15
	v_div_fmas_f32 v7, v7, v8, v9
	s_delay_alu instid0(VALU_DEP_1) | instskip(NEXT) | instid1(VALU_DEP_1)
	v_div_fixup_f32 v1, v7, v1, 1.0
	v_dual_cndmask_b32 v5, v5, v1, s3 :: v_dual_cndmask_b32 v3, v3, v1, s1
	v_dual_cndmask_b32 v4, v4, v1, s2 :: v_dual_cndmask_b32 v2, v2, v1, s0
	v_xor_b32_e32 v7, 0x80000000, v1
.LBB67_3:
	v_dual_ashrrev_i32 v15, 31, v14 :: v_dual_ashrrev_i32 v17, 31, v16
	v_add_nc_u32_e32 v1, 16, v6
	s_cmp_eq_u32 s4, 0x79
	ds_store_b32 v6, v7
	s_cbranch_scc1 .LBB67_7
; %bb.4:
	s_wait_loadcnt_dscnt 0x1
	v_mov_b64_e32 v[8:9], v[4:5]
	v_mov_b64_e32 v[6:7], v[2:3]
	v_cmp_eq_u32_e64 s1, 3, v0
	ds_store_b32 v1, v4
	s_wait_dscnt 0x0
	s_barrier_signal -1
	s_barrier_wait -1
	s_and_saveexec_b32 s0, s1
	s_cbranch_execz .LBB67_11
; %bb.5:
	s_and_b32 vcc_lo, exec_lo, s8
	s_cbranch_vccz .LBB67_8
; %bb.6:
	ds_load_b32 v6, v1
	v_cmp_eq_u32_e32 vcc_lo, 1, v0
	v_cndmask_b32_e32 v7, v2, v3, vcc_lo
	v_cmp_eq_u32_e32 vcc_lo, 2, v0
	s_delay_alu instid0(VALU_DEP_2) | instskip(SKIP_1) | instid1(VALU_DEP_2)
	v_cndmask_b32_e32 v7, v7, v4, vcc_lo
	v_cmp_eq_u32_e32 vcc_lo, 3, v0
	v_cndmask_b32_e32 v7, v7, v5, vcc_lo
	s_wait_dscnt 0x0
	s_delay_alu instid0(VALU_DEP_1)
	v_mul_f32_e32 v6, v7, v6
	s_cbranch_execz .LBB67_9
	s_branch .LBB67_10
.LBB67_7:
                                        ; implicit-def: $vgpr6_vgpr7_vgpr8_vgpr9
	s_cbranch_execnz .LBB67_34
	s_branch .LBB67_55
.LBB67_8:
                                        ; implicit-def: $vgpr6
.LBB67_9:
	ds_load_b32 v6, v1
.LBB67_10:
	v_mov_b32_e32 v7, 0
	ds_load_b32 v7, v7 offset:8
	s_wait_dscnt 0x0
	v_mul_f32_e32 v18, v6, v7
	v_mov_b64_e32 v[8:9], v[4:5]
	v_mov_b64_e32 v[6:7], v[2:3]
	s_delay_alu instid0(VALU_DEP_3)
	v_mov_b32_e32 v8, v18
.LBB67_11:
	s_or_b32 exec_lo, exec_lo, s0
	v_cmp_lt_u32_e64 s0, 1, v0
	ds_store_b32 v1, v7
	s_wait_dscnt 0x0
	s_barrier_signal -1
	s_barrier_wait -1
	s_and_saveexec_b32 s2, s0
	s_cbranch_execz .LBB67_17
; %bb.12:
	s_and_not1_b32 vcc_lo, exec_lo, s8
	s_cbranch_vccnz .LBB67_14
; %bb.13:
	ds_load_b32 v18, v1
	v_cmp_eq_u32_e32 vcc_lo, 1, v0
	v_cndmask_b32_e32 v7, v6, v7, vcc_lo
	v_cmp_eq_u32_e32 vcc_lo, 2, v0
	s_delay_alu instid0(VALU_DEP_2) | instskip(SKIP_1) | instid1(VALU_DEP_2)
	v_cndmask_b32_e32 v7, v7, v8, vcc_lo
	v_cmp_eq_u32_e32 vcc_lo, 3, v0
	v_cndmask_b32_e32 v7, v7, v9, vcc_lo
	s_wait_dscnt 0x0
	s_delay_alu instid0(VALU_DEP_1)
	v_mul_f32_e32 v7, v7, v18
	s_cbranch_execz .LBB67_15
	s_branch .LBB67_16
.LBB67_14:
                                        ; implicit-def: $vgpr7
.LBB67_15:
	ds_load_b32 v7, v1
.LBB67_16:
	v_mov_b32_e32 v18, 0
	ds_load_2addr_b32 v[18:19], v18 offset0:1 offset1:6
	s_wait_dscnt 0x0
	v_fma_f32 v19, v8, v19, v7
	s_delay_alu instid0(VALU_DEP_1) | instskip(NEXT) | instid1(VALU_DEP_1)
	v_cndmask_b32_e64 v7, v7, v19, s1
	v_mul_f32_e32 v7, v7, v18
.LBB67_17:
	s_or_b32 exec_lo, exec_lo, s2
	s_mov_b32 s1, 0
	s_mov_b32 s4, exec_lo
	ds_store_b32 v1, v6
	s_wait_dscnt 0x0
	s_barrier_signal -1
	s_barrier_wait -1
	v_cmpx_ne_u32_e32 0, v0
	s_cbranch_execz .LBB67_33
; %bb.18:
	s_and_not1_b32 vcc_lo, exec_lo, s8
	s_cbranch_vccnz .LBB67_20
; %bb.19:
	ds_load_b32 v18, v1
	v_cmp_eq_u32_e32 vcc_lo, 1, v0
	v_cndmask_b32_e32 v19, v6, v7, vcc_lo
	v_cmp_eq_u32_e32 vcc_lo, 2, v0
	s_delay_alu instid0(VALU_DEP_2) | instskip(SKIP_1) | instid1(VALU_DEP_2)
	v_cndmask_b32_e32 v19, v19, v8, vcc_lo
	v_cmp_eq_u32_e32 vcc_lo, 3, v0
	v_cndmask_b32_e32 v19, v19, v9, vcc_lo
	s_wait_dscnt 0x0
	s_delay_alu instid0(VALU_DEP_1)
	v_mul_f32_e32 v19, v19, v18
	s_cbranch_execz .LBB67_21
	s_branch .LBB67_22
.LBB67_20:
                                        ; implicit-def: $vgpr19
.LBB67_21:
	ds_load_b32 v19, v1
.LBB67_22:
	s_and_saveexec_b32 s5, s0
	s_cbranch_execz .LBB67_32
; %bb.23:
	v_dual_add_nc_u32 v18, -2, v0 :: v_dual_add_nc_u32 v21, -1, v0
	v_mov_b32_e32 v20, 1
	s_mov_b32 s9, exec_lo
	s_delay_alu instid0(VALU_DEP_2)
	v_cmpx_lt_u32_e32 6, v18
	s_cbranch_execz .LBB67_27
; %bb.24:
	v_and_b32_e32 v18, -8, v21
	s_mov_b32 s10, 0
	s_mov_b64 s[2:3], 8
	s_mov_b32 s11, 20
	s_delay_alu instid0(VALU_DEP_1)
	v_sub_nc_u32_e32 v18, 0, v18
.LBB67_25:                              ; =>This Inner Loop Header: Depth=1
	s_add_co_i32 s0, s2, -7
	s_delay_alu instid0(SALU_CYCLE_1) | instskip(SKIP_1) | instid1(SALU_CYCLE_1)
	s_cmp_eq_u32 s0, 1
	s_cselect_b32 vcc_lo, -1, 0
	v_dual_mov_b32 v20, s11 :: v_dual_cndmask_b32 v30, v6, v7, vcc_lo
	s_cmp_eq_u32 s0, 2
	ds_load_2addr_b32 v[22:23], v20 offset1:1
	ds_load_2addr_b32 v[24:25], v20 offset0:2 offset1:3
	ds_load_2addr_b32 v[26:27], v20 offset0:4 offset1:5
	;; [unrolled: 1-line block ×3, first 2 shown]
	s_cselect_b32 vcc_lo, -1, 0
	s_cmp_eq_u32 s0, 3
	v_cndmask_b32_e32 v20, v30, v8, vcc_lo
	s_cselect_b32 vcc_lo, -1, 0
	s_add_co_i32 s12, s2, -6
	s_delay_alu instid0(SALU_CYCLE_1) | instskip(NEXT) | instid1(VALU_DEP_1)
	s_cmp_eq_u32 s12, 1
	v_cndmask_b32_e32 v20, v20, v9, vcc_lo
	s_cselect_b32 s0, -1, 0
	s_cmp_eq_u32 s12, 2
	v_cndmask_b32_e64 v30, v6, v7, s0
	s_cselect_b32 vcc_lo, -1, 0
	s_cmp_eq_u32 s12, 3
	s_delay_alu instid0(VALU_DEP_1)
	v_cndmask_b32_e32 v30, v30, v8, vcc_lo
	s_cselect_b32 vcc_lo, -1, 0
	s_add_co_i32 s12, s2, -5
	s_wait_dscnt 0x3
	v_fmac_f32_e32 v19, v20, v22
	s_cmp_eq_u32 s12, 1
	s_cselect_b32 s0, -1, 0
	s_cmp_eq_u32 s12, 2
	v_cndmask_b32_e64 v31, v6, v7, s0
	v_cndmask_b32_e32 v30, v30, v9, vcc_lo
	s_cselect_b32 vcc_lo, -1, 0
	s_cmp_eq_u32 s12, 3
	s_delay_alu instid0(VALU_DEP_2)
	v_cndmask_b32_e32 v20, v31, v8, vcc_lo
	s_cselect_b32 vcc_lo, -1, 0
	s_add_co_i32 s12, s2, -4
	v_fmac_f32_e32 v19, v30, v23
	s_cmp_eq_u32 s12, 1
	v_cndmask_b32_e32 v20, v20, v9, vcc_lo
	s_cselect_b32 s0, -1, 0
	s_cmp_eq_u32 s12, 2
	v_cndmask_b32_e64 v22, v6, v7, s0
	s_cselect_b32 vcc_lo, -1, 0
	s_cmp_eq_u32 s12, 3
	s_wait_dscnt 0x2
	v_fmac_f32_e32 v19, v20, v24
	v_cndmask_b32_e32 v22, v22, v8, vcc_lo
	s_cselect_b32 vcc_lo, -1, 0
	s_add_co_i32 s12, s2, -3
	s_delay_alu instid0(SALU_CYCLE_1) | instskip(NEXT) | instid1(VALU_DEP_1)
	s_cmp_eq_u32 s12, 1
	v_cndmask_b32_e32 v22, v22, v9, vcc_lo
	s_cselect_b32 s0, -1, 0
	s_cmp_eq_u32 s12, 2
	v_cndmask_b32_e64 v20, v6, v7, s0
	s_cselect_b32 vcc_lo, -1, 0
	s_cmp_eq_u32 s12, 3
	s_delay_alu instid0(VALU_DEP_1) | instskip(SKIP_2) | instid1(SALU_CYCLE_1)
	v_cndmask_b32_e32 v20, v20, v8, vcc_lo
	s_cselect_b32 vcc_lo, -1, 0
	s_add_co_i32 s12, s2, -2
	s_cmp_eq_u32 s12, 1
	s_delay_alu instid0(VALU_DEP_1)
	v_cndmask_b32_e32 v20, v20, v9, vcc_lo
	s_cselect_b32 s0, -1, 0
	s_cmp_eq_u32 s12, 2
	s_cselect_b32 vcc_lo, -1, 0
	v_fmac_f32_e32 v19, v22, v25
	v_cndmask_b32_e64 v22, v6, v7, s0
	s_cmp_eq_u32 s12, 3
	s_delay_alu instid0(VALU_DEP_1) | instskip(SKIP_2) | instid1(SALU_CYCLE_1)
	v_cndmask_b32_e32 v22, v22, v8, vcc_lo
	s_cselect_b32 vcc_lo, -1, 0
	s_add_co_i32 s12, s2, -1
	s_cmp_eq_u32 s12, 1
	s_cselect_b32 s0, -1, 0
	s_wait_dscnt 0x1
	v_dual_fmac_f32 v19, v20, v26 :: v_dual_cndmask_b32 v20, v6, v7, s0
	s_cmp_eq_u32 s12, 2
	v_cndmask_b32_e32 v22, v22, v9, vcc_lo
	s_cselect_b32 vcc_lo, -1, 0
	s_cmp_eq_u32 s12, 3
	v_cndmask_b32_e32 v20, v20, v8, vcc_lo
	s_cselect_b32 vcc_lo, -1, 0
	s_cmp_eq_u32 s2, 1
	v_fmac_f32_e32 v19, v22, v27
	s_cselect_b32 s0, -1, 0
	s_cmp_eq_u32 s2, 2
	v_cndmask_b32_e64 v22, v6, v7, s0
	s_cselect_b32 s0, -1, 0
	s_cmp_eq_u32 s2, 3
	s_add_nc_u64 s[2:3], s[2:3], 8
	s_delay_alu instid0(SALU_CYCLE_1)
	v_dual_cndmask_b32 v20, v20, v9 :: v_dual_add_nc_u32 v23, s2, v18
	v_cndmask_b32_e64 v22, v22, v8, s0
	s_cselect_b32 vcc_lo, -1, 0
	s_add_co_i32 s0, s2, -7
	s_wait_dscnt 0x0
	v_dual_fmac_f32 v19, v20, v28 :: v_dual_mov_b32 v20, s0
	v_cndmask_b32_e32 v22, v22, v9, vcc_lo
	v_cmp_eq_u32_e32 vcc_lo, 8, v23
	s_add_co_i32 s11, s11, 32
	s_delay_alu instid0(VALU_DEP_2) | instskip(SKIP_1) | instid1(SALU_CYCLE_1)
	v_fmac_f32_e32 v19, v22, v29
	s_or_b32 s10, vcc_lo, s10
	s_and_not1_b32 exec_lo, exec_lo, s10
	s_cbranch_execnz .LBB67_25
; %bb.26:
	s_or_b32 exec_lo, exec_lo, s10
.LBB67_27:
	s_delay_alu instid0(SALU_CYCLE_1) | instskip(SKIP_3) | instid1(VALU_DEP_1)
	s_or_b32 exec_lo, exec_lo, s9
	v_and_b32_e32 v18, 7, v21
	s_mov_b32 s2, 0
	s_mov_b32 s0, exec_lo
	v_cmpx_ne_u32_e32 0, v18
	s_cbranch_execz .LBB67_31
; %bb.28:
	v_lshl_add_u32 v22, v20, 2, 16
	v_mov_b32_e32 v21, 0
.LBB67_29:                              ; =>This Inner Loop Header: Depth=1
	ds_load_b32 v23, v22
	v_cmp_eq_u32_e32 vcc_lo, 1, v20
	v_add_nc_u32_e32 v18, -1, v18
	v_dual_add_nc_u32 v22, 4, v22 :: v_dual_cndmask_b32 v24, v6, v7, vcc_lo
	v_cmp_eq_u32_e32 vcc_lo, 2, v20
	s_delay_alu instid0(VALU_DEP_2) | instskip(SKIP_2) | instid1(VALU_DEP_3)
	v_cndmask_b32_e32 v24, v24, v8, vcc_lo
	v_cmp_eq_u32_e32 vcc_lo, 3, v20
	v_add_nc_u64_e32 v[20:21], 1, v[20:21]
	v_cndmask_b32_e32 v24, v24, v9, vcc_lo
	v_cmp_eq_u32_e32 vcc_lo, 0, v18
	s_wait_dscnt 0x0
	s_delay_alu instid0(VALU_DEP_2) | instskip(SKIP_1) | instid1(SALU_CYCLE_1)
	v_fmac_f32_e32 v19, v24, v23
	s_or_b32 s2, vcc_lo, s2
	s_and_not1_b32 exec_lo, exec_lo, s2
	s_cbranch_execnz .LBB67_29
; %bb.30:
	s_or_b32 exec_lo, exec_lo, s2
.LBB67_31:
	s_delay_alu instid0(SALU_CYCLE_1)
	s_or_b32 exec_lo, exec_lo, s0
.LBB67_32:
	s_delay_alu instid0(SALU_CYCLE_1)
	s_or_b32 exec_lo, exec_lo, s5
	v_mov_b32_e32 v6, 0
	ds_load_b32 v6, v6
	s_wait_dscnt 0x0
	v_mul_f32_e32 v6, v19, v6
.LBB67_33:
	s_or_b32 exec_lo, exec_lo, s4
	s_delay_alu instid0(SALU_CYCLE_1)
	s_and_b32 vcc_lo, exec_lo, s1
	s_cbranch_vccz .LBB67_55
.LBB67_34:
	v_cmp_eq_u32_e64 s0, 0, v0
	s_wait_loadcnt_dscnt 0x1
	ds_store_b32 v1, v3
	s_wait_dscnt 0x0
	s_barrier_signal -1
	s_barrier_wait -1
	s_and_saveexec_b32 s1, s0
	s_cbranch_execz .LBB67_40
; %bb.35:
	s_and_b32 vcc_lo, exec_lo, s8
	s_cbranch_vccz .LBB67_37
; %bb.36:
	ds_load_b32 v6, v1
	v_cmp_eq_u32_e32 vcc_lo, 1, v0
	v_cndmask_b32_e32 v3, v2, v3, vcc_lo
	v_cmp_eq_u32_e32 vcc_lo, 2, v0
	s_delay_alu instid0(VALU_DEP_2) | instskip(SKIP_1) | instid1(VALU_DEP_2)
	v_cndmask_b32_e32 v3, v3, v4, vcc_lo
	v_cmp_eq_u32_e32 vcc_lo, 3, v0
	v_cndmask_b32_e32 v3, v3, v5, vcc_lo
	s_wait_dscnt 0x0
	s_delay_alu instid0(VALU_DEP_1)
	v_mul_f32_e32 v3, v3, v6
	s_cbranch_execz .LBB67_38
	s_branch .LBB67_39
.LBB67_37:
                                        ; implicit-def: $vgpr3
.LBB67_38:
	ds_load_b32 v3, v1
.LBB67_39:
	v_mov_b32_e32 v6, 0
	ds_load_b32 v6, v6 offset:4
	s_wait_dscnt 0x0
	v_mul_f32_e32 v3, v3, v6
.LBB67_40:
	s_or_b32 exec_lo, exec_lo, s1
	v_cmp_gt_u32_e64 s1, 2, v0
	v_cndmask_b32_e64 v6, 0, 1, s8
	ds_store_b32 v1, v4
	s_wait_dscnt 0x0
	s_barrier_signal -1
	s_barrier_wait -1
	s_and_saveexec_b32 s2, s1
	s_cbranch_execz .LBB67_46
; %bb.41:
	s_and_not1_b32 vcc_lo, exec_lo, s8
	s_cbranch_vccnz .LBB67_43
; %bb.42:
	ds_load_b32 v7, v1
	v_cmp_eq_u32_e32 vcc_lo, 1, v0
	v_cndmask_b32_e32 v8, v2, v3, vcc_lo
	v_cmp_eq_u32_e32 vcc_lo, 2, v0
	s_delay_alu instid0(VALU_DEP_2) | instskip(SKIP_1) | instid1(VALU_DEP_2)
	v_cndmask_b32_e32 v4, v8, v4, vcc_lo
	v_cmp_eq_u32_e32 vcc_lo, 3, v0
	v_cndmask_b32_e32 v4, v4, v5, vcc_lo
	s_wait_dscnt 0x0
	s_delay_alu instid0(VALU_DEP_1)
	v_mul_f32_e32 v4, v4, v7
	s_cbranch_execz .LBB67_44
	s_branch .LBB67_45
.LBB67_43:
                                        ; implicit-def: $vgpr4
.LBB67_44:
	ds_load_b32 v4, v1
.LBB67_45:
	v_mov_b32_e32 v7, 0
	ds_load_2addr_b32 v[8:9], v7 offset0:2 offset1:5
	s_wait_dscnt 0x0
	v_fma_f32 v7, v3, v9, v4
	s_delay_alu instid0(VALU_DEP_1) | instskip(NEXT) | instid1(VALU_DEP_1)
	v_cndmask_b32_e64 v4, v4, v7, s0
	v_mul_f32_e32 v4, v4, v8
.LBB67_46:
	s_or_b32 exec_lo, exec_lo, s2
	s_delay_alu instid0(SALU_CYCLE_1)
	s_mov_b32 s2, exec_lo
	ds_store_b32 v1, v5
	s_wait_dscnt 0x0
	s_barrier_signal -1
	s_barrier_wait -1
	v_cmpx_ne_u32_e32 3, v0
	s_cbranch_execz .LBB67_54
; %bb.47:
	v_cmp_ne_u32_e32 vcc_lo, 1, v6
	s_cbranch_vccnz .LBB67_49
; %bb.48:
	ds_load_b32 v6, v1
	v_cmp_eq_u32_e32 vcc_lo, 1, v0
	v_cndmask_b32_e32 v7, v2, v3, vcc_lo
	v_cmp_eq_u32_e32 vcc_lo, 2, v0
	s_delay_alu instid0(VALU_DEP_2) | instskip(SKIP_1) | instid1(VALU_DEP_2)
	v_cndmask_b32_e32 v7, v7, v4, vcc_lo
	v_cmp_eq_u32_e32 vcc_lo, 3, v0
	v_cndmask_b32_e32 v7, v7, v5, vcc_lo
	s_wait_dscnt 0x0
	s_delay_alu instid0(VALU_DEP_1)
	v_mul_f32_e32 v6, v7, v6
	s_cbranch_execz .LBB67_50
	s_branch .LBB67_51
.LBB67_49:
                                        ; implicit-def: $vgpr6
.LBB67_50:
	ds_load_b32 v6, v1
.LBB67_51:
	s_and_saveexec_b32 s3, s1
	s_cbranch_execz .LBB67_53
; %bb.52:
	v_dual_mov_b32 v7, 0 :: v_dual_add_nc_u32 v0, 1, v0
	ds_load_b32 v1, v1 offset:4
	v_cmp_eq_u32_e32 vcc_lo, 1, v0
	ds_load_b32 v7, v7 offset:24
	v_cndmask_b32_e32 v8, v2, v3, vcc_lo
	v_cmp_eq_u32_e32 vcc_lo, 2, v0
	s_delay_alu instid0(VALU_DEP_2) | instskip(SKIP_1) | instid1(VALU_DEP_2)
	v_cndmask_b32_e32 v8, v8, v4, vcc_lo
	v_cmp_eq_u32_e32 vcc_lo, 3, v0
	v_cndmask_b32_e32 v0, v8, v5, vcc_lo
	s_wait_dscnt 0x1
	s_delay_alu instid0(VALU_DEP_1) | instskip(SKIP_1) | instid1(VALU_DEP_1)
	v_fmac_f32_e32 v6, v0, v1
	s_wait_dscnt 0x0
	v_fma_f32 v0, v4, v7, v6
	s_delay_alu instid0(VALU_DEP_1)
	v_cndmask_b32_e64 v6, v6, v0, s0
.LBB67_53:
	s_or_b32 exec_lo, exec_lo, s3
	v_mov_b32_e32 v0, 0
	ds_load_b32 v0, v0 offset:12
	s_wait_dscnt 0x0
	v_mul_f32_e32 v5, v6, v0
.LBB67_54:
	s_or_b32 exec_lo, exec_lo, s2
	s_delay_alu instid0(VALU_DEP_1)
	v_mov_b64_e32 v[8:9], v[4:5]
	v_mov_b64_e32 v[6:7], v[2:3]
.LBB67_55:
	s_wait_xcnt 0x3
	v_lshl_add_u64 v[0:1], v[14:15], 2, s[6:7]
	s_wait_loadcnt_dscnt 0x1
	v_lshl_add_u64 v[2:3], v[16:17], 2, s[6:7]
	s_clause 0x3
	flat_store_b32 v[10:11], v6
	flat_store_b32 v[12:13], v7
	;; [unrolled: 1-line block ×4, first 2 shown]
.LBB67_56:
	s_endpgm
	.section	.rodata,"a",@progbits
	.p2align	6, 0x0
	.amdhsa_kernel _ZN9rocsolver6v33100L18trti2_kernel_smallILi4EfPKPfEEv13rocblas_fill_17rocblas_diagonal_T1_iil
		.amdhsa_group_segment_fixed_size 32
		.amdhsa_private_segment_fixed_size 0
		.amdhsa_kernarg_size 32
		.amdhsa_user_sgpr_count 2
		.amdhsa_user_sgpr_dispatch_ptr 0
		.amdhsa_user_sgpr_queue_ptr 0
		.amdhsa_user_sgpr_kernarg_segment_ptr 1
		.amdhsa_user_sgpr_dispatch_id 0
		.amdhsa_user_sgpr_kernarg_preload_length 0
		.amdhsa_user_sgpr_kernarg_preload_offset 0
		.amdhsa_user_sgpr_private_segment_size 0
		.amdhsa_wavefront_size32 1
		.amdhsa_uses_dynamic_stack 0
		.amdhsa_enable_private_segment 0
		.amdhsa_system_sgpr_workgroup_id_x 1
		.amdhsa_system_sgpr_workgroup_id_y 0
		.amdhsa_system_sgpr_workgroup_id_z 0
		.amdhsa_system_sgpr_workgroup_info 0
		.amdhsa_system_vgpr_workitem_id 0
		.amdhsa_next_free_vgpr 32
		.amdhsa_next_free_sgpr 13
		.amdhsa_named_barrier_count 0
		.amdhsa_reserve_vcc 1
		.amdhsa_float_round_mode_32 0
		.amdhsa_float_round_mode_16_64 0
		.amdhsa_float_denorm_mode_32 3
		.amdhsa_float_denorm_mode_16_64 3
		.amdhsa_fp16_overflow 0
		.amdhsa_memory_ordered 1
		.amdhsa_forward_progress 1
		.amdhsa_inst_pref_size 18
		.amdhsa_round_robin_scheduling 0
		.amdhsa_exception_fp_ieee_invalid_op 0
		.amdhsa_exception_fp_denorm_src 0
		.amdhsa_exception_fp_ieee_div_zero 0
		.amdhsa_exception_fp_ieee_overflow 0
		.amdhsa_exception_fp_ieee_underflow 0
		.amdhsa_exception_fp_ieee_inexact 0
		.amdhsa_exception_int_div_zero 0
	.end_amdhsa_kernel
	.section	.text._ZN9rocsolver6v33100L18trti2_kernel_smallILi4EfPKPfEEv13rocblas_fill_17rocblas_diagonal_T1_iil,"axG",@progbits,_ZN9rocsolver6v33100L18trti2_kernel_smallILi4EfPKPfEEv13rocblas_fill_17rocblas_diagonal_T1_iil,comdat
.Lfunc_end67:
	.size	_ZN9rocsolver6v33100L18trti2_kernel_smallILi4EfPKPfEEv13rocblas_fill_17rocblas_diagonal_T1_iil, .Lfunc_end67-_ZN9rocsolver6v33100L18trti2_kernel_smallILi4EfPKPfEEv13rocblas_fill_17rocblas_diagonal_T1_iil
                                        ; -- End function
	.set _ZN9rocsolver6v33100L18trti2_kernel_smallILi4EfPKPfEEv13rocblas_fill_17rocblas_diagonal_T1_iil.num_vgpr, 32
	.set _ZN9rocsolver6v33100L18trti2_kernel_smallILi4EfPKPfEEv13rocblas_fill_17rocblas_diagonal_T1_iil.num_agpr, 0
	.set _ZN9rocsolver6v33100L18trti2_kernel_smallILi4EfPKPfEEv13rocblas_fill_17rocblas_diagonal_T1_iil.numbered_sgpr, 13
	.set _ZN9rocsolver6v33100L18trti2_kernel_smallILi4EfPKPfEEv13rocblas_fill_17rocblas_diagonal_T1_iil.num_named_barrier, 0
	.set _ZN9rocsolver6v33100L18trti2_kernel_smallILi4EfPKPfEEv13rocblas_fill_17rocblas_diagonal_T1_iil.private_seg_size, 0
	.set _ZN9rocsolver6v33100L18trti2_kernel_smallILi4EfPKPfEEv13rocblas_fill_17rocblas_diagonal_T1_iil.uses_vcc, 1
	.set _ZN9rocsolver6v33100L18trti2_kernel_smallILi4EfPKPfEEv13rocblas_fill_17rocblas_diagonal_T1_iil.uses_flat_scratch, 1
	.set _ZN9rocsolver6v33100L18trti2_kernel_smallILi4EfPKPfEEv13rocblas_fill_17rocblas_diagonal_T1_iil.has_dyn_sized_stack, 0
	.set _ZN9rocsolver6v33100L18trti2_kernel_smallILi4EfPKPfEEv13rocblas_fill_17rocblas_diagonal_T1_iil.has_recursion, 0
	.set _ZN9rocsolver6v33100L18trti2_kernel_smallILi4EfPKPfEEv13rocblas_fill_17rocblas_diagonal_T1_iil.has_indirect_call, 0
	.section	.AMDGPU.csdata,"",@progbits
; Kernel info:
; codeLenInByte = 2280
; TotalNumSgprs: 15
; NumVgprs: 32
; ScratchSize: 0
; MemoryBound: 0
; FloatMode: 240
; IeeeMode: 1
; LDSByteSize: 32 bytes/workgroup (compile time only)
; SGPRBlocks: 0
; VGPRBlocks: 1
; NumSGPRsForWavesPerEU: 15
; NumVGPRsForWavesPerEU: 32
; NamedBarCnt: 0
; Occupancy: 16
; WaveLimiterHint : 1
; COMPUTE_PGM_RSRC2:SCRATCH_EN: 0
; COMPUTE_PGM_RSRC2:USER_SGPR: 2
; COMPUTE_PGM_RSRC2:TRAP_HANDLER: 0
; COMPUTE_PGM_RSRC2:TGID_X_EN: 1
; COMPUTE_PGM_RSRC2:TGID_Y_EN: 0
; COMPUTE_PGM_RSRC2:TGID_Z_EN: 0
; COMPUTE_PGM_RSRC2:TIDIG_COMP_CNT: 0
	.section	.text._ZN9rocsolver6v33100L18trti2_kernel_smallILi5EfPKPfEEv13rocblas_fill_17rocblas_diagonal_T1_iil,"axG",@progbits,_ZN9rocsolver6v33100L18trti2_kernel_smallILi5EfPKPfEEv13rocblas_fill_17rocblas_diagonal_T1_iil,comdat
	.globl	_ZN9rocsolver6v33100L18trti2_kernel_smallILi5EfPKPfEEv13rocblas_fill_17rocblas_diagonal_T1_iil ; -- Begin function _ZN9rocsolver6v33100L18trti2_kernel_smallILi5EfPKPfEEv13rocblas_fill_17rocblas_diagonal_T1_iil
	.p2align	8
	.type	_ZN9rocsolver6v33100L18trti2_kernel_smallILi5EfPKPfEEv13rocblas_fill_17rocblas_diagonal_T1_iil,@function
_ZN9rocsolver6v33100L18trti2_kernel_smallILi5EfPKPfEEv13rocblas_fill_17rocblas_diagonal_T1_iil: ; @_ZN9rocsolver6v33100L18trti2_kernel_smallILi5EfPKPfEEv13rocblas_fill_17rocblas_diagonal_T1_iil
; %bb.0:
	s_mov_b32 s2, exec_lo
	v_cmpx_gt_u32_e32 5, v0
	s_cbranch_execz .LBB68_82
; %bb.1:
	s_clause 0x1
	s_load_b64 s[2:3], s[0:1], 0x10
	s_load_b128 s[8:11], s[0:1], 0x0
	s_wait_xcnt 0x0
	s_bfe_u32 s0, ttmp6, 0x4000c
	s_and_b32 s1, ttmp6, 15
	s_add_co_i32 s0, s0, 1
	s_getreg_b32 s4, hwreg(HW_REG_IB_STS2, 6, 4)
	s_mul_i32 s0, ttmp9, s0
	v_dual_mov_b32 v1, 0 :: v_dual_lshlrev_b32 v8, 2, v0
	s_add_co_i32 s0, s1, s0
	s_wait_kmcnt 0x0
	s_ashr_i32 s1, s2, 31
	s_cmp_eq_u32 s4, 0
	v_add3_u32 v18, s3, s3, v0
	s_cselect_b32 s4, ttmp9, s0
	s_mov_b32 s0, s2
	s_ashr_i32 s5, s4, 31
	s_delay_alu instid0(VALU_DEP_1)
	v_dual_mov_b32 v9, v1 :: v_dual_add_nc_u32 v20, s3, v18
	s_lshl_b64 s[4:5], s[4:5], 3
	s_lshl_b64 s[0:1], s[0:1], 2
	s_add_nc_u64 s[4:5], s[10:11], s[4:5]
	s_load_b64 s[4:5], s[4:5], 0x0
	v_add_nc_u32_e32 v22, s3, v20
	s_wait_kmcnt 0x0
	s_add_nc_u64 s[6:7], s[4:5], s[0:1]
	s_mov_b32 s0, s3
	v_add_nc_u64_e32 v[14:15], s[6:7], v[8:9]
	s_ashr_i32 s1, s3, 31
	v_mov_b32_e32 v9, -1.0
	s_cmp_lg_u32 s9, 0x84
	s_cselect_b32 s5, -1, 0
	s_cmp_eq_u32 s9, 0x84
	s_delay_alu instid0(VALU_DEP_2)
	v_lshl_add_u64 v[16:17], s[0:1], 2, v[14:15]
	v_cmp_eq_u32_e64 s0, 0, v0
	s_clause 0x4
	flat_load_b32 v2, v0, s[6:7] scale_offset
	flat_load_b32 v3, v[16:17]
	flat_load_b32 v4, v18, s[6:7] scale_offset
	flat_load_b32 v5, v20, s[6:7] scale_offset
	;; [unrolled: 1-line block ×3, first 2 shown]
	s_cbranch_scc1 .LBB68_3
; %bb.2:
	v_cmp_eq_u32_e64 s1, 1, v0
	v_cmp_eq_u32_e64 s2, 2, v0
	;; [unrolled: 1-line block ×4, first 2 shown]
	s_wait_loadcnt_dscnt 0x303
	v_cndmask_b32_e64 v7, v2, v3, s1
	s_wait_loadcnt_dscnt 0x202
	s_delay_alu instid0(VALU_DEP_1) | instskip(SKIP_1) | instid1(VALU_DEP_1)
	v_cndmask_b32_e64 v7, v7, v4, s2
	s_wait_loadcnt_dscnt 0x101
	v_cndmask_b32_e64 v7, v7, v5, s3
	s_wait_loadcnt_dscnt 0x0
	s_delay_alu instid0(VALU_DEP_1) | instskip(NEXT) | instid1(VALU_DEP_1)
	v_cndmask_b32_e64 v7, v7, v6, s4
	v_div_scale_f32 v9, null, v7, v7, 1.0
	v_div_scale_f32 v12, vcc_lo, 1.0, v7, 1.0
	s_delay_alu instid0(VALU_DEP_2) | instskip(SKIP_1) | instid1(TRANS32_DEP_1)
	v_rcp_f32_e32 v10, v9
	v_nop
	v_fma_f32 v11, -v9, v10, 1.0
	s_delay_alu instid0(VALU_DEP_1) | instskip(NEXT) | instid1(VALU_DEP_1)
	v_fmac_f32_e32 v10, v11, v10
	v_mul_f32_e32 v11, v12, v10
	s_delay_alu instid0(VALU_DEP_1) | instskip(NEXT) | instid1(VALU_DEP_1)
	v_fma_f32 v13, -v9, v11, v12
	v_fmac_f32_e32 v11, v13, v10
	s_delay_alu instid0(VALU_DEP_1) | instskip(NEXT) | instid1(VALU_DEP_1)
	v_fma_f32 v9, -v9, v11, v12
	v_div_fmas_f32 v9, v9, v10, v11
	s_delay_alu instid0(VALU_DEP_1) | instskip(NEXT) | instid1(VALU_DEP_1)
	v_div_fixup_f32 v7, v9, v7, 1.0
	v_dual_cndmask_b32 v6, v6, v7, s4 :: v_dual_cndmask_b32 v5, v5, v7, s3
	v_dual_cndmask_b32 v4, v4, v7, s2 :: v_dual_cndmask_b32 v3, v3, v7, s1
	v_cndmask_b32_e64 v2, v2, v7, s0
	v_xor_b32_e32 v9, 0x80000000, v7
.LBB68_3:
	v_dual_ashrrev_i32 v19, 31, v18 :: v_dual_ashrrev_i32 v21, 31, v20
	v_dual_ashrrev_i32 v23, 31, v22 :: v_dual_add_nc_u32 v7, 32, v8
	s_cmp_eq_u32 s8, 0x79
	ds_store_b32 v8, v9
	s_cbranch_scc1 .LBB68_7
; %bb.4:
	s_wait_loadcnt_dscnt 0x1
	v_dual_mov_b32 v12, v6 :: v_dual_mov_b32 v11, v5
	v_cmp_eq_u32_e64 s0, 4, v0
	v_dual_mov_b32 v10, v4 :: v_dual_mov_b32 v9, v3
	v_mov_b32_e32 v8, v2
	ds_store_b32 v7, v5
	s_wait_dscnt 0x0
	s_barrier_signal -1
	s_barrier_wait -1
	s_and_saveexec_b32 s1, s0
	s_cbranch_execz .LBB68_11
; %bb.5:
	s_and_b32 vcc_lo, exec_lo, s5
	s_cbranch_vccz .LBB68_8
; %bb.6:
	v_cmp_eq_u32_e32 vcc_lo, 1, v0
	ds_load_b32 v9, v7
	v_cndmask_b32_e32 v8, v2, v3, vcc_lo
	v_cmp_eq_u32_e32 vcc_lo, 2, v0
	s_delay_alu instid0(VALU_DEP_2) | instskip(SKIP_1) | instid1(VALU_DEP_2)
	v_cndmask_b32_e32 v8, v8, v4, vcc_lo
	v_cmp_eq_u32_e32 vcc_lo, 3, v0
	v_cndmask_b32_e32 v8, v8, v5, vcc_lo
	v_cmp_eq_u32_e32 vcc_lo, 4, v0
	s_delay_alu instid0(VALU_DEP_2) | instskip(SKIP_1) | instid1(VALU_DEP_1)
	v_cndmask_b32_e32 v8, v8, v6, vcc_lo
	s_wait_dscnt 0x0
	v_mul_f32_e32 v8, v8, v9
	s_cbranch_execz .LBB68_9
	s_branch .LBB68_10
.LBB68_7:
                                        ; implicit-def: $vgpr8_vgpr9_vgpr10_vgpr11_vgpr12
	s_cbranch_execnz .LBB68_50
	s_branch .LBB68_81
.LBB68_8:
                                        ; implicit-def: $vgpr8
.LBB68_9:
	ds_load_b32 v8, v7
.LBB68_10:
	v_mov_b32_e32 v9, 0
	ds_load_b32 v9, v9 offset:12
	s_wait_dscnt 0x0
	v_dual_mul_f32 v13, v8, v9 :: v_dual_mov_b32 v12, v6
	v_dual_mov_b32 v11, v5 :: v_dual_mov_b32 v10, v4
	v_dual_mov_b32 v9, v3 :: v_dual_mov_b32 v8, v2
	s_delay_alu instid0(VALU_DEP_3)
	v_mov_b32_e32 v11, v13
.LBB68_11:
	s_or_b32 exec_lo, exec_lo, s1
	v_cmp_lt_u32_e64 s1, 2, v0
	ds_store_b32 v7, v10
	s_wait_dscnt 0x0
	s_barrier_signal -1
	s_barrier_wait -1
	s_and_saveexec_b32 s2, s1
	s_cbranch_execz .LBB68_17
; %bb.12:
	s_and_not1_b32 vcc_lo, exec_lo, s5
	s_cbranch_vccnz .LBB68_14
; %bb.13:
	v_cmp_eq_u32_e32 vcc_lo, 1, v0
	ds_load_b32 v24, v7
	v_cndmask_b32_e32 v13, v8, v9, vcc_lo
	v_cmp_eq_u32_e32 vcc_lo, 2, v0
	s_delay_alu instid0(VALU_DEP_2) | instskip(SKIP_1) | instid1(VALU_DEP_2)
	v_cndmask_b32_e32 v10, v13, v10, vcc_lo
	v_cmp_eq_u32_e32 vcc_lo, 3, v0
	v_cndmask_b32_e32 v10, v10, v11, vcc_lo
	v_cmp_eq_u32_e32 vcc_lo, 4, v0
	s_delay_alu instid0(VALU_DEP_2) | instskip(SKIP_1) | instid1(VALU_DEP_1)
	v_cndmask_b32_e32 v10, v10, v12, vcc_lo
	s_wait_dscnt 0x0
	v_mul_f32_e32 v10, v10, v24
	s_cbranch_execz .LBB68_15
	s_branch .LBB68_16
.LBB68_14:
                                        ; implicit-def: $vgpr10
.LBB68_15:
	ds_load_b32 v10, v7
.LBB68_16:
	v_mov_b32_e32 v13, 0
	ds_load_2addr_b32 v[24:25], v13 offset0:2 offset1:11
	s_wait_dscnt 0x0
	v_fma_f32 v13, v11, v25, v10
	s_delay_alu instid0(VALU_DEP_1) | instskip(NEXT) | instid1(VALU_DEP_1)
	v_cndmask_b32_e64 v10, v10, v13, s0
	v_mul_f32_e32 v10, v10, v24
.LBB68_17:
	s_or_b32 exec_lo, exec_lo, s2
	v_cmp_lt_u32_e64 s0, 1, v0
	ds_store_b32 v7, v9
	s_wait_dscnt 0x0
	s_barrier_signal -1
	s_barrier_wait -1
	s_and_saveexec_b32 s4, s0
	s_cbranch_execz .LBB68_33
; %bb.18:
	s_and_not1_b32 vcc_lo, exec_lo, s5
	s_cbranch_vccnz .LBB68_20
; %bb.19:
	v_cmp_eq_u32_e32 vcc_lo, 1, v0
	ds_load_b32 v24, v7
	v_cndmask_b32_e32 v13, v8, v9, vcc_lo
	v_cmp_eq_u32_e32 vcc_lo, 2, v0
	s_delay_alu instid0(VALU_DEP_2) | instskip(SKIP_1) | instid1(VALU_DEP_2)
	v_cndmask_b32_e32 v13, v13, v10, vcc_lo
	v_cmp_eq_u32_e32 vcc_lo, 3, v0
	v_cndmask_b32_e32 v13, v13, v11, vcc_lo
	v_cmp_eq_u32_e32 vcc_lo, 4, v0
	s_delay_alu instid0(VALU_DEP_2) | instskip(SKIP_1) | instid1(VALU_DEP_1)
	v_cndmask_b32_e32 v13, v13, v12, vcc_lo
	s_wait_dscnt 0x0
	v_mul_f32_e32 v13, v13, v24
	s_cbranch_execz .LBB68_21
	s_branch .LBB68_22
.LBB68_20:
                                        ; implicit-def: $vgpr13
.LBB68_21:
	ds_load_b32 v13, v7
.LBB68_22:
	s_and_saveexec_b32 s8, s1
	s_cbranch_execz .LBB68_32
; %bb.23:
	v_dual_add_nc_u32 v24, -3, v0 :: v_dual_add_nc_u32 v25, -2, v0
	v_mov_b32_e32 v26, 2
	s_mov_b32 s9, exec_lo
	s_delay_alu instid0(VALU_DEP_2)
	v_cmpx_lt_u32_e32 6, v24
	s_cbranch_execz .LBB68_27
; %bb.24:
	v_and_b32_e32 v24, -8, v25
	s_mov_b32 s10, 0
	s_mov_b64 s[2:3], 9
	s_mov_b32 s11, 40
	s_delay_alu instid0(VALU_DEP_1)
	v_sub_nc_u32_e32 v24, 0, v24
.LBB68_25:                              ; =>This Inner Loop Header: Depth=1
	s_add_co_i32 s1, s2, -7
	s_delay_alu instid0(SALU_CYCLE_1) | instskip(SKIP_1) | instid1(SALU_CYCLE_1)
	s_cmp_eq_u32 s1, 1
	s_cselect_b32 vcc_lo, -1, 0
	v_dual_mov_b32 v30, s11 :: v_dual_cndmask_b32 v34, v8, v9, vcc_lo
	s_cmp_eq_u32 s1, 2
	ds_load_2addr_b64 v[26:29], v30 offset1:1
	ds_load_2addr_b64 v[30:33], v30 offset0:2 offset1:3
	s_cselect_b32 vcc_lo, -1, 0
	s_cmp_eq_u32 s1, 3
	v_cndmask_b32_e32 v34, v34, v10, vcc_lo
	s_cselect_b32 vcc_lo, -1, 0
	s_cmp_eq_u32 s1, 4
	s_delay_alu instid0(VALU_DEP_1) | instskip(SKIP_2) | instid1(SALU_CYCLE_1)
	v_cndmask_b32_e32 v34, v34, v11, vcc_lo
	s_cselect_b32 vcc_lo, -1, 0
	s_add_co_i32 s12, s2, -6
	s_cmp_eq_u32 s12, 1
	s_delay_alu instid0(VALU_DEP_1)
	v_cndmask_b32_e32 v34, v34, v12, vcc_lo
	s_cselect_b32 s1, -1, 0
	s_cmp_eq_u32 s12, 2
	v_cndmask_b32_e64 v35, v8, v9, s1
	s_cselect_b32 vcc_lo, -1, 0
	s_cmp_eq_u32 s12, 3
	s_wait_dscnt 0x1
	v_fmac_f32_e32 v13, v34, v26
	v_cndmask_b32_e32 v35, v35, v10, vcc_lo
	s_cselect_b32 vcc_lo, -1, 0
	s_cmp_eq_u32 s12, 4
	s_delay_alu instid0(VALU_DEP_1) | instskip(SKIP_2) | instid1(SALU_CYCLE_1)
	v_cndmask_b32_e32 v26, v35, v11, vcc_lo
	s_cselect_b32 vcc_lo, -1, 0
	s_add_co_i32 s12, s2, -5
	s_cmp_eq_u32 s12, 1
	s_delay_alu instid0(VALU_DEP_1)
	v_cndmask_b32_e32 v26, v26, v12, vcc_lo
	s_cselect_b32 s1, -1, 0
	s_cmp_eq_u32 s12, 2
	v_cndmask_b32_e64 v34, v8, v9, s1
	s_cselect_b32 vcc_lo, -1, 0
	s_cmp_eq_u32 s12, 3
	v_fmac_f32_e32 v13, v26, v27
	s_delay_alu instid0(VALU_DEP_2) | instskip(SKIP_2) | instid1(VALU_DEP_1)
	v_cndmask_b32_e32 v34, v34, v10, vcc_lo
	s_cselect_b32 vcc_lo, -1, 0
	s_cmp_eq_u32 s12, 4
	v_cndmask_b32_e32 v26, v34, v11, vcc_lo
	s_cselect_b32 vcc_lo, -1, 0
	s_add_co_i32 s12, s2, -4
	s_delay_alu instid0(SALU_CYCLE_1) | instskip(NEXT) | instid1(VALU_DEP_1)
	s_cmp_eq_u32 s12, 1
	v_cndmask_b32_e32 v26, v26, v12, vcc_lo
	s_cselect_b32 s1, -1, 0
	s_cmp_eq_u32 s12, 2
	v_cndmask_b32_e64 v27, v8, v9, s1
	s_cselect_b32 vcc_lo, -1, 0
	s_cmp_eq_u32 s12, 3
	s_delay_alu instid0(VALU_DEP_1) | instskip(SKIP_2) | instid1(VALU_DEP_1)
	v_cndmask_b32_e32 v27, v27, v10, vcc_lo
	s_cselect_b32 vcc_lo, -1, 0
	s_cmp_eq_u32 s12, 4
	v_dual_fmac_f32 v13, v26, v28 :: v_dual_cndmask_b32 v26, v27, v11
	s_cselect_b32 vcc_lo, -1, 0
	s_add_co_i32 s12, s2, -3
	s_delay_alu instid0(SALU_CYCLE_1)
	s_cmp_eq_u32 s12, 1
	s_cselect_b32 s1, -1, 0
	s_cmp_eq_u32 s12, 2
	v_dual_cndmask_b32 v27, v8, v9, s1 :: v_dual_cndmask_b32 v26, v26, v12, vcc_lo
	s_cselect_b32 vcc_lo, -1, 0
	s_cmp_eq_u32 s12, 3
	s_delay_alu instid0(VALU_DEP_1) | instskip(SKIP_2) | instid1(VALU_DEP_1)
	v_cndmask_b32_e32 v27, v27, v10, vcc_lo
	s_cselect_b32 vcc_lo, -1, 0
	s_cmp_eq_u32 s12, 4
	v_dual_fmac_f32 v13, v26, v29 :: v_dual_cndmask_b32 v26, v27, v11
	s_cselect_b32 vcc_lo, -1, 0
	s_add_co_i32 s12, s2, -2
	s_delay_alu instid0(SALU_CYCLE_1) | instskip(NEXT) | instid1(VALU_DEP_1)
	s_cmp_eq_u32 s12, 1
	v_cndmask_b32_e32 v26, v26, v12, vcc_lo
	s_cselect_b32 s1, -1, 0
	s_cmp_eq_u32 s12, 2
	v_cndmask_b32_e64 v27, v8, v9, s1
	s_cselect_b32 vcc_lo, -1, 0
	s_cmp_eq_u32 s12, 3
	s_delay_alu instid0(VALU_DEP_1) | instskip(SKIP_3) | instid1(VALU_DEP_1)
	v_cndmask_b32_e32 v27, v27, v10, vcc_lo
	s_cselect_b32 vcc_lo, -1, 0
	s_cmp_eq_u32 s12, 4
	s_wait_dscnt 0x0
	v_dual_fmac_f32 v13, v26, v30 :: v_dual_cndmask_b32 v26, v27, v11
	s_cselect_b32 vcc_lo, -1, 0
	s_add_co_i32 s12, s2, -1
	s_delay_alu instid0(SALU_CYCLE_1) | instskip(NEXT) | instid1(VALU_DEP_1)
	s_cmp_eq_u32 s12, 1
	v_cndmask_b32_e32 v26, v26, v12, vcc_lo
	s_cselect_b32 s1, -1, 0
	s_cmp_eq_u32 s12, 2
	v_cndmask_b32_e64 v27, v8, v9, s1
	s_cselect_b32 vcc_lo, -1, 0
	v_fmac_f32_e32 v13, v26, v31
	s_cmp_eq_u32 s12, 3
	s_delay_alu instid0(VALU_DEP_2) | instskip(SKIP_2) | instid1(VALU_DEP_1)
	v_cndmask_b32_e32 v27, v27, v10, vcc_lo
	s_cselect_b32 vcc_lo, -1, 0
	s_cmp_eq_u32 s12, 4
	v_cndmask_b32_e32 v26, v27, v11, vcc_lo
	s_cselect_b32 vcc_lo, -1, 0
	s_cmp_eq_u32 s2, 1
	s_cselect_b32 s1, -1, 0
	s_cmp_eq_u32 s2, 2
	v_cndmask_b32_e64 v27, v8, v9, s1
	s_cselect_b32 s1, -1, 0
	s_cmp_eq_u32 s2, 3
	v_cndmask_b32_e32 v26, v26, v12, vcc_lo
	s_cselect_b32 vcc_lo, -1, 0
	s_cmp_eq_u32 s2, 4
	s_add_nc_u64 s[2:3], s[2:3], 8
	s_delay_alu instid0(SALU_CYCLE_1) | instskip(NEXT) | instid1(VALU_DEP_1)
	v_dual_cndmask_b32 v27, v27, v10, s1 :: v_dual_add_nc_u32 v28, s2, v24
	v_dual_fmac_f32 v13, v26, v32 :: v_dual_cndmask_b32 v27, v27, v11, vcc_lo
	s_cselect_b32 vcc_lo, -1, 0
	s_add_co_i32 s1, s2, -7
	s_add_co_i32 s11, s11, 32
	s_delay_alu instid0(VALU_DEP_1) | instskip(SKIP_1) | instid1(VALU_DEP_2)
	v_dual_mov_b32 v26, s1 :: v_dual_cndmask_b32 v27, v27, v12
	v_cmp_eq_u32_e32 vcc_lo, 9, v28
	v_fmac_f32_e32 v13, v27, v33
	s_or_b32 s10, vcc_lo, s10
	s_delay_alu instid0(SALU_CYCLE_1)
	s_and_not1_b32 exec_lo, exec_lo, s10
	s_cbranch_execnz .LBB68_25
; %bb.26:
	s_or_b32 exec_lo, exec_lo, s10
.LBB68_27:
	s_delay_alu instid0(SALU_CYCLE_1) | instskip(SKIP_3) | instid1(VALU_DEP_1)
	s_or_b32 exec_lo, exec_lo, s9
	v_and_b32_e32 v24, 7, v25
	s_mov_b32 s2, 0
	s_mov_b32 s1, exec_lo
	v_cmpx_ne_u32_e32 0, v24
	s_cbranch_execz .LBB68_31
; %bb.28:
	v_lshl_add_u32 v25, v26, 2, 32
	v_mov_b32_e32 v27, 0
.LBB68_29:                              ; =>This Inner Loop Header: Depth=1
	v_cmp_eq_u32_e32 vcc_lo, 1, v26
	ds_load_b32 v29, v25
	v_dual_add_nc_u32 v24, -1, v24 :: v_dual_add_nc_u32 v25, 4, v25
	v_cndmask_b32_e32 v28, v8, v9, vcc_lo
	v_cmp_eq_u32_e32 vcc_lo, 2, v26
	s_delay_alu instid0(VALU_DEP_2) | instskip(SKIP_1) | instid1(VALU_DEP_2)
	v_cndmask_b32_e32 v28, v28, v10, vcc_lo
	v_cmp_eq_u32_e32 vcc_lo, 3, v26
	v_cndmask_b32_e32 v28, v28, v11, vcc_lo
	v_cmp_eq_u32_e32 vcc_lo, 4, v26
	v_add_nc_u64_e32 v[26:27], 1, v[26:27]
	s_delay_alu instid0(VALU_DEP_3) | instskip(SKIP_2) | instid1(VALU_DEP_2)
	v_cndmask_b32_e32 v28, v28, v12, vcc_lo
	v_cmp_eq_u32_e32 vcc_lo, 0, v24
	s_wait_dscnt 0x0
	v_fmac_f32_e32 v13, v28, v29
	s_or_b32 s2, vcc_lo, s2
	s_delay_alu instid0(SALU_CYCLE_1)
	s_and_not1_b32 exec_lo, exec_lo, s2
	s_cbranch_execnz .LBB68_29
; %bb.30:
	s_or_b32 exec_lo, exec_lo, s2
.LBB68_31:
	s_delay_alu instid0(SALU_CYCLE_1)
	s_or_b32 exec_lo, exec_lo, s1
.LBB68_32:
	s_delay_alu instid0(SALU_CYCLE_1)
	s_or_b32 exec_lo, exec_lo, s8
	v_mov_b32_e32 v9, 0
	ds_load_b32 v9, v9 offset:4
	s_wait_dscnt 0x0
	v_mul_f32_e32 v9, v13, v9
.LBB68_33:
	s_or_b32 exec_lo, exec_lo, s4
	s_mov_b32 s1, 0
	s_mov_b32 s4, exec_lo
	ds_store_b32 v7, v8
	s_wait_dscnt 0x0
	s_barrier_signal -1
	s_barrier_wait -1
	v_cmpx_ne_u32_e32 0, v0
	s_cbranch_execz .LBB68_49
; %bb.34:
	s_and_not1_b32 vcc_lo, exec_lo, s5
	s_cbranch_vccnz .LBB68_36
; %bb.35:
	v_cmp_eq_u32_e32 vcc_lo, 1, v0
	ds_load_b32 v24, v7
	v_cndmask_b32_e32 v13, v8, v9, vcc_lo
	v_cmp_eq_u32_e32 vcc_lo, 2, v0
	s_delay_alu instid0(VALU_DEP_2) | instskip(SKIP_1) | instid1(VALU_DEP_2)
	v_cndmask_b32_e32 v13, v13, v10, vcc_lo
	v_cmp_eq_u32_e32 vcc_lo, 3, v0
	v_cndmask_b32_e32 v13, v13, v11, vcc_lo
	v_cmp_eq_u32_e32 vcc_lo, 4, v0
	s_delay_alu instid0(VALU_DEP_2) | instskip(SKIP_1) | instid1(VALU_DEP_1)
	v_cndmask_b32_e32 v13, v13, v12, vcc_lo
	s_wait_dscnt 0x0
	v_mul_f32_e32 v13, v13, v24
	s_cbranch_execz .LBB68_37
	s_branch .LBB68_38
.LBB68_36:
                                        ; implicit-def: $vgpr13
.LBB68_37:
	ds_load_b32 v13, v7
.LBB68_38:
	s_and_saveexec_b32 s8, s0
	s_cbranch_execz .LBB68_48
; %bb.39:
	v_dual_add_nc_u32 v24, -2, v0 :: v_dual_add_nc_u32 v25, -1, v0
	v_mov_b32_e32 v26, 1
	s_mov_b32 s9, exec_lo
	s_delay_alu instid0(VALU_DEP_2)
	v_cmpx_lt_u32_e32 6, v24
	s_cbranch_execz .LBB68_43
; %bb.40:
	v_and_b32_e32 v24, -8, v25
	s_mov_b32 s10, 0
	s_mov_b64 s[2:3], 8
	s_mov_b32 s11, 36
	s_delay_alu instid0(VALU_DEP_1)
	v_sub_nc_u32_e32 v24, 0, v24
.LBB68_41:                              ; =>This Inner Loop Header: Depth=1
	s_add_co_i32 s0, s2, -7
	s_delay_alu instid0(SALU_CYCLE_1) | instskip(SKIP_1) | instid1(SALU_CYCLE_1)
	s_cmp_eq_u32 s0, 1
	s_cselect_b32 vcc_lo, -1, 0
	v_dual_mov_b32 v32, s11 :: v_dual_cndmask_b32 v34, v8, v9, vcc_lo
	s_cmp_eq_u32 s0, 2
	ds_load_2addr_b32 v[26:27], v32 offset1:1
	ds_load_2addr_b32 v[28:29], v32 offset0:2 offset1:3
	ds_load_2addr_b32 v[30:31], v32 offset0:4 offset1:5
	;; [unrolled: 1-line block ×3, first 2 shown]
	s_cselect_b32 vcc_lo, -1, 0
	s_cmp_eq_u32 s0, 3
	v_cndmask_b32_e32 v34, v34, v10, vcc_lo
	s_cselect_b32 vcc_lo, -1, 0
	s_cmp_eq_u32 s0, 4
	s_delay_alu instid0(VALU_DEP_1) | instskip(SKIP_2) | instid1(SALU_CYCLE_1)
	v_cndmask_b32_e32 v34, v34, v11, vcc_lo
	s_cselect_b32 vcc_lo, -1, 0
	s_add_co_i32 s12, s2, -6
	s_cmp_eq_u32 s12, 1
	s_delay_alu instid0(VALU_DEP_1)
	v_cndmask_b32_e32 v34, v34, v12, vcc_lo
	s_cselect_b32 s0, -1, 0
	s_cmp_eq_u32 s12, 2
	v_cndmask_b32_e64 v35, v8, v9, s0
	s_cselect_b32 vcc_lo, -1, 0
	s_cmp_eq_u32 s12, 3
	s_wait_dscnt 0x3
	v_fmac_f32_e32 v13, v34, v26
	v_cndmask_b32_e32 v35, v35, v10, vcc_lo
	s_cselect_b32 vcc_lo, -1, 0
	s_cmp_eq_u32 s12, 4
	s_delay_alu instid0(VALU_DEP_1) | instskip(SKIP_2) | instid1(SALU_CYCLE_1)
	v_cndmask_b32_e32 v26, v35, v11, vcc_lo
	s_cselect_b32 vcc_lo, -1, 0
	s_add_co_i32 s12, s2, -5
	s_cmp_eq_u32 s12, 1
	s_delay_alu instid0(VALU_DEP_1)
	v_cndmask_b32_e32 v26, v26, v12, vcc_lo
	s_cselect_b32 s0, -1, 0
	s_cmp_eq_u32 s12, 2
	v_cndmask_b32_e64 v34, v8, v9, s0
	s_cselect_b32 vcc_lo, -1, 0
	s_cmp_eq_u32 s12, 3
	v_fmac_f32_e32 v13, v26, v27
	s_delay_alu instid0(VALU_DEP_2) | instskip(SKIP_2) | instid1(VALU_DEP_1)
	v_cndmask_b32_e32 v34, v34, v10, vcc_lo
	s_cselect_b32 vcc_lo, -1, 0
	s_cmp_eq_u32 s12, 4
	v_cndmask_b32_e32 v26, v34, v11, vcc_lo
	s_cselect_b32 vcc_lo, -1, 0
	s_add_co_i32 s12, s2, -4
	s_delay_alu instid0(SALU_CYCLE_1) | instskip(NEXT) | instid1(VALU_DEP_1)
	s_cmp_eq_u32 s12, 1
	v_cndmask_b32_e32 v26, v26, v12, vcc_lo
	s_cselect_b32 s0, -1, 0
	s_cmp_eq_u32 s12, 2
	v_cndmask_b32_e64 v27, v8, v9, s0
	s_cselect_b32 vcc_lo, -1, 0
	s_cmp_eq_u32 s12, 3
	s_delay_alu instid0(VALU_DEP_1) | instskip(SKIP_3) | instid1(VALU_DEP_1)
	v_cndmask_b32_e32 v27, v27, v10, vcc_lo
	s_cselect_b32 vcc_lo, -1, 0
	s_cmp_eq_u32 s12, 4
	s_wait_dscnt 0x2
	v_dual_fmac_f32 v13, v26, v28 :: v_dual_cndmask_b32 v26, v27, v11
	s_cselect_b32 vcc_lo, -1, 0
	s_add_co_i32 s12, s2, -3
	s_delay_alu instid0(SALU_CYCLE_1)
	s_cmp_eq_u32 s12, 1
	s_cselect_b32 s0, -1, 0
	s_cmp_eq_u32 s12, 2
	v_dual_cndmask_b32 v27, v8, v9, s0 :: v_dual_cndmask_b32 v26, v26, v12, vcc_lo
	s_cselect_b32 vcc_lo, -1, 0
	s_cmp_eq_u32 s12, 3
	s_delay_alu instid0(VALU_DEP_1) | instskip(SKIP_2) | instid1(VALU_DEP_1)
	v_cndmask_b32_e32 v27, v27, v10, vcc_lo
	s_cselect_b32 vcc_lo, -1, 0
	s_cmp_eq_u32 s12, 4
	v_dual_fmac_f32 v13, v26, v29 :: v_dual_cndmask_b32 v26, v27, v11
	s_cselect_b32 vcc_lo, -1, 0
	s_add_co_i32 s12, s2, -2
	s_delay_alu instid0(SALU_CYCLE_1) | instskip(NEXT) | instid1(VALU_DEP_1)
	s_cmp_eq_u32 s12, 1
	v_cndmask_b32_e32 v26, v26, v12, vcc_lo
	s_cselect_b32 s0, -1, 0
	s_cmp_eq_u32 s12, 2
	v_cndmask_b32_e64 v27, v8, v9, s0
	s_cselect_b32 vcc_lo, -1, 0
	s_cmp_eq_u32 s12, 3
	s_delay_alu instid0(VALU_DEP_1) | instskip(SKIP_3) | instid1(VALU_DEP_1)
	v_cndmask_b32_e32 v27, v27, v10, vcc_lo
	s_cselect_b32 vcc_lo, -1, 0
	s_cmp_eq_u32 s12, 4
	s_wait_dscnt 0x1
	v_dual_fmac_f32 v13, v26, v30 :: v_dual_cndmask_b32 v26, v27, v11
	s_cselect_b32 vcc_lo, -1, 0
	s_add_co_i32 s12, s2, -1
	s_delay_alu instid0(SALU_CYCLE_1) | instskip(NEXT) | instid1(VALU_DEP_1)
	s_cmp_eq_u32 s12, 1
	v_cndmask_b32_e32 v26, v26, v12, vcc_lo
	s_cselect_b32 s0, -1, 0
	s_cmp_eq_u32 s12, 2
	v_cndmask_b32_e64 v27, v8, v9, s0
	s_cselect_b32 vcc_lo, -1, 0
	v_fmac_f32_e32 v13, v26, v31
	s_cmp_eq_u32 s12, 3
	s_delay_alu instid0(VALU_DEP_2) | instskip(SKIP_2) | instid1(VALU_DEP_1)
	v_cndmask_b32_e32 v27, v27, v10, vcc_lo
	s_cselect_b32 vcc_lo, -1, 0
	s_cmp_eq_u32 s12, 4
	v_cndmask_b32_e32 v26, v27, v11, vcc_lo
	s_cselect_b32 vcc_lo, -1, 0
	s_cmp_eq_u32 s2, 1
	s_cselect_b32 s0, -1, 0
	s_cmp_eq_u32 s2, 2
	v_cndmask_b32_e64 v27, v8, v9, s0
	s_cselect_b32 s0, -1, 0
	s_cmp_eq_u32 s2, 3
	v_cndmask_b32_e32 v26, v26, v12, vcc_lo
	s_cselect_b32 vcc_lo, -1, 0
	s_cmp_eq_u32 s2, 4
	s_add_nc_u64 s[2:3], s[2:3], 8
	s_delay_alu instid0(SALU_CYCLE_1) | instskip(SKIP_1) | instid1(VALU_DEP_1)
	v_dual_cndmask_b32 v27, v27, v10, s0 :: v_dual_add_nc_u32 v28, s2, v24
	s_wait_dscnt 0x0
	v_dual_fmac_f32 v13, v26, v32 :: v_dual_cndmask_b32 v27, v27, v11, vcc_lo
	s_cselect_b32 vcc_lo, -1, 0
	s_add_co_i32 s0, s2, -7
	s_add_co_i32 s11, s11, 32
	s_delay_alu instid0(VALU_DEP_1) | instskip(SKIP_1) | instid1(VALU_DEP_2)
	v_dual_mov_b32 v26, s0 :: v_dual_cndmask_b32 v27, v27, v12
	v_cmp_eq_u32_e32 vcc_lo, 8, v28
	v_fmac_f32_e32 v13, v27, v33
	s_or_b32 s10, vcc_lo, s10
	s_delay_alu instid0(SALU_CYCLE_1)
	s_and_not1_b32 exec_lo, exec_lo, s10
	s_cbranch_execnz .LBB68_41
; %bb.42:
	s_or_b32 exec_lo, exec_lo, s10
.LBB68_43:
	s_delay_alu instid0(SALU_CYCLE_1) | instskip(SKIP_3) | instid1(VALU_DEP_1)
	s_or_b32 exec_lo, exec_lo, s9
	v_and_b32_e32 v24, 7, v25
	s_mov_b32 s2, 0
	s_mov_b32 s0, exec_lo
	v_cmpx_ne_u32_e32 0, v24
	s_cbranch_execz .LBB68_47
; %bb.44:
	v_lshl_add_u32 v25, v26, 2, 32
	v_mov_b32_e32 v27, 0
.LBB68_45:                              ; =>This Inner Loop Header: Depth=1
	v_cmp_eq_u32_e32 vcc_lo, 1, v26
	ds_load_b32 v29, v25
	v_dual_add_nc_u32 v24, -1, v24 :: v_dual_add_nc_u32 v25, 4, v25
	v_cndmask_b32_e32 v28, v8, v9, vcc_lo
	v_cmp_eq_u32_e32 vcc_lo, 2, v26
	s_delay_alu instid0(VALU_DEP_2) | instskip(SKIP_1) | instid1(VALU_DEP_2)
	v_cndmask_b32_e32 v28, v28, v10, vcc_lo
	v_cmp_eq_u32_e32 vcc_lo, 3, v26
	v_cndmask_b32_e32 v28, v28, v11, vcc_lo
	v_cmp_eq_u32_e32 vcc_lo, 4, v26
	v_add_nc_u64_e32 v[26:27], 1, v[26:27]
	s_delay_alu instid0(VALU_DEP_3) | instskip(SKIP_2) | instid1(VALU_DEP_2)
	v_cndmask_b32_e32 v28, v28, v12, vcc_lo
	v_cmp_eq_u32_e32 vcc_lo, 0, v24
	s_wait_dscnt 0x0
	v_fmac_f32_e32 v13, v28, v29
	s_or_b32 s2, vcc_lo, s2
	s_delay_alu instid0(SALU_CYCLE_1)
	s_and_not1_b32 exec_lo, exec_lo, s2
	s_cbranch_execnz .LBB68_45
; %bb.46:
	s_or_b32 exec_lo, exec_lo, s2
.LBB68_47:
	s_delay_alu instid0(SALU_CYCLE_1)
	s_or_b32 exec_lo, exec_lo, s0
.LBB68_48:
	s_delay_alu instid0(SALU_CYCLE_1)
	s_or_b32 exec_lo, exec_lo, s8
	v_mov_b32_e32 v8, 0
	ds_load_b32 v8, v8
	s_wait_dscnt 0x0
	v_mul_f32_e32 v8, v13, v8
.LBB68_49:
	s_or_b32 exec_lo, exec_lo, s4
	s_delay_alu instid0(SALU_CYCLE_1)
	s_and_b32 vcc_lo, exec_lo, s1
	s_cbranch_vccz .LBB68_81
.LBB68_50:
	v_cmp_eq_u32_e64 s0, 0, v0
	s_wait_loadcnt_dscnt 0x304
	ds_store_b32 v7, v3
	s_wait_loadcnt_dscnt 0x0
	s_barrier_signal -1
	s_barrier_wait -1
	s_and_saveexec_b32 s1, s0
	s_cbranch_execz .LBB68_56
; %bb.51:
	s_and_b32 vcc_lo, exec_lo, s5
	s_cbranch_vccz .LBB68_53
; %bb.52:
	v_cmp_eq_u32_e32 vcc_lo, 1, v0
	ds_load_b32 v8, v7
	v_cndmask_b32_e32 v3, v2, v3, vcc_lo
	v_cmp_eq_u32_e32 vcc_lo, 2, v0
	s_delay_alu instid0(VALU_DEP_2) | instskip(SKIP_1) | instid1(VALU_DEP_2)
	v_cndmask_b32_e32 v3, v3, v4, vcc_lo
	v_cmp_eq_u32_e32 vcc_lo, 3, v0
	v_cndmask_b32_e32 v3, v3, v5, vcc_lo
	v_cmp_eq_u32_e32 vcc_lo, 4, v0
	s_delay_alu instid0(VALU_DEP_2) | instskip(SKIP_1) | instid1(VALU_DEP_1)
	v_cndmask_b32_e32 v3, v3, v6, vcc_lo
	s_wait_dscnt 0x0
	v_mul_f32_e32 v3, v3, v8
	s_cbranch_execz .LBB68_54
	s_branch .LBB68_55
.LBB68_53:
                                        ; implicit-def: $vgpr3
.LBB68_54:
	ds_load_b32 v3, v7
.LBB68_55:
	v_mov_b32_e32 v8, 0
	ds_load_b32 v8, v8 offset:4
	s_wait_dscnt 0x0
	v_mul_f32_e32 v3, v3, v8
.LBB68_56:
	s_or_b32 exec_lo, exec_lo, s1
	v_cndmask_b32_e64 v8, 0, 1, s5
	s_mov_b32 s1, exec_lo
	ds_store_b32 v7, v4
	s_wait_dscnt 0x0
	s_barrier_signal -1
	s_barrier_wait -1
	v_cmpx_gt_u32_e32 2, v0
	s_cbranch_execz .LBB68_62
; %bb.57:
	s_and_not1_b32 vcc_lo, exec_lo, s5
	s_cbranch_vccnz .LBB68_59
; %bb.58:
	v_cmp_eq_u32_e32 vcc_lo, 1, v0
	ds_load_b32 v10, v7
	v_cndmask_b32_e32 v9, v2, v3, vcc_lo
	v_cmp_eq_u32_e32 vcc_lo, 2, v0
	s_delay_alu instid0(VALU_DEP_2) | instskip(SKIP_1) | instid1(VALU_DEP_2)
	v_cndmask_b32_e32 v4, v9, v4, vcc_lo
	v_cmp_eq_u32_e32 vcc_lo, 3, v0
	v_cndmask_b32_e32 v4, v4, v5, vcc_lo
	v_cmp_eq_u32_e32 vcc_lo, 4, v0
	s_delay_alu instid0(VALU_DEP_2) | instskip(SKIP_1) | instid1(VALU_DEP_1)
	v_cndmask_b32_e32 v4, v4, v6, vcc_lo
	s_wait_dscnt 0x0
	v_mul_f32_e32 v4, v4, v10
	s_cbranch_execz .LBB68_60
	s_branch .LBB68_61
.LBB68_59:
                                        ; implicit-def: $vgpr4
.LBB68_60:
	ds_load_b32 v4, v7
.LBB68_61:
	v_mov_b32_e32 v9, 0
	ds_load_2addr_b32 v[10:11], v9 offset0:2 offset1:9
	s_wait_dscnt 0x0
	v_fma_f32 v9, v3, v11, v4
	s_delay_alu instid0(VALU_DEP_1) | instskip(NEXT) | instid1(VALU_DEP_1)
	v_cndmask_b32_e64 v4, v4, v9, s0
	v_mul_f32_e32 v4, v4, v10
.LBB68_62:
	s_or_b32 exec_lo, exec_lo, s1
	v_cmp_gt_u32_e64 s1, 3, v0
	ds_store_b32 v7, v5
	s_wait_dscnt 0x0
	s_barrier_signal -1
	s_barrier_wait -1
	s_and_saveexec_b32 s2, s1
	s_cbranch_execz .LBB68_70
; %bb.63:
	v_cmp_ne_u32_e32 vcc_lo, 1, v8
	s_cbranch_vccnz .LBB68_65
; %bb.64:
	v_cmp_eq_u32_e32 vcc_lo, 1, v0
	ds_load_b32 v10, v7
	v_cndmask_b32_e32 v9, v2, v3, vcc_lo
	v_cmp_eq_u32_e32 vcc_lo, 2, v0
	s_delay_alu instid0(VALU_DEP_2) | instskip(SKIP_1) | instid1(VALU_DEP_2)
	v_cndmask_b32_e32 v9, v9, v4, vcc_lo
	v_cmp_eq_u32_e32 vcc_lo, 3, v0
	v_cndmask_b32_e32 v9, v9, v5, vcc_lo
	v_cmp_eq_u32_e32 vcc_lo, 4, v0
	s_delay_alu instid0(VALU_DEP_2) | instskip(SKIP_1) | instid1(VALU_DEP_1)
	v_cndmask_b32_e32 v9, v9, v6, vcc_lo
	s_wait_dscnt 0x0
	v_mul_f32_e32 v9, v9, v10
	s_cbranch_execz .LBB68_66
	s_branch .LBB68_67
.LBB68_65:
                                        ; implicit-def: $vgpr9
.LBB68_66:
	ds_load_b32 v9, v7
.LBB68_67:
	s_mov_b32 s3, exec_lo
	v_cmpx_ne_u32_e32 2, v0
	s_cbranch_execz .LBB68_69
; %bb.68:
	v_add_nc_u32_e32 v10, 1, v0
	ds_load_b32 v11, v7 offset:4
	v_cmp_eq_u32_e32 vcc_lo, 1, v10
	v_cndmask_b32_e32 v12, v2, v3, vcc_lo
	v_cmp_eq_u32_e32 vcc_lo, 2, v10
	s_delay_alu instid0(VALU_DEP_2) | instskip(SKIP_4) | instid1(VALU_DEP_2)
	v_dual_mov_b32 v13, 0 :: v_dual_cndmask_b32 v12, v12, v4
	ds_load_b32 v13, v13 offset:40
	v_cmp_eq_u32_e32 vcc_lo, 3, v10
	v_cndmask_b32_e32 v5, v12, v5, vcc_lo
	v_cmp_eq_u32_e32 vcc_lo, 4, v10
	v_cndmask_b32_e32 v5, v5, v6, vcc_lo
	s_wait_dscnt 0x1
	s_delay_alu instid0(VALU_DEP_1) | instskip(SKIP_1) | instid1(VALU_DEP_1)
	v_fmac_f32_e32 v9, v5, v11
	s_wait_dscnt 0x0
	v_fma_f32 v5, v4, v13, v9
	s_delay_alu instid0(VALU_DEP_1)
	v_cndmask_b32_e64 v9, v9, v5, s0
.LBB68_69:
	s_or_b32 exec_lo, exec_lo, s3
	v_mov_b32_e32 v5, 0
	ds_load_b32 v5, v5 offset:12
	s_wait_dscnt 0x0
	v_mul_f32_e32 v5, v9, v5
.LBB68_70:
	s_or_b32 exec_lo, exec_lo, s2
	s_delay_alu instid0(SALU_CYCLE_1)
	s_mov_b32 s0, exec_lo
	ds_store_b32 v7, v6
	s_wait_dscnt 0x0
	s_barrier_signal -1
	s_barrier_wait -1
	v_cmpx_ne_u32_e32 4, v0
	s_cbranch_execz .LBB68_80
; %bb.71:
	v_cmp_ne_u32_e32 vcc_lo, 1, v8
	s_cbranch_vccnz .LBB68_73
; %bb.72:
	v_cmp_eq_u32_e32 vcc_lo, 1, v0
	ds_load_b32 v9, v7
	v_cndmask_b32_e32 v8, v2, v3, vcc_lo
	v_cmp_eq_u32_e32 vcc_lo, 2, v0
	s_delay_alu instid0(VALU_DEP_2) | instskip(SKIP_1) | instid1(VALU_DEP_2)
	v_cndmask_b32_e32 v8, v8, v4, vcc_lo
	v_cmp_eq_u32_e32 vcc_lo, 3, v0
	v_cndmask_b32_e32 v8, v8, v5, vcc_lo
	v_cmp_eq_u32_e32 vcc_lo, 4, v0
	s_delay_alu instid0(VALU_DEP_2) | instskip(SKIP_1) | instid1(VALU_DEP_1)
	v_cndmask_b32_e32 v8, v8, v6, vcc_lo
	s_wait_dscnt 0x0
	v_mul_f32_e32 v8, v8, v9
	s_cbranch_execz .LBB68_74
	s_branch .LBB68_75
.LBB68_73:
                                        ; implicit-def: $vgpr8
.LBB68_74:
	ds_load_b32 v8, v7
.LBB68_75:
	s_and_saveexec_b32 s2, s1
	s_cbranch_execz .LBB68_79
; %bb.76:
	v_lshl_add_u32 v7, v0, 2, 36
	s_mov_b32 s1, 0
.LBB68_77:                              ; =>This Inner Loop Header: Depth=1
	v_add_nc_u64_e32 v[0:1], 1, v[0:1]
	ds_load_b32 v9, v7
	v_add_nc_u32_e32 v7, 4, v7
	v_cmp_eq_u32_e32 vcc_lo, 1, v0
	v_cndmask_b32_e32 v10, v2, v3, vcc_lo
	v_cmp_eq_u32_e32 vcc_lo, 2, v0
	s_delay_alu instid0(VALU_DEP_2) | instskip(SKIP_1) | instid1(VALU_DEP_2)
	v_cndmask_b32_e32 v10, v10, v4, vcc_lo
	v_cmp_eq_u32_e32 vcc_lo, 3, v0
	v_cndmask_b32_e32 v10, v10, v5, vcc_lo
	v_cmp_eq_u32_e32 vcc_lo, 4, v0
	s_delay_alu instid0(VALU_DEP_2) | instskip(SKIP_2) | instid1(VALU_DEP_2)
	v_cndmask_b32_e32 v10, v10, v6, vcc_lo
	v_cmp_lt_u32_e32 vcc_lo, 2, v0
	s_wait_dscnt 0x0
	v_fmac_f32_e32 v8, v10, v9
	s_or_b32 s1, vcc_lo, s1
	s_delay_alu instid0(SALU_CYCLE_1)
	s_and_not1_b32 exec_lo, exec_lo, s1
	s_cbranch_execnz .LBB68_77
; %bb.78:
	s_or_b32 exec_lo, exec_lo, s1
.LBB68_79:
	s_delay_alu instid0(SALU_CYCLE_1)
	s_or_b32 exec_lo, exec_lo, s2
	v_mov_b32_e32 v0, 0
	ds_load_b32 v0, v0 offset:16
	s_wait_dscnt 0x0
	v_mul_f32_e32 v6, v8, v0
.LBB68_80:
	s_or_b32 exec_lo, exec_lo, s0
	s_delay_alu instid0(VALU_DEP_1)
	v_dual_mov_b32 v12, v6 :: v_dual_mov_b32 v11, v5
	v_dual_mov_b32 v10, v4 :: v_dual_mov_b32 v9, v3
	v_mov_b32_e32 v8, v2
.LBB68_81:
	s_wait_xcnt 0x4
	v_lshl_add_u64 v[0:1], v[18:19], 2, s[6:7]
	s_wait_loadcnt_dscnt 0x304
	v_lshl_add_u64 v[2:3], v[20:21], 2, s[6:7]
	s_wait_loadcnt_dscnt 0x102
	v_lshl_add_u64 v[4:5], v[22:23], 2, s[6:7]
	s_clause 0x4
	flat_store_b32 v[14:15], v8
	flat_store_b32 v[16:17], v9
	;; [unrolled: 1-line block ×5, first 2 shown]
.LBB68_82:
	s_endpgm
	.section	.rodata,"a",@progbits
	.p2align	6, 0x0
	.amdhsa_kernel _ZN9rocsolver6v33100L18trti2_kernel_smallILi5EfPKPfEEv13rocblas_fill_17rocblas_diagonal_T1_iil
		.amdhsa_group_segment_fixed_size 52
		.amdhsa_private_segment_fixed_size 0
		.amdhsa_kernarg_size 32
		.amdhsa_user_sgpr_count 2
		.amdhsa_user_sgpr_dispatch_ptr 0
		.amdhsa_user_sgpr_queue_ptr 0
		.amdhsa_user_sgpr_kernarg_segment_ptr 1
		.amdhsa_user_sgpr_dispatch_id 0
		.amdhsa_user_sgpr_kernarg_preload_length 0
		.amdhsa_user_sgpr_kernarg_preload_offset 0
		.amdhsa_user_sgpr_private_segment_size 0
		.amdhsa_wavefront_size32 1
		.amdhsa_uses_dynamic_stack 0
		.amdhsa_enable_private_segment 0
		.amdhsa_system_sgpr_workgroup_id_x 1
		.amdhsa_system_sgpr_workgroup_id_y 0
		.amdhsa_system_sgpr_workgroup_id_z 0
		.amdhsa_system_sgpr_workgroup_info 0
		.amdhsa_system_vgpr_workitem_id 0
		.amdhsa_next_free_vgpr 36
		.amdhsa_next_free_sgpr 13
		.amdhsa_named_barrier_count 0
		.amdhsa_reserve_vcc 1
		.amdhsa_float_round_mode_32 0
		.amdhsa_float_round_mode_16_64 0
		.amdhsa_float_denorm_mode_32 3
		.amdhsa_float_denorm_mode_16_64 3
		.amdhsa_fp16_overflow 0
		.amdhsa_memory_ordered 1
		.amdhsa_forward_progress 1
		.amdhsa_inst_pref_size 30
		.amdhsa_round_robin_scheduling 0
		.amdhsa_exception_fp_ieee_invalid_op 0
		.amdhsa_exception_fp_denorm_src 0
		.amdhsa_exception_fp_ieee_div_zero 0
		.amdhsa_exception_fp_ieee_overflow 0
		.amdhsa_exception_fp_ieee_underflow 0
		.amdhsa_exception_fp_ieee_inexact 0
		.amdhsa_exception_int_div_zero 0
	.end_amdhsa_kernel
	.section	.text._ZN9rocsolver6v33100L18trti2_kernel_smallILi5EfPKPfEEv13rocblas_fill_17rocblas_diagonal_T1_iil,"axG",@progbits,_ZN9rocsolver6v33100L18trti2_kernel_smallILi5EfPKPfEEv13rocblas_fill_17rocblas_diagonal_T1_iil,comdat
.Lfunc_end68:
	.size	_ZN9rocsolver6v33100L18trti2_kernel_smallILi5EfPKPfEEv13rocblas_fill_17rocblas_diagonal_T1_iil, .Lfunc_end68-_ZN9rocsolver6v33100L18trti2_kernel_smallILi5EfPKPfEEv13rocblas_fill_17rocblas_diagonal_T1_iil
                                        ; -- End function
	.set _ZN9rocsolver6v33100L18trti2_kernel_smallILi5EfPKPfEEv13rocblas_fill_17rocblas_diagonal_T1_iil.num_vgpr, 36
	.set _ZN9rocsolver6v33100L18trti2_kernel_smallILi5EfPKPfEEv13rocblas_fill_17rocblas_diagonal_T1_iil.num_agpr, 0
	.set _ZN9rocsolver6v33100L18trti2_kernel_smallILi5EfPKPfEEv13rocblas_fill_17rocblas_diagonal_T1_iil.numbered_sgpr, 13
	.set _ZN9rocsolver6v33100L18trti2_kernel_smallILi5EfPKPfEEv13rocblas_fill_17rocblas_diagonal_T1_iil.num_named_barrier, 0
	.set _ZN9rocsolver6v33100L18trti2_kernel_smallILi5EfPKPfEEv13rocblas_fill_17rocblas_diagonal_T1_iil.private_seg_size, 0
	.set _ZN9rocsolver6v33100L18trti2_kernel_smallILi5EfPKPfEEv13rocblas_fill_17rocblas_diagonal_T1_iil.uses_vcc, 1
	.set _ZN9rocsolver6v33100L18trti2_kernel_smallILi5EfPKPfEEv13rocblas_fill_17rocblas_diagonal_T1_iil.uses_flat_scratch, 1
	.set _ZN9rocsolver6v33100L18trti2_kernel_smallILi5EfPKPfEEv13rocblas_fill_17rocblas_diagonal_T1_iil.has_dyn_sized_stack, 0
	.set _ZN9rocsolver6v33100L18trti2_kernel_smallILi5EfPKPfEEv13rocblas_fill_17rocblas_diagonal_T1_iil.has_recursion, 0
	.set _ZN9rocsolver6v33100L18trti2_kernel_smallILi5EfPKPfEEv13rocblas_fill_17rocblas_diagonal_T1_iil.has_indirect_call, 0
	.section	.AMDGPU.csdata,"",@progbits
; Kernel info:
; codeLenInByte = 3832
; TotalNumSgprs: 15
; NumVgprs: 36
; ScratchSize: 0
; MemoryBound: 0
; FloatMode: 240
; IeeeMode: 1
; LDSByteSize: 52 bytes/workgroup (compile time only)
; SGPRBlocks: 0
; VGPRBlocks: 2
; NumSGPRsForWavesPerEU: 15
; NumVGPRsForWavesPerEU: 36
; NamedBarCnt: 0
; Occupancy: 16
; WaveLimiterHint : 1
; COMPUTE_PGM_RSRC2:SCRATCH_EN: 0
; COMPUTE_PGM_RSRC2:USER_SGPR: 2
; COMPUTE_PGM_RSRC2:TRAP_HANDLER: 0
; COMPUTE_PGM_RSRC2:TGID_X_EN: 1
; COMPUTE_PGM_RSRC2:TGID_Y_EN: 0
; COMPUTE_PGM_RSRC2:TGID_Z_EN: 0
; COMPUTE_PGM_RSRC2:TIDIG_COMP_CNT: 0
	.section	.text._ZN9rocsolver6v33100L18trti2_kernel_smallILi6EfPKPfEEv13rocblas_fill_17rocblas_diagonal_T1_iil,"axG",@progbits,_ZN9rocsolver6v33100L18trti2_kernel_smallILi6EfPKPfEEv13rocblas_fill_17rocblas_diagonal_T1_iil,comdat
	.globl	_ZN9rocsolver6v33100L18trti2_kernel_smallILi6EfPKPfEEv13rocblas_fill_17rocblas_diagonal_T1_iil ; -- Begin function _ZN9rocsolver6v33100L18trti2_kernel_smallILi6EfPKPfEEv13rocblas_fill_17rocblas_diagonal_T1_iil
	.p2align	8
	.type	_ZN9rocsolver6v33100L18trti2_kernel_smallILi6EfPKPfEEv13rocblas_fill_17rocblas_diagonal_T1_iil,@function
_ZN9rocsolver6v33100L18trti2_kernel_smallILi6EfPKPfEEv13rocblas_fill_17rocblas_diagonal_T1_iil: ; @_ZN9rocsolver6v33100L18trti2_kernel_smallILi6EfPKPfEEv13rocblas_fill_17rocblas_diagonal_T1_iil
; %bb.0:
	s_mov_b32 s2, exec_lo
	v_cmpx_gt_u32_e32 6, v0
	s_cbranch_execz .LBB69_108
; %bb.1:
	s_clause 0x1
	s_load_b64 s[2:3], s[0:1], 0x10
	s_load_b128 s[8:11], s[0:1], 0x0
	s_wait_xcnt 0x0
	s_bfe_u32 s0, ttmp6, 0x4000c
	s_and_b32 s1, ttmp6, 15
	s_add_co_i32 s0, s0, 1
	s_getreg_b32 s4, hwreg(HW_REG_IB_STS2, 6, 4)
	s_mul_i32 s0, ttmp9, s0
	v_dual_mov_b32 v1, 0 :: v_dual_lshlrev_b32 v8, 2, v0
	s_add_co_i32 s0, s1, s0
	s_wait_kmcnt 0x0
	s_ashr_i32 s1, s2, 31
	s_cmp_eq_u32 s4, 0
	v_add3_u32 v16, s3, s3, v0
	s_cselect_b32 s4, ttmp9, s0
	s_mov_b32 s0, s2
	s_ashr_i32 s5, s4, 31
	s_delay_alu instid0(VALU_DEP_1)
	v_dual_mov_b32 v9, v1 :: v_dual_add_nc_u32 v20, s3, v16
	s_lshl_b64 s[4:5], s[4:5], 3
	s_lshl_b64 s[0:1], s[0:1], 2
	s_add_nc_u64 s[4:5], s[10:11], s[4:5]
	s_load_b64 s[4:5], s[4:5], 0x0
	v_add_nc_u32_e32 v22, s3, v20
	s_wait_kmcnt 0x0
	s_add_nc_u64 s[6:7], s[4:5], s[0:1]
	s_mov_b32 s0, s3
	v_add_nc_u64_e32 v[14:15], s[6:7], v[8:9]
	s_ashr_i32 s1, s3, 31
	v_dual_mov_b32 v9, -1.0 :: v_dual_add_nc_u32 v24, s3, v22
	s_cmp_lg_u32 s9, 0x84
	s_cselect_b32 s10, -1, 0
	s_delay_alu instid0(VALU_DEP_2)
	v_lshl_add_u64 v[18:19], s[0:1], 2, v[14:15]
	v_cmp_eq_u32_e64 s0, 0, v0
	s_cmp_eq_u32 s9, 0x84
	s_clause 0x5
	flat_load_b32 v2, v0, s[6:7] scale_offset
	flat_load_b32 v3, v[18:19]
	flat_load_b32 v4, v16, s[6:7] scale_offset
	flat_load_b32 v5, v20, s[6:7] scale_offset
	;; [unrolled: 1-line block ×4, first 2 shown]
	s_cbranch_scc1 .LBB69_3
; %bb.2:
	v_cmp_eq_u32_e64 s1, 1, v0
	v_cmp_eq_u32_e64 s2, 2, v0
	;; [unrolled: 1-line block ×5, first 2 shown]
	s_wait_loadcnt_dscnt 0x404
	v_cndmask_b32_e64 v9, v2, v3, s1
	s_wait_loadcnt_dscnt 0x303
	s_delay_alu instid0(VALU_DEP_1) | instskip(SKIP_1) | instid1(VALU_DEP_1)
	v_cndmask_b32_e64 v9, v9, v4, s2
	s_wait_loadcnt_dscnt 0x202
	v_cndmask_b32_e64 v9, v9, v5, s3
	s_wait_loadcnt_dscnt 0x101
	s_delay_alu instid0(VALU_DEP_1) | instskip(SKIP_1) | instid1(VALU_DEP_1)
	v_cndmask_b32_e64 v9, v9, v6, s4
	s_wait_loadcnt_dscnt 0x0
	v_cndmask_b32_e64 v9, v9, v7, s5
	s_delay_alu instid0(VALU_DEP_1) | instskip(SKIP_1) | instid1(VALU_DEP_2)
	v_div_scale_f32 v10, null, v9, v9, 1.0
	v_div_scale_f32 v13, vcc_lo, 1.0, v9, 1.0
	v_rcp_f32_e32 v11, v10
	v_nop
	s_delay_alu instid0(TRANS32_DEP_1) | instskip(NEXT) | instid1(VALU_DEP_1)
	v_fma_f32 v12, -v10, v11, 1.0
	v_fmac_f32_e32 v11, v12, v11
	s_delay_alu instid0(VALU_DEP_1) | instskip(NEXT) | instid1(VALU_DEP_1)
	v_mul_f32_e32 v12, v13, v11
	v_fma_f32 v17, -v10, v12, v13
	s_delay_alu instid0(VALU_DEP_1) | instskip(NEXT) | instid1(VALU_DEP_1)
	v_fmac_f32_e32 v12, v17, v11
	v_fma_f32 v10, -v10, v12, v13
	s_delay_alu instid0(VALU_DEP_1) | instskip(NEXT) | instid1(VALU_DEP_1)
	v_div_fmas_f32 v10, v10, v11, v12
	v_div_fixup_f32 v9, v10, v9, 1.0
	s_delay_alu instid0(VALU_DEP_1)
	v_dual_cndmask_b32 v7, v7, v9, s5 :: v_dual_cndmask_b32 v6, v6, v9, s4
	v_dual_cndmask_b32 v5, v5, v9, s3 :: v_dual_cndmask_b32 v4, v4, v9, s2
	;; [unrolled: 1-line block ×3, first 2 shown]
	v_xor_b32_e32 v9, 0x80000000, v9
.LBB69_3:
	v_dual_ashrrev_i32 v17, 31, v16 :: v_dual_ashrrev_i32 v23, 31, v22
	v_ashrrev_i32_e32 v21, 31, v20
	v_ashrrev_i32_e32 v25, 31, v24
	v_add_nc_u32_e32 v27, 32, v8
	s_cmp_eq_u32 s8, 0x79
	ds_store_b32 v8, v9
	s_cbranch_scc1 .LBB69_7
; %bb.4:
	s_wait_loadcnt_dscnt 0x1
	v_mov_b64_e32 v[12:13], v[6:7]
	v_mov_b64_e32 v[10:11], v[4:5]
	;; [unrolled: 1-line block ×3, first 2 shown]
	v_cmp_eq_u32_e64 s0, 5, v0
	ds_store_b32 v27, v6
	s_wait_dscnt 0x0
	s_barrier_signal -1
	s_barrier_wait -1
	s_and_saveexec_b32 s1, s0
	s_cbranch_execz .LBB69_11
; %bb.5:
	s_and_b32 vcc_lo, exec_lo, s10
	s_cbranch_vccz .LBB69_8
; %bb.6:
	v_cmp_eq_u32_e32 vcc_lo, 1, v0
	ds_load_b32 v9, v27
	v_cndmask_b32_e32 v8, v2, v3, vcc_lo
	v_cmp_eq_u32_e32 vcc_lo, 2, v0
	s_delay_alu instid0(VALU_DEP_2) | instskip(SKIP_1) | instid1(VALU_DEP_2)
	v_cndmask_b32_e32 v8, v8, v4, vcc_lo
	v_cmp_eq_u32_e32 vcc_lo, 3, v0
	v_cndmask_b32_e32 v8, v8, v5, vcc_lo
	v_cmp_eq_u32_e32 vcc_lo, 4, v0
	s_delay_alu instid0(VALU_DEP_2) | instskip(SKIP_1) | instid1(VALU_DEP_2)
	v_cndmask_b32_e32 v8, v8, v6, vcc_lo
	v_cmp_eq_u32_e32 vcc_lo, 5, v0
	v_cndmask_b32_e32 v8, v8, v7, vcc_lo
	s_wait_dscnt 0x0
	s_delay_alu instid0(VALU_DEP_1)
	v_mul_f32_e32 v8, v8, v9
	s_cbranch_execz .LBB69_9
	s_branch .LBB69_10
.LBB69_7:
                                        ; implicit-def: $vgpr8_vgpr9_vgpr10_vgpr11_vgpr12_vgpr13
	s_cbranch_execnz .LBB69_66
	s_branch .LBB69_107
.LBB69_8:
                                        ; implicit-def: $vgpr8
.LBB69_9:
	ds_load_b32 v8, v27
.LBB69_10:
	v_mov_b32_e32 v9, 0
	ds_load_b32 v9, v9 offset:16
	s_wait_dscnt 0x0
	v_mul_f32_e32 v26, v8, v9
	v_mov_b64_e32 v[12:13], v[6:7]
	v_mov_b64_e32 v[10:11], v[4:5]
	;; [unrolled: 1-line block ×3, first 2 shown]
	s_delay_alu instid0(VALU_DEP_4)
	v_mov_b32_e32 v12, v26
.LBB69_11:
	s_or_b32 exec_lo, exec_lo, s1
	v_cmp_lt_u32_e64 s1, 3, v0
	ds_store_b32 v27, v11
	s_wait_dscnt 0x0
	s_barrier_signal -1
	s_barrier_wait -1
	s_and_saveexec_b32 s2, s1
	s_cbranch_execz .LBB69_17
; %bb.12:
	s_and_not1_b32 vcc_lo, exec_lo, s10
	s_cbranch_vccnz .LBB69_14
; %bb.13:
	v_cmp_eq_u32_e32 vcc_lo, 1, v0
	ds_load_b32 v28, v27
	v_cndmask_b32_e32 v26, v8, v9, vcc_lo
	v_cmp_eq_u32_e32 vcc_lo, 2, v0
	s_delay_alu instid0(VALU_DEP_2) | instskip(SKIP_1) | instid1(VALU_DEP_2)
	v_cndmask_b32_e32 v26, v26, v10, vcc_lo
	v_cmp_eq_u32_e32 vcc_lo, 3, v0
	v_cndmask_b32_e32 v11, v26, v11, vcc_lo
	v_cmp_eq_u32_e32 vcc_lo, 4, v0
	s_delay_alu instid0(VALU_DEP_2) | instskip(SKIP_1) | instid1(VALU_DEP_2)
	v_cndmask_b32_e32 v11, v11, v12, vcc_lo
	v_cmp_eq_u32_e32 vcc_lo, 5, v0
	v_cndmask_b32_e32 v11, v11, v13, vcc_lo
	s_wait_dscnt 0x0
	s_delay_alu instid0(VALU_DEP_1)
	v_mul_f32_e32 v11, v11, v28
	s_cbranch_execz .LBB69_15
	s_branch .LBB69_16
.LBB69_14:
                                        ; implicit-def: $vgpr11
.LBB69_15:
	ds_load_b32 v11, v27
.LBB69_16:
	v_mov_b32_e32 v26, 0
	ds_load_2addr_b32 v[28:29], v26 offset0:3 offset1:12
	s_wait_dscnt 0x0
	v_fma_f32 v26, v12, v29, v11
	s_delay_alu instid0(VALU_DEP_1) | instskip(NEXT) | instid1(VALU_DEP_1)
	v_cndmask_b32_e64 v11, v11, v26, s0
	v_mul_f32_e32 v11, v11, v28
.LBB69_17:
	s_or_b32 exec_lo, exec_lo, s2
	v_cmp_lt_u32_e64 s0, 2, v0
	ds_store_b32 v27, v10
	s_wait_dscnt 0x0
	s_barrier_signal -1
	s_barrier_wait -1
	s_and_saveexec_b32 s4, s0
	s_cbranch_execz .LBB69_33
; %bb.18:
	s_and_not1_b32 vcc_lo, exec_lo, s10
	s_cbranch_vccnz .LBB69_20
; %bb.19:
	v_cmp_eq_u32_e32 vcc_lo, 1, v0
	ds_load_b32 v28, v27
	v_cndmask_b32_e32 v26, v8, v9, vcc_lo
	v_cmp_eq_u32_e32 vcc_lo, 2, v0
	s_delay_alu instid0(VALU_DEP_2) | instskip(SKIP_1) | instid1(VALU_DEP_2)
	v_cndmask_b32_e32 v26, v26, v10, vcc_lo
	v_cmp_eq_u32_e32 vcc_lo, 3, v0
	v_cndmask_b32_e32 v26, v26, v11, vcc_lo
	v_cmp_eq_u32_e32 vcc_lo, 4, v0
	s_delay_alu instid0(VALU_DEP_2) | instskip(SKIP_1) | instid1(VALU_DEP_2)
	v_cndmask_b32_e32 v26, v26, v12, vcc_lo
	v_cmp_eq_u32_e32 vcc_lo, 5, v0
	v_cndmask_b32_e32 v26, v26, v13, vcc_lo
	s_wait_dscnt 0x0
	s_delay_alu instid0(VALU_DEP_1)
	v_mul_f32_e32 v30, v26, v28
	s_cbranch_execz .LBB69_21
	s_branch .LBB69_22
.LBB69_20:
                                        ; implicit-def: $vgpr30
.LBB69_21:
	ds_load_b32 v30, v27
.LBB69_22:
	s_and_saveexec_b32 s5, s1
	s_cbranch_execz .LBB69_32
; %bb.23:
	v_dual_add_nc_u32 v26, -4, v0 :: v_dual_add_nc_u32 v29, -3, v0
	v_mov_b32_e32 v28, 3
	s_mov_b32 s8, exec_lo
	s_delay_alu instid0(VALU_DEP_2)
	v_cmpx_lt_u32_e32 6, v26
	s_cbranch_execz .LBB69_27
; %bb.24:
	v_and_b32_e32 v26, -8, v29
	s_mov_b32 s9, 0
	s_mov_b64 s[2:3], 10
	s_mov_b32 s11, 44
	s_delay_alu instid0(VALU_DEP_1)
	v_sub_nc_u32_e32 v26, 0, v26
.LBB69_25:                              ; =>This Inner Loop Header: Depth=1
	s_add_co_i32 s1, s2, -7
	s_delay_alu instid0(SALU_CYCLE_1)
	s_cmp_eq_u32 s1, 1
	s_cselect_b32 vcc_lo, -1, 0
	v_dual_mov_b32 v28, s11 :: v_dual_cndmask_b32 v31, v8, v9
	s_cmp_eq_u32 s1, 2
	ds_load_2addr_b32 v[32:33], v28 offset1:1
	ds_load_2addr_b32 v[34:35], v28 offset0:2 offset1:3
	ds_load_2addr_b32 v[36:37], v28 offset0:4 offset1:5
	;; [unrolled: 1-line block ×3, first 2 shown]
	s_cselect_b32 vcc_lo, -1, 0
	s_cmp_eq_u32 s1, 3
	v_cndmask_b32_e32 v28, v31, v10, vcc_lo
	s_cselect_b32 vcc_lo, -1, 0
	s_cmp_eq_u32 s1, 4
	s_delay_alu instid0(VALU_DEP_1) | instskip(SKIP_2) | instid1(VALU_DEP_1)
	v_cndmask_b32_e32 v28, v28, v11, vcc_lo
	s_cselect_b32 vcc_lo, -1, 0
	s_cmp_eq_u32 s1, 5
	v_cndmask_b32_e32 v28, v28, v12, vcc_lo
	s_cselect_b32 vcc_lo, -1, 0
	s_add_co_i32 s12, s2, -6
	s_delay_alu instid0(SALU_CYCLE_1) | instskip(NEXT) | instid1(VALU_DEP_1)
	s_cmp_eq_u32 s12, 1
	v_cndmask_b32_e32 v28, v28, v13, vcc_lo
	s_cselect_b32 s1, -1, 0
	s_cmp_eq_u32 s12, 2
	v_cndmask_b32_e64 v31, v8, v9, s1
	s_cselect_b32 vcc_lo, -1, 0
	s_cmp_eq_u32 s12, 3
	s_delay_alu instid0(VALU_DEP_1)
	v_cndmask_b32_e32 v31, v31, v10, vcc_lo
	s_cselect_b32 vcc_lo, -1, 0
	s_wait_dscnt 0x3
	v_fmac_f32_e32 v30, v28, v32
	s_cmp_eq_u32 s12, 4
	v_cndmask_b32_e32 v28, v31, v11, vcc_lo
	s_cselect_b32 vcc_lo, -1, 0
	s_cmp_eq_u32 s12, 5
	s_delay_alu instid0(VALU_DEP_1) | instskip(SKIP_2) | instid1(SALU_CYCLE_1)
	v_cndmask_b32_e32 v28, v28, v12, vcc_lo
	s_cselect_b32 vcc_lo, -1, 0
	s_add_co_i32 s12, s2, -5
	s_cmp_eq_u32 s12, 1
	s_delay_alu instid0(VALU_DEP_1)
	v_cndmask_b32_e32 v28, v28, v13, vcc_lo
	s_cselect_b32 s1, -1, 0
	s_cmp_eq_u32 s12, 2
	v_cndmask_b32_e64 v31, v8, v9, s1
	s_cselect_b32 vcc_lo, -1, 0
	s_cmp_eq_u32 s12, 3
	s_delay_alu instid0(VALU_DEP_1) | instskip(SKIP_3) | instid1(VALU_DEP_2)
	v_cndmask_b32_e32 v31, v31, v10, vcc_lo
	s_cselect_b32 vcc_lo, -1, 0
	v_fmac_f32_e32 v30, v28, v33
	s_cmp_eq_u32 s12, 4
	v_cndmask_b32_e32 v28, v31, v11, vcc_lo
	s_cselect_b32 vcc_lo, -1, 0
	s_cmp_eq_u32 s12, 5
	s_delay_alu instid0(VALU_DEP_1) | instskip(SKIP_2) | instid1(SALU_CYCLE_1)
	v_cndmask_b32_e32 v28, v28, v12, vcc_lo
	s_cselect_b32 vcc_lo, -1, 0
	s_add_co_i32 s12, s2, -4
	s_cmp_eq_u32 s12, 1
	s_delay_alu instid0(VALU_DEP_1)
	v_cndmask_b32_e32 v28, v28, v13, vcc_lo
	s_cselect_b32 s1, -1, 0
	s_cmp_eq_u32 s12, 2
	v_cndmask_b32_e64 v31, v8, v9, s1
	s_cselect_b32 vcc_lo, -1, 0
	s_cmp_eq_u32 s12, 3
	s_delay_alu instid0(VALU_DEP_1)
	v_cndmask_b32_e32 v31, v31, v10, vcc_lo
	s_cselect_b32 vcc_lo, -1, 0
	s_wait_dscnt 0x2
	v_fmac_f32_e32 v30, v28, v34
	s_cmp_eq_u32 s12, 4
	v_cndmask_b32_e32 v28, v31, v11, vcc_lo
	s_cselect_b32 vcc_lo, -1, 0
	s_cmp_eq_u32 s12, 5
	s_delay_alu instid0(VALU_DEP_1) | instskip(SKIP_2) | instid1(SALU_CYCLE_1)
	v_cndmask_b32_e32 v28, v28, v12, vcc_lo
	s_cselect_b32 vcc_lo, -1, 0
	s_add_co_i32 s12, s2, -3
	s_cmp_eq_u32 s12, 1
	s_delay_alu instid0(VALU_DEP_1)
	v_cndmask_b32_e32 v28, v28, v13, vcc_lo
	s_cselect_b32 s1, -1, 0
	s_cmp_eq_u32 s12, 2
	v_cndmask_b32_e64 v31, v8, v9, s1
	s_cselect_b32 vcc_lo, -1, 0
	s_cmp_eq_u32 s12, 3
	s_delay_alu instid0(VALU_DEP_1) | instskip(SKIP_2) | instid1(VALU_DEP_1)
	v_dual_fmac_f32 v30, v28, v35 :: v_dual_cndmask_b32 v31, v31, v10
	s_cselect_b32 vcc_lo, -1, 0
	s_cmp_eq_u32 s12, 4
	v_cndmask_b32_e32 v28, v31, v11, vcc_lo
	s_cselect_b32 vcc_lo, -1, 0
	s_cmp_eq_u32 s12, 5
	s_delay_alu instid0(VALU_DEP_1) | instskip(SKIP_2) | instid1(SALU_CYCLE_1)
	v_cndmask_b32_e32 v28, v28, v12, vcc_lo
	s_cselect_b32 vcc_lo, -1, 0
	s_add_co_i32 s12, s2, -2
	s_cmp_eq_u32 s12, 1
	s_delay_alu instid0(VALU_DEP_1)
	v_cndmask_b32_e32 v28, v28, v13, vcc_lo
	s_cselect_b32 s1, -1, 0
	s_cmp_eq_u32 s12, 2
	v_cndmask_b32_e64 v31, v8, v9, s1
	s_cselect_b32 vcc_lo, -1, 0
	s_cmp_eq_u32 s12, 3
	s_delay_alu instid0(VALU_DEP_1)
	v_cndmask_b32_e32 v31, v31, v10, vcc_lo
	s_cselect_b32 vcc_lo, -1, 0
	s_wait_dscnt 0x1
	v_fmac_f32_e32 v30, v28, v36
	s_cmp_eq_u32 s12, 4
	v_cndmask_b32_e32 v28, v31, v11, vcc_lo
	s_cselect_b32 vcc_lo, -1, 0
	s_cmp_eq_u32 s12, 5
	s_delay_alu instid0(VALU_DEP_1) | instskip(SKIP_2) | instid1(SALU_CYCLE_1)
	v_cndmask_b32_e32 v28, v28, v12, vcc_lo
	s_cselect_b32 vcc_lo, -1, 0
	s_add_co_i32 s12, s2, -1
	s_cmp_eq_u32 s12, 1
	s_delay_alu instid0(VALU_DEP_1)
	v_cndmask_b32_e32 v28, v28, v13, vcc_lo
	s_cselect_b32 s1, -1, 0
	s_cmp_eq_u32 s12, 2
	v_cndmask_b32_e64 v31, v8, v9, s1
	s_cselect_b32 vcc_lo, -1, 0
	s_cmp_eq_u32 s12, 3
	s_delay_alu instid0(VALU_DEP_1) | instskip(SKIP_3) | instid1(VALU_DEP_2)
	v_cndmask_b32_e32 v31, v31, v10, vcc_lo
	s_cselect_b32 vcc_lo, -1, 0
	v_fmac_f32_e32 v30, v28, v37
	s_cmp_eq_u32 s12, 4
	v_cndmask_b32_e32 v28, v31, v11, vcc_lo
	s_cselect_b32 vcc_lo, -1, 0
	s_cmp_eq_u32 s12, 5
	s_delay_alu instid0(VALU_DEP_1)
	v_cndmask_b32_e32 v28, v28, v12, vcc_lo
	s_cselect_b32 vcc_lo, -1, 0
	s_cmp_eq_u32 s2, 1
	s_cselect_b32 s1, -1, 0
	s_cmp_eq_u32 s2, 2
	v_cndmask_b32_e64 v31, v8, v9, s1
	s_cselect_b32 s1, -1, 0
	s_cmp_eq_u32 s2, 3
	v_cndmask_b32_e32 v28, v28, v13, vcc_lo
	s_cselect_b32 vcc_lo, -1, 0
	v_cndmask_b32_e64 v31, v31, v10, s1
	s_cmp_eq_u32 s2, 4
	s_wait_dscnt 0x0
	s_delay_alu instid0(VALU_DEP_1)
	v_dual_fmac_f32 v30, v28, v38 :: v_dual_cndmask_b32 v31, v31, v11
	s_cselect_b32 vcc_lo, -1, 0
	s_cmp_eq_u32 s2, 5
	s_add_nc_u64 s[2:3], s[2:3], 8
	s_delay_alu instid0(VALU_DEP_1) | instid1(SALU_CYCLE_1)
	v_dual_cndmask_b32 v31, v31, v12 :: v_dual_add_nc_u32 v32, s2, v26
	s_cselect_b32 vcc_lo, -1, 0
	s_add_co_i32 s1, s2, -7
	s_add_co_i32 s11, s11, 32
	s_delay_alu instid0(VALU_DEP_1) | instskip(SKIP_1) | instid1(VALU_DEP_2)
	v_cndmask_b32_e32 v31, v31, v13, vcc_lo
	v_cmp_eq_u32_e32 vcc_lo, 10, v32
	v_dual_mov_b32 v28, s1 :: v_dual_fmac_f32 v30, v31, v39
	s_or_b32 s9, vcc_lo, s9
	s_delay_alu instid0(SALU_CYCLE_1)
	s_and_not1_b32 exec_lo, exec_lo, s9
	s_cbranch_execnz .LBB69_25
; %bb.26:
	s_or_b32 exec_lo, exec_lo, s9
.LBB69_27:
	s_delay_alu instid0(SALU_CYCLE_1) | instskip(SKIP_3) | instid1(VALU_DEP_1)
	s_or_b32 exec_lo, exec_lo, s8
	v_and_b32_e32 v26, 7, v29
	s_mov_b32 s2, 0
	s_mov_b32 s1, exec_lo
	v_cmpx_ne_u32_e32 0, v26
	s_cbranch_execz .LBB69_31
; %bb.28:
	v_lshl_add_u32 v31, v28, 2, 32
	v_mov_b32_e32 v29, 0
.LBB69_29:                              ; =>This Inner Loop Header: Depth=1
	v_cmp_eq_u32_e32 vcc_lo, 1, v28
	ds_load_b32 v33, v31
	v_dual_add_nc_u32 v26, -1, v26 :: v_dual_add_nc_u32 v31, 4, v31
	v_cndmask_b32_e32 v32, v8, v9, vcc_lo
	v_cmp_eq_u32_e32 vcc_lo, 2, v28
	s_delay_alu instid0(VALU_DEP_2) | instskip(SKIP_1) | instid1(VALU_DEP_2)
	v_cndmask_b32_e32 v32, v32, v10, vcc_lo
	v_cmp_eq_u32_e32 vcc_lo, 3, v28
	v_cndmask_b32_e32 v32, v32, v11, vcc_lo
	v_cmp_eq_u32_e32 vcc_lo, 4, v28
	s_delay_alu instid0(VALU_DEP_2) | instskip(SKIP_2) | instid1(VALU_DEP_3)
	v_cndmask_b32_e32 v32, v32, v12, vcc_lo
	v_cmp_eq_u32_e32 vcc_lo, 5, v28
	v_add_nc_u64_e32 v[28:29], 1, v[28:29]
	v_cndmask_b32_e32 v32, v32, v13, vcc_lo
	v_cmp_eq_u32_e32 vcc_lo, 0, v26
	s_wait_dscnt 0x0
	s_delay_alu instid0(VALU_DEP_2) | instskip(SKIP_1) | instid1(SALU_CYCLE_1)
	v_fmac_f32_e32 v30, v32, v33
	s_or_b32 s2, vcc_lo, s2
	s_and_not1_b32 exec_lo, exec_lo, s2
	s_cbranch_execnz .LBB69_29
; %bb.30:
	s_or_b32 exec_lo, exec_lo, s2
.LBB69_31:
	s_delay_alu instid0(SALU_CYCLE_1)
	s_or_b32 exec_lo, exec_lo, s1
.LBB69_32:
	s_delay_alu instid0(SALU_CYCLE_1)
	s_or_b32 exec_lo, exec_lo, s5
	v_mov_b32_e32 v10, 0
	ds_load_b32 v10, v10 offset:8
	s_wait_dscnt 0x0
	v_mul_f32_e32 v10, v30, v10
.LBB69_33:
	s_or_b32 exec_lo, exec_lo, s4
	v_cmp_lt_u32_e64 s1, 1, v0
	ds_store_b32 v27, v9
	s_wait_dscnt 0x0
	s_barrier_signal -1
	s_barrier_wait -1
	s_and_saveexec_b32 s4, s1
	s_cbranch_execz .LBB69_49
; %bb.34:
	s_and_not1_b32 vcc_lo, exec_lo, s10
	s_cbranch_vccnz .LBB69_36
; %bb.35:
	v_cmp_eq_u32_e32 vcc_lo, 1, v0
	ds_load_b32 v28, v27
	v_cndmask_b32_e32 v26, v8, v9, vcc_lo
	v_cmp_eq_u32_e32 vcc_lo, 2, v0
	s_delay_alu instid0(VALU_DEP_2) | instskip(SKIP_1) | instid1(VALU_DEP_2)
	v_cndmask_b32_e32 v26, v26, v10, vcc_lo
	v_cmp_eq_u32_e32 vcc_lo, 3, v0
	v_cndmask_b32_e32 v26, v26, v11, vcc_lo
	v_cmp_eq_u32_e32 vcc_lo, 4, v0
	s_delay_alu instid0(VALU_DEP_2) | instskip(SKIP_1) | instid1(VALU_DEP_2)
	v_cndmask_b32_e32 v26, v26, v12, vcc_lo
	v_cmp_eq_u32_e32 vcc_lo, 5, v0
	v_cndmask_b32_e32 v26, v26, v13, vcc_lo
	s_wait_dscnt 0x0
	s_delay_alu instid0(VALU_DEP_1)
	v_mul_f32_e32 v30, v26, v28
	s_cbranch_execz .LBB69_37
	s_branch .LBB69_38
.LBB69_36:
                                        ; implicit-def: $vgpr30
.LBB69_37:
	ds_load_b32 v30, v27
.LBB69_38:
	s_and_saveexec_b32 s5, s0
	s_cbranch_execz .LBB69_48
; %bb.39:
	v_dual_add_nc_u32 v26, -3, v0 :: v_dual_add_nc_u32 v29, -2, v0
	v_mov_b32_e32 v28, 2
	s_mov_b32 s8, exec_lo
	s_delay_alu instid0(VALU_DEP_2)
	v_cmpx_lt_u32_e32 6, v26
	s_cbranch_execz .LBB69_43
; %bb.40:
	v_and_b32_e32 v26, -8, v29
	s_mov_b32 s9, 0
	s_mov_b64 s[2:3], 9
	s_mov_b32 s11, 40
	s_delay_alu instid0(VALU_DEP_1)
	v_sub_nc_u32_e32 v26, 0, v26
.LBB69_41:                              ; =>This Inner Loop Header: Depth=1
	s_add_co_i32 s0, s2, -7
	s_delay_alu instid0(SALU_CYCLE_1)
	s_cmp_eq_u32 s0, 1
	s_cselect_b32 vcc_lo, -1, 0
	v_dual_mov_b32 v28, s11 :: v_dual_cndmask_b32 v31, v8, v9
	s_cmp_eq_u32 s0, 2
	ds_load_2addr_b64 v[32:35], v28 offset1:1
	ds_load_2addr_b64 v[36:39], v28 offset0:2 offset1:3
	s_cselect_b32 vcc_lo, -1, 0
	s_cmp_eq_u32 s0, 3
	v_cndmask_b32_e32 v28, v31, v10, vcc_lo
	s_cselect_b32 vcc_lo, -1, 0
	s_cmp_eq_u32 s0, 4
	s_delay_alu instid0(VALU_DEP_1) | instskip(SKIP_2) | instid1(VALU_DEP_1)
	v_cndmask_b32_e32 v28, v28, v11, vcc_lo
	s_cselect_b32 vcc_lo, -1, 0
	s_cmp_eq_u32 s0, 5
	v_cndmask_b32_e32 v28, v28, v12, vcc_lo
	s_cselect_b32 vcc_lo, -1, 0
	s_add_co_i32 s12, s2, -6
	s_delay_alu instid0(SALU_CYCLE_1) | instskip(NEXT) | instid1(VALU_DEP_1)
	s_cmp_eq_u32 s12, 1
	v_cndmask_b32_e32 v28, v28, v13, vcc_lo
	s_cselect_b32 s0, -1, 0
	s_cmp_eq_u32 s12, 2
	v_cndmask_b32_e64 v31, v8, v9, s0
	s_cselect_b32 vcc_lo, -1, 0
	s_cmp_eq_u32 s12, 3
	s_delay_alu instid0(VALU_DEP_1)
	v_cndmask_b32_e32 v31, v31, v10, vcc_lo
	s_cselect_b32 vcc_lo, -1, 0
	s_wait_dscnt 0x1
	v_fmac_f32_e32 v30, v28, v32
	s_cmp_eq_u32 s12, 4
	v_cndmask_b32_e32 v28, v31, v11, vcc_lo
	s_cselect_b32 vcc_lo, -1, 0
	s_cmp_eq_u32 s12, 5
	s_delay_alu instid0(VALU_DEP_1) | instskip(SKIP_2) | instid1(SALU_CYCLE_1)
	v_cndmask_b32_e32 v28, v28, v12, vcc_lo
	s_cselect_b32 vcc_lo, -1, 0
	s_add_co_i32 s12, s2, -5
	s_cmp_eq_u32 s12, 1
	s_delay_alu instid0(VALU_DEP_1)
	v_cndmask_b32_e32 v28, v28, v13, vcc_lo
	s_cselect_b32 s0, -1, 0
	s_cmp_eq_u32 s12, 2
	v_cndmask_b32_e64 v31, v8, v9, s0
	s_cselect_b32 vcc_lo, -1, 0
	s_cmp_eq_u32 s12, 3
	s_delay_alu instid0(VALU_DEP_1) | instskip(SKIP_3) | instid1(VALU_DEP_2)
	v_cndmask_b32_e32 v31, v31, v10, vcc_lo
	s_cselect_b32 vcc_lo, -1, 0
	v_fmac_f32_e32 v30, v28, v33
	s_cmp_eq_u32 s12, 4
	v_cndmask_b32_e32 v28, v31, v11, vcc_lo
	s_cselect_b32 vcc_lo, -1, 0
	s_cmp_eq_u32 s12, 5
	s_delay_alu instid0(VALU_DEP_1) | instskip(SKIP_2) | instid1(SALU_CYCLE_1)
	v_cndmask_b32_e32 v28, v28, v12, vcc_lo
	s_cselect_b32 vcc_lo, -1, 0
	s_add_co_i32 s12, s2, -4
	s_cmp_eq_u32 s12, 1
	s_delay_alu instid0(VALU_DEP_1)
	v_cndmask_b32_e32 v28, v28, v13, vcc_lo
	s_cselect_b32 s0, -1, 0
	s_cmp_eq_u32 s12, 2
	v_cndmask_b32_e64 v31, v8, v9, s0
	s_cselect_b32 vcc_lo, -1, 0
	s_cmp_eq_u32 s12, 3
	s_delay_alu instid0(VALU_DEP_1) | instskip(SKIP_3) | instid1(VALU_DEP_2)
	v_cndmask_b32_e32 v31, v31, v10, vcc_lo
	s_cselect_b32 vcc_lo, -1, 0
	v_fmac_f32_e32 v30, v28, v34
	s_cmp_eq_u32 s12, 4
	v_cndmask_b32_e32 v28, v31, v11, vcc_lo
	s_cselect_b32 vcc_lo, -1, 0
	s_cmp_eq_u32 s12, 5
	s_delay_alu instid0(VALU_DEP_1) | instskip(SKIP_2) | instid1(SALU_CYCLE_1)
	v_cndmask_b32_e32 v28, v28, v12, vcc_lo
	s_cselect_b32 vcc_lo, -1, 0
	s_add_co_i32 s12, s2, -3
	s_cmp_eq_u32 s12, 1
	s_delay_alu instid0(VALU_DEP_1)
	v_cndmask_b32_e32 v28, v28, v13, vcc_lo
	s_cselect_b32 s0, -1, 0
	s_cmp_eq_u32 s12, 2
	v_cndmask_b32_e64 v31, v8, v9, s0
	s_cselect_b32 vcc_lo, -1, 0
	s_cmp_eq_u32 s12, 3
	s_delay_alu instid0(VALU_DEP_1) | instskip(SKIP_2) | instid1(VALU_DEP_1)
	v_dual_fmac_f32 v30, v28, v35 :: v_dual_cndmask_b32 v31, v31, v10
	s_cselect_b32 vcc_lo, -1, 0
	s_cmp_eq_u32 s12, 4
	v_cndmask_b32_e32 v28, v31, v11, vcc_lo
	s_cselect_b32 vcc_lo, -1, 0
	s_cmp_eq_u32 s12, 5
	s_delay_alu instid0(VALU_DEP_1) | instskip(SKIP_2) | instid1(SALU_CYCLE_1)
	v_cndmask_b32_e32 v28, v28, v12, vcc_lo
	s_cselect_b32 vcc_lo, -1, 0
	s_add_co_i32 s12, s2, -2
	s_cmp_eq_u32 s12, 1
	s_delay_alu instid0(VALU_DEP_1)
	v_cndmask_b32_e32 v28, v28, v13, vcc_lo
	s_cselect_b32 s0, -1, 0
	s_cmp_eq_u32 s12, 2
	v_cndmask_b32_e64 v31, v8, v9, s0
	s_cselect_b32 vcc_lo, -1, 0
	s_cmp_eq_u32 s12, 3
	s_delay_alu instid0(VALU_DEP_1)
	v_cndmask_b32_e32 v31, v31, v10, vcc_lo
	s_cselect_b32 vcc_lo, -1, 0
	s_wait_dscnt 0x0
	v_fmac_f32_e32 v30, v28, v36
	s_cmp_eq_u32 s12, 4
	v_cndmask_b32_e32 v28, v31, v11, vcc_lo
	s_cselect_b32 vcc_lo, -1, 0
	s_cmp_eq_u32 s12, 5
	s_delay_alu instid0(VALU_DEP_1) | instskip(SKIP_2) | instid1(SALU_CYCLE_1)
	v_cndmask_b32_e32 v28, v28, v12, vcc_lo
	s_cselect_b32 vcc_lo, -1, 0
	s_add_co_i32 s12, s2, -1
	s_cmp_eq_u32 s12, 1
	s_delay_alu instid0(VALU_DEP_1)
	v_cndmask_b32_e32 v28, v28, v13, vcc_lo
	s_cselect_b32 s0, -1, 0
	s_cmp_eq_u32 s12, 2
	v_cndmask_b32_e64 v31, v8, v9, s0
	s_cselect_b32 vcc_lo, -1, 0
	s_cmp_eq_u32 s12, 3
	s_delay_alu instid0(VALU_DEP_1) | instskip(SKIP_3) | instid1(VALU_DEP_2)
	v_cndmask_b32_e32 v31, v31, v10, vcc_lo
	s_cselect_b32 vcc_lo, -1, 0
	v_fmac_f32_e32 v30, v28, v37
	s_cmp_eq_u32 s12, 4
	v_cndmask_b32_e32 v28, v31, v11, vcc_lo
	s_cselect_b32 vcc_lo, -1, 0
	s_cmp_eq_u32 s12, 5
	s_delay_alu instid0(VALU_DEP_1)
	v_cndmask_b32_e32 v28, v28, v12, vcc_lo
	s_cselect_b32 vcc_lo, -1, 0
	s_cmp_eq_u32 s2, 1
	s_cselect_b32 s0, -1, 0
	s_cmp_eq_u32 s2, 2
	v_cndmask_b32_e64 v31, v8, v9, s0
	s_cselect_b32 s0, -1, 0
	s_cmp_eq_u32 s2, 3
	v_cndmask_b32_e32 v28, v28, v13, vcc_lo
	s_cselect_b32 vcc_lo, -1, 0
	v_cndmask_b32_e64 v31, v31, v10, s0
	s_cmp_eq_u32 s2, 4
	s_delay_alu instid0(VALU_DEP_1)
	v_dual_fmac_f32 v30, v28, v38 :: v_dual_cndmask_b32 v31, v31, v11
	s_cselect_b32 vcc_lo, -1, 0
	s_cmp_eq_u32 s2, 5
	s_add_nc_u64 s[2:3], s[2:3], 8
	s_delay_alu instid0(VALU_DEP_1) | instid1(SALU_CYCLE_1)
	v_dual_cndmask_b32 v31, v31, v12 :: v_dual_add_nc_u32 v32, s2, v26
	s_cselect_b32 vcc_lo, -1, 0
	s_add_co_i32 s0, s2, -7
	s_add_co_i32 s11, s11, 32
	s_delay_alu instid0(VALU_DEP_1) | instskip(SKIP_1) | instid1(VALU_DEP_2)
	v_cndmask_b32_e32 v31, v31, v13, vcc_lo
	v_cmp_eq_u32_e32 vcc_lo, 9, v32
	v_dual_mov_b32 v28, s0 :: v_dual_fmac_f32 v30, v31, v39
	s_or_b32 s9, vcc_lo, s9
	s_delay_alu instid0(SALU_CYCLE_1)
	s_and_not1_b32 exec_lo, exec_lo, s9
	s_cbranch_execnz .LBB69_41
; %bb.42:
	s_or_b32 exec_lo, exec_lo, s9
.LBB69_43:
	s_delay_alu instid0(SALU_CYCLE_1) | instskip(SKIP_3) | instid1(VALU_DEP_1)
	s_or_b32 exec_lo, exec_lo, s8
	v_and_b32_e32 v26, 7, v29
	s_mov_b32 s2, 0
	s_mov_b32 s0, exec_lo
	v_cmpx_ne_u32_e32 0, v26
	s_cbranch_execz .LBB69_47
; %bb.44:
	v_lshl_add_u32 v31, v28, 2, 32
	v_mov_b32_e32 v29, 0
.LBB69_45:                              ; =>This Inner Loop Header: Depth=1
	v_cmp_eq_u32_e32 vcc_lo, 1, v28
	ds_load_b32 v33, v31
	v_dual_add_nc_u32 v26, -1, v26 :: v_dual_add_nc_u32 v31, 4, v31
	v_cndmask_b32_e32 v32, v8, v9, vcc_lo
	v_cmp_eq_u32_e32 vcc_lo, 2, v28
	s_delay_alu instid0(VALU_DEP_2) | instskip(SKIP_1) | instid1(VALU_DEP_2)
	v_cndmask_b32_e32 v32, v32, v10, vcc_lo
	v_cmp_eq_u32_e32 vcc_lo, 3, v28
	v_cndmask_b32_e32 v32, v32, v11, vcc_lo
	v_cmp_eq_u32_e32 vcc_lo, 4, v28
	s_delay_alu instid0(VALU_DEP_2) | instskip(SKIP_2) | instid1(VALU_DEP_3)
	v_cndmask_b32_e32 v32, v32, v12, vcc_lo
	v_cmp_eq_u32_e32 vcc_lo, 5, v28
	v_add_nc_u64_e32 v[28:29], 1, v[28:29]
	v_cndmask_b32_e32 v32, v32, v13, vcc_lo
	v_cmp_eq_u32_e32 vcc_lo, 0, v26
	s_wait_dscnt 0x0
	s_delay_alu instid0(VALU_DEP_2) | instskip(SKIP_1) | instid1(SALU_CYCLE_1)
	v_fmac_f32_e32 v30, v32, v33
	s_or_b32 s2, vcc_lo, s2
	s_and_not1_b32 exec_lo, exec_lo, s2
	s_cbranch_execnz .LBB69_45
; %bb.46:
	s_or_b32 exec_lo, exec_lo, s2
.LBB69_47:
	s_delay_alu instid0(SALU_CYCLE_1)
	s_or_b32 exec_lo, exec_lo, s0
.LBB69_48:
	s_delay_alu instid0(SALU_CYCLE_1)
	s_or_b32 exec_lo, exec_lo, s5
	v_mov_b32_e32 v9, 0
	ds_load_b32 v9, v9 offset:4
	s_wait_dscnt 0x0
	v_mul_f32_e32 v9, v30, v9
.LBB69_49:
	s_or_b32 exec_lo, exec_lo, s4
	s_mov_b32 s4, 0
	s_mov_b32 s5, exec_lo
	ds_store_b32 v27, v8
	s_wait_dscnt 0x0
	s_barrier_signal -1
	s_barrier_wait -1
	v_cmpx_ne_u32_e32 0, v0
	s_cbranch_execz .LBB69_65
; %bb.50:
	s_and_not1_b32 vcc_lo, exec_lo, s10
	s_cbranch_vccnz .LBB69_52
; %bb.51:
	v_cmp_eq_u32_e32 vcc_lo, 1, v0
	ds_load_b32 v28, v27
	v_cndmask_b32_e32 v26, v8, v9, vcc_lo
	v_cmp_eq_u32_e32 vcc_lo, 2, v0
	s_delay_alu instid0(VALU_DEP_2) | instskip(SKIP_1) | instid1(VALU_DEP_2)
	v_cndmask_b32_e32 v26, v26, v10, vcc_lo
	v_cmp_eq_u32_e32 vcc_lo, 3, v0
	v_cndmask_b32_e32 v26, v26, v11, vcc_lo
	v_cmp_eq_u32_e32 vcc_lo, 4, v0
	s_delay_alu instid0(VALU_DEP_2) | instskip(SKIP_1) | instid1(VALU_DEP_2)
	v_cndmask_b32_e32 v26, v26, v12, vcc_lo
	v_cmp_eq_u32_e32 vcc_lo, 5, v0
	v_cndmask_b32_e32 v26, v26, v13, vcc_lo
	s_wait_dscnt 0x0
	s_delay_alu instid0(VALU_DEP_1)
	v_mul_f32_e32 v30, v26, v28
	s_cbranch_execz .LBB69_53
	s_branch .LBB69_54
.LBB69_52:
                                        ; implicit-def: $vgpr30
.LBB69_53:
	ds_load_b32 v30, v27
.LBB69_54:
	s_and_saveexec_b32 s8, s1
	s_cbranch_execz .LBB69_64
; %bb.55:
	v_dual_add_nc_u32 v26, -2, v0 :: v_dual_add_nc_u32 v29, -1, v0
	v_mov_b32_e32 v28, 1
	s_mov_b32 s1, exec_lo
	s_delay_alu instid0(VALU_DEP_2)
	v_cmpx_lt_u32_e32 6, v26
	s_cbranch_execz .LBB69_59
; %bb.56:
	v_and_b32_e32 v26, -8, v29
	s_mov_b32 s9, 0
	s_mov_b64 s[2:3], 8
	s_mov_b32 s11, 36
	s_delay_alu instid0(VALU_DEP_1)
	v_sub_nc_u32_e32 v26, 0, v26
.LBB69_57:                              ; =>This Inner Loop Header: Depth=1
	s_add_co_i32 s0, s2, -7
	s_delay_alu instid0(SALU_CYCLE_1)
	s_cmp_eq_u32 s0, 1
	s_cselect_b32 vcc_lo, -1, 0
	v_dual_mov_b32 v28, s11 :: v_dual_cndmask_b32 v31, v8, v9
	s_cmp_eq_u32 s0, 2
	ds_load_2addr_b32 v[32:33], v28 offset1:1
	ds_load_2addr_b32 v[34:35], v28 offset0:2 offset1:3
	ds_load_2addr_b32 v[36:37], v28 offset0:4 offset1:5
	;; [unrolled: 1-line block ×3, first 2 shown]
	s_cselect_b32 vcc_lo, -1, 0
	s_cmp_eq_u32 s0, 3
	v_cndmask_b32_e32 v28, v31, v10, vcc_lo
	s_cselect_b32 vcc_lo, -1, 0
	s_cmp_eq_u32 s0, 4
	s_delay_alu instid0(VALU_DEP_1) | instskip(SKIP_2) | instid1(VALU_DEP_1)
	v_cndmask_b32_e32 v28, v28, v11, vcc_lo
	s_cselect_b32 vcc_lo, -1, 0
	s_cmp_eq_u32 s0, 5
	v_cndmask_b32_e32 v28, v28, v12, vcc_lo
	s_cselect_b32 vcc_lo, -1, 0
	s_add_co_i32 s12, s2, -6
	s_delay_alu instid0(SALU_CYCLE_1) | instskip(NEXT) | instid1(VALU_DEP_1)
	s_cmp_eq_u32 s12, 1
	v_cndmask_b32_e32 v28, v28, v13, vcc_lo
	s_cselect_b32 s0, -1, 0
	s_cmp_eq_u32 s12, 2
	v_cndmask_b32_e64 v31, v8, v9, s0
	s_cselect_b32 vcc_lo, -1, 0
	s_cmp_eq_u32 s12, 3
	s_delay_alu instid0(VALU_DEP_1)
	v_cndmask_b32_e32 v31, v31, v10, vcc_lo
	s_cselect_b32 vcc_lo, -1, 0
	s_wait_dscnt 0x3
	v_fmac_f32_e32 v30, v28, v32
	s_cmp_eq_u32 s12, 4
	v_cndmask_b32_e32 v28, v31, v11, vcc_lo
	s_cselect_b32 vcc_lo, -1, 0
	s_cmp_eq_u32 s12, 5
	s_delay_alu instid0(VALU_DEP_1) | instskip(SKIP_2) | instid1(SALU_CYCLE_1)
	v_cndmask_b32_e32 v28, v28, v12, vcc_lo
	s_cselect_b32 vcc_lo, -1, 0
	s_add_co_i32 s12, s2, -5
	s_cmp_eq_u32 s12, 1
	s_delay_alu instid0(VALU_DEP_1)
	v_cndmask_b32_e32 v28, v28, v13, vcc_lo
	s_cselect_b32 s0, -1, 0
	s_cmp_eq_u32 s12, 2
	v_cndmask_b32_e64 v31, v8, v9, s0
	s_cselect_b32 vcc_lo, -1, 0
	s_cmp_eq_u32 s12, 3
	s_delay_alu instid0(VALU_DEP_1) | instskip(SKIP_3) | instid1(VALU_DEP_2)
	v_cndmask_b32_e32 v31, v31, v10, vcc_lo
	s_cselect_b32 vcc_lo, -1, 0
	v_fmac_f32_e32 v30, v28, v33
	s_cmp_eq_u32 s12, 4
	v_cndmask_b32_e32 v28, v31, v11, vcc_lo
	s_cselect_b32 vcc_lo, -1, 0
	s_cmp_eq_u32 s12, 5
	s_delay_alu instid0(VALU_DEP_1) | instskip(SKIP_2) | instid1(SALU_CYCLE_1)
	v_cndmask_b32_e32 v28, v28, v12, vcc_lo
	s_cselect_b32 vcc_lo, -1, 0
	s_add_co_i32 s12, s2, -4
	s_cmp_eq_u32 s12, 1
	s_delay_alu instid0(VALU_DEP_1)
	v_cndmask_b32_e32 v28, v28, v13, vcc_lo
	s_cselect_b32 s0, -1, 0
	s_cmp_eq_u32 s12, 2
	v_cndmask_b32_e64 v31, v8, v9, s0
	s_cselect_b32 vcc_lo, -1, 0
	s_cmp_eq_u32 s12, 3
	s_delay_alu instid0(VALU_DEP_1)
	v_cndmask_b32_e32 v31, v31, v10, vcc_lo
	s_cselect_b32 vcc_lo, -1, 0
	s_wait_dscnt 0x2
	v_fmac_f32_e32 v30, v28, v34
	s_cmp_eq_u32 s12, 4
	v_cndmask_b32_e32 v28, v31, v11, vcc_lo
	s_cselect_b32 vcc_lo, -1, 0
	s_cmp_eq_u32 s12, 5
	s_delay_alu instid0(VALU_DEP_1) | instskip(SKIP_2) | instid1(SALU_CYCLE_1)
	v_cndmask_b32_e32 v28, v28, v12, vcc_lo
	s_cselect_b32 vcc_lo, -1, 0
	s_add_co_i32 s12, s2, -3
	s_cmp_eq_u32 s12, 1
	s_delay_alu instid0(VALU_DEP_1)
	v_cndmask_b32_e32 v28, v28, v13, vcc_lo
	s_cselect_b32 s0, -1, 0
	s_cmp_eq_u32 s12, 2
	v_cndmask_b32_e64 v31, v8, v9, s0
	s_cselect_b32 vcc_lo, -1, 0
	s_cmp_eq_u32 s12, 3
	s_delay_alu instid0(VALU_DEP_1) | instskip(SKIP_2) | instid1(VALU_DEP_1)
	v_dual_fmac_f32 v30, v28, v35 :: v_dual_cndmask_b32 v31, v31, v10
	s_cselect_b32 vcc_lo, -1, 0
	s_cmp_eq_u32 s12, 4
	v_cndmask_b32_e32 v28, v31, v11, vcc_lo
	s_cselect_b32 vcc_lo, -1, 0
	s_cmp_eq_u32 s12, 5
	s_delay_alu instid0(VALU_DEP_1) | instskip(SKIP_2) | instid1(SALU_CYCLE_1)
	v_cndmask_b32_e32 v28, v28, v12, vcc_lo
	s_cselect_b32 vcc_lo, -1, 0
	s_add_co_i32 s12, s2, -2
	s_cmp_eq_u32 s12, 1
	s_delay_alu instid0(VALU_DEP_1)
	v_cndmask_b32_e32 v28, v28, v13, vcc_lo
	s_cselect_b32 s0, -1, 0
	s_cmp_eq_u32 s12, 2
	v_cndmask_b32_e64 v31, v8, v9, s0
	s_cselect_b32 vcc_lo, -1, 0
	s_cmp_eq_u32 s12, 3
	s_delay_alu instid0(VALU_DEP_1)
	v_cndmask_b32_e32 v31, v31, v10, vcc_lo
	s_cselect_b32 vcc_lo, -1, 0
	s_wait_dscnt 0x1
	v_fmac_f32_e32 v30, v28, v36
	s_cmp_eq_u32 s12, 4
	v_cndmask_b32_e32 v28, v31, v11, vcc_lo
	s_cselect_b32 vcc_lo, -1, 0
	s_cmp_eq_u32 s12, 5
	s_delay_alu instid0(VALU_DEP_1) | instskip(SKIP_2) | instid1(SALU_CYCLE_1)
	v_cndmask_b32_e32 v28, v28, v12, vcc_lo
	s_cselect_b32 vcc_lo, -1, 0
	s_add_co_i32 s12, s2, -1
	s_cmp_eq_u32 s12, 1
	s_delay_alu instid0(VALU_DEP_1)
	v_cndmask_b32_e32 v28, v28, v13, vcc_lo
	s_cselect_b32 s0, -1, 0
	s_cmp_eq_u32 s12, 2
	v_cndmask_b32_e64 v31, v8, v9, s0
	s_cselect_b32 vcc_lo, -1, 0
	s_cmp_eq_u32 s12, 3
	s_delay_alu instid0(VALU_DEP_1) | instskip(SKIP_3) | instid1(VALU_DEP_2)
	v_cndmask_b32_e32 v31, v31, v10, vcc_lo
	s_cselect_b32 vcc_lo, -1, 0
	v_fmac_f32_e32 v30, v28, v37
	s_cmp_eq_u32 s12, 4
	v_cndmask_b32_e32 v28, v31, v11, vcc_lo
	s_cselect_b32 vcc_lo, -1, 0
	s_cmp_eq_u32 s12, 5
	s_delay_alu instid0(VALU_DEP_1)
	v_cndmask_b32_e32 v28, v28, v12, vcc_lo
	s_cselect_b32 vcc_lo, -1, 0
	s_cmp_eq_u32 s2, 1
	s_cselect_b32 s0, -1, 0
	s_cmp_eq_u32 s2, 2
	v_cndmask_b32_e64 v31, v8, v9, s0
	s_cselect_b32 s0, -1, 0
	s_cmp_eq_u32 s2, 3
	v_cndmask_b32_e32 v28, v28, v13, vcc_lo
	s_cselect_b32 vcc_lo, -1, 0
	v_cndmask_b32_e64 v31, v31, v10, s0
	s_cmp_eq_u32 s2, 4
	s_wait_dscnt 0x0
	s_delay_alu instid0(VALU_DEP_1)
	v_dual_fmac_f32 v30, v28, v38 :: v_dual_cndmask_b32 v31, v31, v11
	s_cselect_b32 vcc_lo, -1, 0
	s_cmp_eq_u32 s2, 5
	s_add_nc_u64 s[2:3], s[2:3], 8
	s_delay_alu instid0(VALU_DEP_1) | instid1(SALU_CYCLE_1)
	v_dual_cndmask_b32 v31, v31, v12 :: v_dual_add_nc_u32 v32, s2, v26
	s_cselect_b32 vcc_lo, -1, 0
	s_add_co_i32 s0, s2, -7
	s_add_co_i32 s11, s11, 32
	s_delay_alu instid0(VALU_DEP_1) | instskip(SKIP_1) | instid1(VALU_DEP_2)
	v_cndmask_b32_e32 v31, v31, v13, vcc_lo
	v_cmp_eq_u32_e32 vcc_lo, 8, v32
	v_dual_mov_b32 v28, s0 :: v_dual_fmac_f32 v30, v31, v39
	s_or_b32 s9, vcc_lo, s9
	s_delay_alu instid0(SALU_CYCLE_1)
	s_and_not1_b32 exec_lo, exec_lo, s9
	s_cbranch_execnz .LBB69_57
; %bb.58:
	s_or_b32 exec_lo, exec_lo, s9
.LBB69_59:
	s_delay_alu instid0(SALU_CYCLE_1) | instskip(SKIP_3) | instid1(VALU_DEP_1)
	s_or_b32 exec_lo, exec_lo, s1
	v_and_b32_e32 v26, 7, v29
	s_mov_b32 s1, 0
	s_mov_b32 s0, exec_lo
	v_cmpx_ne_u32_e32 0, v26
	s_cbranch_execz .LBB69_63
; %bb.60:
	v_lshl_add_u32 v31, v28, 2, 32
	v_mov_b32_e32 v29, 0
.LBB69_61:                              ; =>This Inner Loop Header: Depth=1
	v_cmp_eq_u32_e32 vcc_lo, 1, v28
	ds_load_b32 v33, v31
	v_dual_add_nc_u32 v26, -1, v26 :: v_dual_add_nc_u32 v31, 4, v31
	v_cndmask_b32_e32 v32, v8, v9, vcc_lo
	v_cmp_eq_u32_e32 vcc_lo, 2, v28
	s_delay_alu instid0(VALU_DEP_2) | instskip(SKIP_1) | instid1(VALU_DEP_2)
	v_cndmask_b32_e32 v32, v32, v10, vcc_lo
	v_cmp_eq_u32_e32 vcc_lo, 3, v28
	v_cndmask_b32_e32 v32, v32, v11, vcc_lo
	v_cmp_eq_u32_e32 vcc_lo, 4, v28
	s_delay_alu instid0(VALU_DEP_2) | instskip(SKIP_2) | instid1(VALU_DEP_3)
	v_cndmask_b32_e32 v32, v32, v12, vcc_lo
	v_cmp_eq_u32_e32 vcc_lo, 5, v28
	v_add_nc_u64_e32 v[28:29], 1, v[28:29]
	v_cndmask_b32_e32 v32, v32, v13, vcc_lo
	v_cmp_eq_u32_e32 vcc_lo, 0, v26
	s_wait_dscnt 0x0
	s_delay_alu instid0(VALU_DEP_2) | instskip(SKIP_1) | instid1(SALU_CYCLE_1)
	v_fmac_f32_e32 v30, v32, v33
	s_or_b32 s1, vcc_lo, s1
	s_and_not1_b32 exec_lo, exec_lo, s1
	s_cbranch_execnz .LBB69_61
; %bb.62:
	s_or_b32 exec_lo, exec_lo, s1
.LBB69_63:
	s_delay_alu instid0(SALU_CYCLE_1)
	s_or_b32 exec_lo, exec_lo, s0
.LBB69_64:
	s_delay_alu instid0(SALU_CYCLE_1)
	s_or_b32 exec_lo, exec_lo, s8
	v_mov_b32_e32 v8, 0
	ds_load_b32 v8, v8
	s_wait_dscnt 0x0
	v_mul_f32_e32 v8, v30, v8
.LBB69_65:
	s_or_b32 exec_lo, exec_lo, s5
	s_delay_alu instid0(SALU_CYCLE_1)
	s_and_b32 vcc_lo, exec_lo, s4
	s_cbranch_vccz .LBB69_107
.LBB69_66:
	v_cmp_eq_u32_e64 s0, 0, v0
	s_wait_loadcnt_dscnt 0x405
	ds_store_b32 v27, v3
	s_wait_loadcnt_dscnt 0x0
	s_barrier_signal -1
	s_barrier_wait -1
	s_and_saveexec_b32 s1, s0
	s_cbranch_execz .LBB69_72
; %bb.67:
	s_and_b32 vcc_lo, exec_lo, s10
	s_cbranch_vccz .LBB69_69
; %bb.68:
	v_cmp_eq_u32_e32 vcc_lo, 1, v0
	ds_load_b32 v8, v27
	v_cndmask_b32_e32 v3, v2, v3, vcc_lo
	v_cmp_eq_u32_e32 vcc_lo, 2, v0
	s_delay_alu instid0(VALU_DEP_2) | instskip(SKIP_1) | instid1(VALU_DEP_2)
	v_cndmask_b32_e32 v3, v3, v4, vcc_lo
	v_cmp_eq_u32_e32 vcc_lo, 3, v0
	v_cndmask_b32_e32 v3, v3, v5, vcc_lo
	v_cmp_eq_u32_e32 vcc_lo, 4, v0
	s_delay_alu instid0(VALU_DEP_2) | instskip(SKIP_1) | instid1(VALU_DEP_2)
	v_cndmask_b32_e32 v3, v3, v6, vcc_lo
	v_cmp_eq_u32_e32 vcc_lo, 5, v0
	v_cndmask_b32_e32 v3, v3, v7, vcc_lo
	s_wait_dscnt 0x0
	s_delay_alu instid0(VALU_DEP_1)
	v_mul_f32_e32 v3, v3, v8
	s_cbranch_execz .LBB69_70
	s_branch .LBB69_71
.LBB69_69:
                                        ; implicit-def: $vgpr3
.LBB69_70:
	ds_load_b32 v3, v27
.LBB69_71:
	v_mov_b32_e32 v8, 0
	ds_load_b32 v8, v8 offset:4
	s_wait_dscnt 0x0
	v_mul_f32_e32 v3, v3, v8
.LBB69_72:
	s_or_b32 exec_lo, exec_lo, s1
	v_cndmask_b32_e64 v10, 0, 1, s10
	s_mov_b32 s1, exec_lo
	ds_store_b32 v27, v4
	s_wait_dscnt 0x0
	s_barrier_signal -1
	s_barrier_wait -1
	v_cmpx_gt_u32_e32 2, v0
	s_cbranch_execz .LBB69_78
; %bb.73:
	s_and_not1_b32 vcc_lo, exec_lo, s10
	s_cbranch_vccnz .LBB69_75
; %bb.74:
	v_cmp_eq_u32_e32 vcc_lo, 1, v0
	v_cndmask_b32_e32 v8, v2, v3, vcc_lo
	v_cmp_eq_u32_e32 vcc_lo, 2, v0
	s_delay_alu instid0(VALU_DEP_2) | instskip(SKIP_4) | instid1(VALU_DEP_2)
	v_cndmask_b32_e32 v4, v8, v4, vcc_lo
	ds_load_b32 v8, v27
	v_cmp_eq_u32_e32 vcc_lo, 3, v0
	v_cndmask_b32_e32 v4, v4, v5, vcc_lo
	v_cmp_eq_u32_e32 vcc_lo, 4, v0
	v_cndmask_b32_e32 v4, v4, v6, vcc_lo
	v_cmp_eq_u32_e32 vcc_lo, 5, v0
	s_delay_alu instid0(VALU_DEP_2) | instskip(SKIP_1) | instid1(VALU_DEP_1)
	v_cndmask_b32_e32 v4, v4, v7, vcc_lo
	s_wait_dscnt 0x0
	v_mul_f32_e32 v4, v4, v8
	s_cbranch_execz .LBB69_76
	s_branch .LBB69_77
.LBB69_75:
                                        ; implicit-def: $vgpr4
.LBB69_76:
	ds_load_b32 v4, v27
.LBB69_77:
	v_mov_b32_e32 v8, 0
	ds_load_2addr_b32 v[8:9], v8 offset0:2 offset1:9
	s_wait_dscnt 0x0
	v_fma_f32 v9, v3, v9, v4
	s_delay_alu instid0(VALU_DEP_1) | instskip(NEXT) | instid1(VALU_DEP_1)
	v_cndmask_b32_e64 v4, v4, v9, s0
	v_mul_f32_e32 v4, v4, v8
.LBB69_78:
	s_or_b32 exec_lo, exec_lo, s1
	s_delay_alu instid0(SALU_CYCLE_1)
	s_mov_b32 s1, exec_lo
	ds_store_b32 v27, v5
	s_wait_dscnt 0x0
	s_barrier_signal -1
	s_barrier_wait -1
	v_cmpx_gt_u32_e32 3, v0
	s_cbranch_execz .LBB69_86
; %bb.79:
	v_cmp_ne_u32_e32 vcc_lo, 1, v10
	s_cbranch_vccnz .LBB69_81
; %bb.80:
	v_cmp_eq_u32_e32 vcc_lo, 1, v0
	ds_load_b32 v9, v27
	v_cndmask_b32_e32 v8, v2, v3, vcc_lo
	v_cmp_eq_u32_e32 vcc_lo, 2, v0
	s_delay_alu instid0(VALU_DEP_2) | instskip(SKIP_1) | instid1(VALU_DEP_2)
	v_cndmask_b32_e32 v8, v8, v4, vcc_lo
	v_cmp_eq_u32_e32 vcc_lo, 3, v0
	v_cndmask_b32_e32 v8, v8, v5, vcc_lo
	v_cmp_eq_u32_e32 vcc_lo, 4, v0
	s_delay_alu instid0(VALU_DEP_2) | instskip(SKIP_1) | instid1(VALU_DEP_2)
	v_cndmask_b32_e32 v8, v8, v6, vcc_lo
	v_cmp_eq_u32_e32 vcc_lo, 5, v0
	v_cndmask_b32_e32 v8, v8, v7, vcc_lo
	s_wait_dscnt 0x0
	s_delay_alu instid0(VALU_DEP_1)
	v_mul_f32_e32 v8, v8, v9
	s_cbranch_execz .LBB69_82
	s_branch .LBB69_83
.LBB69_81:
                                        ; implicit-def: $vgpr8
.LBB69_82:
	ds_load_b32 v8, v27
.LBB69_83:
	s_mov_b32 s2, exec_lo
	v_cmpx_ne_u32_e32 2, v0
	s_cbranch_execz .LBB69_85
; %bb.84:
	v_add_nc_u32_e32 v9, 1, v0
	ds_load_b32 v12, v27 offset:4
	v_mov_b32_e32 v13, 0
	v_cmp_eq_u32_e32 vcc_lo, 1, v9
	v_cndmask_b32_e32 v11, v2, v3, vcc_lo
	v_cmp_eq_u32_e32 vcc_lo, 2, v9
	s_delay_alu instid0(VALU_DEP_2) | instskip(SKIP_1) | instid1(VALU_DEP_2)
	v_cndmask_b32_e32 v11, v11, v4, vcc_lo
	v_cmp_eq_u32_e32 vcc_lo, 3, v9
	v_cndmask_b32_e32 v5, v11, v5, vcc_lo
	ds_load_b32 v11, v13 offset:40
	v_cmp_eq_u32_e32 vcc_lo, 4, v9
	v_cndmask_b32_e32 v5, v5, v6, vcc_lo
	v_cmp_eq_u32_e32 vcc_lo, 5, v9
	s_delay_alu instid0(VALU_DEP_2) | instskip(SKIP_1) | instid1(VALU_DEP_1)
	v_cndmask_b32_e32 v5, v5, v7, vcc_lo
	s_wait_dscnt 0x1
	v_fmac_f32_e32 v8, v5, v12
	s_wait_dscnt 0x0
	s_delay_alu instid0(VALU_DEP_1) | instskip(NEXT) | instid1(VALU_DEP_1)
	v_fma_f32 v5, v4, v11, v8
	v_cndmask_b32_e64 v8, v8, v5, s0
.LBB69_85:
	s_or_b32 exec_lo, exec_lo, s2
	v_mov_b32_e32 v5, 0
	ds_load_b32 v5, v5 offset:12
	s_wait_dscnt 0x0
	v_mul_f32_e32 v5, v8, v5
.LBB69_86:
	s_or_b32 exec_lo, exec_lo, s1
	v_cmp_gt_u32_e64 s0, 4, v0
	ds_store_b32 v27, v6
	s_wait_dscnt 0x0
	s_barrier_signal -1
	s_barrier_wait -1
	s_and_saveexec_b32 s1, s0
	s_cbranch_execz .LBB69_96
; %bb.87:
	v_cmp_ne_u32_e32 vcc_lo, 1, v10
	s_cbranch_vccnz .LBB69_89
; %bb.88:
	v_cmp_eq_u32_e32 vcc_lo, 1, v0
	ds_load_b32 v9, v27
	v_cndmask_b32_e32 v8, v2, v3, vcc_lo
	v_cmp_eq_u32_e32 vcc_lo, 2, v0
	s_delay_alu instid0(VALU_DEP_2) | instskip(SKIP_1) | instid1(VALU_DEP_2)
	v_cndmask_b32_e32 v8, v8, v4, vcc_lo
	v_cmp_eq_u32_e32 vcc_lo, 3, v0
	v_cndmask_b32_e32 v8, v8, v5, vcc_lo
	v_cmp_eq_u32_e32 vcc_lo, 4, v0
	s_delay_alu instid0(VALU_DEP_2) | instskip(SKIP_1) | instid1(VALU_DEP_2)
	v_cndmask_b32_e32 v8, v8, v6, vcc_lo
	v_cmp_eq_u32_e32 vcc_lo, 5, v0
	v_cndmask_b32_e32 v8, v8, v7, vcc_lo
	s_wait_dscnt 0x0
	s_delay_alu instid0(VALU_DEP_1)
	v_mul_f32_e32 v11, v8, v9
	s_cbranch_execz .LBB69_90
	s_branch .LBB69_91
.LBB69_89:
                                        ; implicit-def: $vgpr11
.LBB69_90:
	ds_load_b32 v11, v27
.LBB69_91:
	s_mov_b32 s2, exec_lo
	v_cmpx_ne_u32_e32 3, v0
	s_cbranch_execz .LBB69_95
; %bb.92:
	v_mov_b64_e32 v[8:9], v[0:1]
	v_lshl_add_u32 v12, v0, 2, 36
	s_mov_b32 s3, 0
.LBB69_93:                              ; =>This Inner Loop Header: Depth=1
	s_delay_alu instid0(VALU_DEP_2)
	v_add_nc_u64_e32 v[8:9], 1, v[8:9]
	ds_load_b32 v26, v12
	v_add_nc_u32_e32 v12, 4, v12
	v_cmp_eq_u32_e32 vcc_lo, 1, v8
	v_cndmask_b32_e32 v13, v2, v3, vcc_lo
	v_cmp_eq_u32_e32 vcc_lo, 2, v8
	s_delay_alu instid0(VALU_DEP_2) | instskip(SKIP_1) | instid1(VALU_DEP_2)
	v_cndmask_b32_e32 v13, v13, v4, vcc_lo
	v_cmp_eq_u32_e32 vcc_lo, 3, v8
	v_cndmask_b32_e32 v13, v13, v5, vcc_lo
	v_cmp_eq_u32_e32 vcc_lo, 4, v8
	s_delay_alu instid0(VALU_DEP_2) | instskip(SKIP_1) | instid1(VALU_DEP_2)
	v_cndmask_b32_e32 v13, v13, v6, vcc_lo
	v_cmp_eq_u32_e32 vcc_lo, 5, v8
	v_cndmask_b32_e32 v13, v13, v7, vcc_lo
	v_cmp_lt_u32_e32 vcc_lo, 2, v8
	s_wait_dscnt 0x0
	s_delay_alu instid0(VALU_DEP_2) | instskip(SKIP_1) | instid1(SALU_CYCLE_1)
	v_fmac_f32_e32 v11, v13, v26
	s_or_b32 s3, vcc_lo, s3
	s_and_not1_b32 exec_lo, exec_lo, s3
	s_cbranch_execnz .LBB69_93
; %bb.94:
	s_or_b32 exec_lo, exec_lo, s3
.LBB69_95:
	s_delay_alu instid0(SALU_CYCLE_1)
	s_or_b32 exec_lo, exec_lo, s2
	v_mov_b32_e32 v6, 0
	ds_load_b32 v6, v6 offset:16
	s_wait_dscnt 0x0
	v_mul_f32_e32 v6, v11, v6
.LBB69_96:
	s_or_b32 exec_lo, exec_lo, s1
	s_delay_alu instid0(SALU_CYCLE_1)
	s_mov_b32 s1, exec_lo
	ds_store_b32 v27, v7
	s_wait_dscnt 0x0
	s_barrier_signal -1
	s_barrier_wait -1
	v_cmpx_ne_u32_e32 5, v0
	s_cbranch_execz .LBB69_106
; %bb.97:
	v_cmp_ne_u32_e32 vcc_lo, 1, v10
	s_cbranch_vccnz .LBB69_99
; %bb.98:
	v_cmp_eq_u32_e32 vcc_lo, 1, v0
	ds_load_b32 v9, v27
	v_cndmask_b32_e32 v8, v2, v3, vcc_lo
	v_cmp_eq_u32_e32 vcc_lo, 2, v0
	s_delay_alu instid0(VALU_DEP_2) | instskip(SKIP_1) | instid1(VALU_DEP_2)
	v_cndmask_b32_e32 v8, v8, v4, vcc_lo
	v_cmp_eq_u32_e32 vcc_lo, 3, v0
	v_cndmask_b32_e32 v8, v8, v5, vcc_lo
	v_cmp_eq_u32_e32 vcc_lo, 4, v0
	s_delay_alu instid0(VALU_DEP_2) | instskip(SKIP_1) | instid1(VALU_DEP_2)
	v_cndmask_b32_e32 v8, v8, v6, vcc_lo
	v_cmp_eq_u32_e32 vcc_lo, 5, v0
	v_cndmask_b32_e32 v8, v8, v7, vcc_lo
	s_wait_dscnt 0x0
	s_delay_alu instid0(VALU_DEP_1)
	v_mul_f32_e32 v8, v8, v9
	s_cbranch_execz .LBB69_100
	s_branch .LBB69_101
.LBB69_99:
                                        ; implicit-def: $vgpr8
.LBB69_100:
	ds_load_b32 v8, v27
.LBB69_101:
	s_and_saveexec_b32 s2, s0
	s_cbranch_execz .LBB69_105
; %bb.102:
	v_lshl_add_u32 v9, v0, 2, 36
	s_mov_b32 s0, 0
.LBB69_103:                             ; =>This Inner Loop Header: Depth=1
	v_add_nc_u64_e32 v[0:1], 1, v[0:1]
	ds_load_b32 v11, v9
	v_add_nc_u32_e32 v9, 4, v9
	v_cmp_eq_u32_e32 vcc_lo, 1, v0
	v_cndmask_b32_e32 v10, v2, v3, vcc_lo
	v_cmp_eq_u32_e32 vcc_lo, 2, v0
	s_delay_alu instid0(VALU_DEP_2) | instskip(SKIP_1) | instid1(VALU_DEP_2)
	v_cndmask_b32_e32 v10, v10, v4, vcc_lo
	v_cmp_eq_u32_e32 vcc_lo, 3, v0
	v_cndmask_b32_e32 v10, v10, v5, vcc_lo
	v_cmp_eq_u32_e32 vcc_lo, 4, v0
	s_delay_alu instid0(VALU_DEP_2) | instskip(SKIP_1) | instid1(VALU_DEP_2)
	v_cndmask_b32_e32 v10, v10, v6, vcc_lo
	v_cmp_eq_u32_e32 vcc_lo, 5, v0
	v_cndmask_b32_e32 v10, v10, v7, vcc_lo
	v_cmp_lt_u32_e32 vcc_lo, 3, v0
	s_wait_dscnt 0x0
	s_delay_alu instid0(VALU_DEP_2) | instskip(SKIP_1) | instid1(SALU_CYCLE_1)
	v_fmac_f32_e32 v8, v10, v11
	s_or_b32 s0, vcc_lo, s0
	s_and_not1_b32 exec_lo, exec_lo, s0
	s_cbranch_execnz .LBB69_103
; %bb.104:
	s_or_b32 exec_lo, exec_lo, s0
.LBB69_105:
	s_delay_alu instid0(SALU_CYCLE_1)
	s_or_b32 exec_lo, exec_lo, s2
	v_mov_b32_e32 v0, 0
	ds_load_b32 v0, v0 offset:20
	s_wait_dscnt 0x0
	v_mul_f32_e32 v7, v8, v0
.LBB69_106:
	s_or_b32 exec_lo, exec_lo, s1
	s_delay_alu instid0(VALU_DEP_1)
	v_mov_b64_e32 v[12:13], v[6:7]
	v_mov_b64_e32 v[10:11], v[4:5]
	;; [unrolled: 1-line block ×3, first 2 shown]
.LBB69_107:
	s_wait_xcnt 0x5
	v_lshl_add_u64 v[0:1], v[16:17], 2, s[6:7]
	s_wait_loadcnt_dscnt 0x405
	v_lshl_add_u64 v[2:3], v[20:21], 2, s[6:7]
	s_wait_loadcnt_dscnt 0x203
	;; [unrolled: 2-line block ×3, first 2 shown]
	v_lshl_add_u64 v[6:7], v[24:25], 2, s[6:7]
	s_clause 0x5
	flat_store_b32 v[14:15], v8
	flat_store_b32 v[18:19], v9
	;; [unrolled: 1-line block ×6, first 2 shown]
.LBB69_108:
	s_endpgm
	.section	.rodata,"a",@progbits
	.p2align	6, 0x0
	.amdhsa_kernel _ZN9rocsolver6v33100L18trti2_kernel_smallILi6EfPKPfEEv13rocblas_fill_17rocblas_diagonal_T1_iil
		.amdhsa_group_segment_fixed_size 56
		.amdhsa_private_segment_fixed_size 0
		.amdhsa_kernarg_size 32
		.amdhsa_user_sgpr_count 2
		.amdhsa_user_sgpr_dispatch_ptr 0
		.amdhsa_user_sgpr_queue_ptr 0
		.amdhsa_user_sgpr_kernarg_segment_ptr 1
		.amdhsa_user_sgpr_dispatch_id 0
		.amdhsa_user_sgpr_kernarg_preload_length 0
		.amdhsa_user_sgpr_kernarg_preload_offset 0
		.amdhsa_user_sgpr_private_segment_size 0
		.amdhsa_wavefront_size32 1
		.amdhsa_uses_dynamic_stack 0
		.amdhsa_enable_private_segment 0
		.amdhsa_system_sgpr_workgroup_id_x 1
		.amdhsa_system_sgpr_workgroup_id_y 0
		.amdhsa_system_sgpr_workgroup_id_z 0
		.amdhsa_system_sgpr_workgroup_info 0
		.amdhsa_system_vgpr_workitem_id 0
		.amdhsa_next_free_vgpr 40
		.amdhsa_next_free_sgpr 13
		.amdhsa_named_barrier_count 0
		.amdhsa_reserve_vcc 1
		.amdhsa_float_round_mode_32 0
		.amdhsa_float_round_mode_16_64 0
		.amdhsa_float_denorm_mode_32 3
		.amdhsa_float_denorm_mode_16_64 3
		.amdhsa_fp16_overflow 0
		.amdhsa_memory_ordered 1
		.amdhsa_forward_progress 1
		.amdhsa_inst_pref_size 45
		.amdhsa_round_robin_scheduling 0
		.amdhsa_exception_fp_ieee_invalid_op 0
		.amdhsa_exception_fp_denorm_src 0
		.amdhsa_exception_fp_ieee_div_zero 0
		.amdhsa_exception_fp_ieee_overflow 0
		.amdhsa_exception_fp_ieee_underflow 0
		.amdhsa_exception_fp_ieee_inexact 0
		.amdhsa_exception_int_div_zero 0
	.end_amdhsa_kernel
	.section	.text._ZN9rocsolver6v33100L18trti2_kernel_smallILi6EfPKPfEEv13rocblas_fill_17rocblas_diagonal_T1_iil,"axG",@progbits,_ZN9rocsolver6v33100L18trti2_kernel_smallILi6EfPKPfEEv13rocblas_fill_17rocblas_diagonal_T1_iil,comdat
.Lfunc_end69:
	.size	_ZN9rocsolver6v33100L18trti2_kernel_smallILi6EfPKPfEEv13rocblas_fill_17rocblas_diagonal_T1_iil, .Lfunc_end69-_ZN9rocsolver6v33100L18trti2_kernel_smallILi6EfPKPfEEv13rocblas_fill_17rocblas_diagonal_T1_iil
                                        ; -- End function
	.set _ZN9rocsolver6v33100L18trti2_kernel_smallILi6EfPKPfEEv13rocblas_fill_17rocblas_diagonal_T1_iil.num_vgpr, 40
	.set _ZN9rocsolver6v33100L18trti2_kernel_smallILi6EfPKPfEEv13rocblas_fill_17rocblas_diagonal_T1_iil.num_agpr, 0
	.set _ZN9rocsolver6v33100L18trti2_kernel_smallILi6EfPKPfEEv13rocblas_fill_17rocblas_diagonal_T1_iil.numbered_sgpr, 13
	.set _ZN9rocsolver6v33100L18trti2_kernel_smallILi6EfPKPfEEv13rocblas_fill_17rocblas_diagonal_T1_iil.num_named_barrier, 0
	.set _ZN9rocsolver6v33100L18trti2_kernel_smallILi6EfPKPfEEv13rocblas_fill_17rocblas_diagonal_T1_iil.private_seg_size, 0
	.set _ZN9rocsolver6v33100L18trti2_kernel_smallILi6EfPKPfEEv13rocblas_fill_17rocblas_diagonal_T1_iil.uses_vcc, 1
	.set _ZN9rocsolver6v33100L18trti2_kernel_smallILi6EfPKPfEEv13rocblas_fill_17rocblas_diagonal_T1_iil.uses_flat_scratch, 1
	.set _ZN9rocsolver6v33100L18trti2_kernel_smallILi6EfPKPfEEv13rocblas_fill_17rocblas_diagonal_T1_iil.has_dyn_sized_stack, 0
	.set _ZN9rocsolver6v33100L18trti2_kernel_smallILi6EfPKPfEEv13rocblas_fill_17rocblas_diagonal_T1_iil.has_recursion, 0
	.set _ZN9rocsolver6v33100L18trti2_kernel_smallILi6EfPKPfEEv13rocblas_fill_17rocblas_diagonal_T1_iil.has_indirect_call, 0
	.section	.AMDGPU.csdata,"",@progbits
; Kernel info:
; codeLenInByte = 5668
; TotalNumSgprs: 15
; NumVgprs: 40
; ScratchSize: 0
; MemoryBound: 0
; FloatMode: 240
; IeeeMode: 1
; LDSByteSize: 56 bytes/workgroup (compile time only)
; SGPRBlocks: 0
; VGPRBlocks: 2
; NumSGPRsForWavesPerEU: 15
; NumVGPRsForWavesPerEU: 40
; NamedBarCnt: 0
; Occupancy: 16
; WaveLimiterHint : 1
; COMPUTE_PGM_RSRC2:SCRATCH_EN: 0
; COMPUTE_PGM_RSRC2:USER_SGPR: 2
; COMPUTE_PGM_RSRC2:TRAP_HANDLER: 0
; COMPUTE_PGM_RSRC2:TGID_X_EN: 1
; COMPUTE_PGM_RSRC2:TGID_Y_EN: 0
; COMPUTE_PGM_RSRC2:TGID_Z_EN: 0
; COMPUTE_PGM_RSRC2:TIDIG_COMP_CNT: 0
	.section	.text._ZN9rocsolver6v33100L18trti2_kernel_smallILi7EfPKPfEEv13rocblas_fill_17rocblas_diagonal_T1_iil,"axG",@progbits,_ZN9rocsolver6v33100L18trti2_kernel_smallILi7EfPKPfEEv13rocblas_fill_17rocblas_diagonal_T1_iil,comdat
	.globl	_ZN9rocsolver6v33100L18trti2_kernel_smallILi7EfPKPfEEv13rocblas_fill_17rocblas_diagonal_T1_iil ; -- Begin function _ZN9rocsolver6v33100L18trti2_kernel_smallILi7EfPKPfEEv13rocblas_fill_17rocblas_diagonal_T1_iil
	.p2align	8
	.type	_ZN9rocsolver6v33100L18trti2_kernel_smallILi7EfPKPfEEv13rocblas_fill_17rocblas_diagonal_T1_iil,@function
_ZN9rocsolver6v33100L18trti2_kernel_smallILi7EfPKPfEEv13rocblas_fill_17rocblas_diagonal_T1_iil: ; @_ZN9rocsolver6v33100L18trti2_kernel_smallILi7EfPKPfEEv13rocblas_fill_17rocblas_diagonal_T1_iil
; %bb.0:
	s_mov_b32 s2, exec_lo
	v_cmpx_gt_u32_e32 7, v0
	s_cbranch_execz .LBB70_134
; %bb.1:
	s_clause 0x1
	s_load_b64 s[2:3], s[0:1], 0x10
	s_load_b128 s[8:11], s[0:1], 0x0
	s_wait_xcnt 0x0
	s_bfe_u32 s0, ttmp6, 0x4000c
	s_and_b32 s1, ttmp6, 15
	s_add_co_i32 s0, s0, 1
	s_getreg_b32 s4, hwreg(HW_REG_IB_STS2, 6, 4)
	s_mul_i32 s0, ttmp9, s0
	v_dual_mov_b32 v1, 0 :: v_dual_lshlrev_b32 v10, 2, v0
	s_add_co_i32 s0, s1, s0
	s_delay_alu instid0(VALU_DEP_1)
	v_mov_b32_e32 v11, v1
	s_wait_kmcnt 0x0
	s_ashr_i32 s1, s2, 31
	s_cmp_eq_u32 s4, 0
	v_add3_u32 v18, s3, s3, v0
	s_cselect_b32 s4, ttmp9, s0
	s_mov_b32 s0, s2
	s_ashr_i32 s5, s4, 31
	s_lshl_b64 s[0:1], s[0:1], 2
	s_lshl_b64 s[4:5], s[4:5], 3
	v_add_nc_u32_e32 v22, s3, v18
	s_add_nc_u64 s[4:5], s[10:11], s[4:5]
	s_load_b64 s[4:5], s[4:5], 0x0
	s_delay_alu instid0(VALU_DEP_1) | instskip(NEXT) | instid1(VALU_DEP_1)
	v_add_nc_u32_e32 v26, s3, v22
	v_add_nc_u32_e32 v28, s3, v26
	s_wait_kmcnt 0x0
	s_add_nc_u64 s[10:11], s[4:5], s[0:1]
	s_mov_b32 s0, s3
	v_add_nc_u64_e32 v[20:21], s[10:11], v[10:11]
	s_ashr_i32 s1, s3, 31
	v_dual_mov_b32 v11, -1.0 :: v_dual_add_nc_u32 v30, s3, v28
	s_cmp_lg_u32 s9, 0x84
	s_cselect_b32 s7, -1, 0
	s_delay_alu instid0(VALU_DEP_2)
	v_lshl_add_u64 v[24:25], s[0:1], 2, v[20:21]
	v_cmp_eq_u32_e64 s0, 0, v0
	s_cmp_eq_u32 s9, 0x84
	s_clause 0x6
	flat_load_b32 v2, v0, s[10:11] scale_offset
	flat_load_b32 v3, v[24:25]
	flat_load_b32 v4, v18, s[10:11] scale_offset
	flat_load_b32 v5, v22, s[10:11] scale_offset
	;; [unrolled: 1-line block ×5, first 2 shown]
	s_cbranch_scc1 .LBB70_3
; %bb.2:
	v_cmp_eq_u32_e64 s1, 1, v0
	v_cmp_eq_u32_e64 s2, 2, v0
	;; [unrolled: 1-line block ×5, first 2 shown]
	s_wait_loadcnt_dscnt 0x505
	v_cndmask_b32_e64 v9, v2, v3, s1
	v_cmp_eq_u32_e64 s6, 6, v0
	s_wait_loadcnt_dscnt 0x404
	s_delay_alu instid0(VALU_DEP_2) | instskip(SKIP_1) | instid1(VALU_DEP_1)
	v_cndmask_b32_e64 v9, v9, v4, s2
	s_wait_loadcnt_dscnt 0x303
	v_cndmask_b32_e64 v9, v9, v5, s3
	s_wait_loadcnt_dscnt 0x202
	s_delay_alu instid0(VALU_DEP_1) | instskip(SKIP_1) | instid1(VALU_DEP_1)
	v_cndmask_b32_e64 v9, v9, v6, s4
	s_wait_loadcnt_dscnt 0x101
	v_cndmask_b32_e64 v9, v9, v7, s5
	s_wait_loadcnt_dscnt 0x0
	s_delay_alu instid0(VALU_DEP_1) | instskip(NEXT) | instid1(VALU_DEP_1)
	v_cndmask_b32_e64 v9, v9, v8, s6
	v_div_scale_f32 v11, null, v9, v9, 1.0
	v_div_scale_f32 v14, vcc_lo, 1.0, v9, 1.0
	s_delay_alu instid0(VALU_DEP_2) | instskip(SKIP_1) | instid1(TRANS32_DEP_1)
	v_rcp_f32_e32 v12, v11
	v_nop
	v_fma_f32 v13, -v11, v12, 1.0
	s_delay_alu instid0(VALU_DEP_1) | instskip(NEXT) | instid1(VALU_DEP_1)
	v_fmac_f32_e32 v12, v13, v12
	v_mul_f32_e32 v13, v14, v12
	s_delay_alu instid0(VALU_DEP_1) | instskip(NEXT) | instid1(VALU_DEP_1)
	v_fma_f32 v15, -v11, v13, v14
	v_fmac_f32_e32 v13, v15, v12
	s_delay_alu instid0(VALU_DEP_1) | instskip(NEXT) | instid1(VALU_DEP_1)
	v_fma_f32 v11, -v11, v13, v14
	v_div_fmas_f32 v11, v11, v12, v13
	s_delay_alu instid0(VALU_DEP_1) | instskip(NEXT) | instid1(VALU_DEP_1)
	v_div_fixup_f32 v9, v11, v9, 1.0
	v_dual_cndmask_b32 v8, v8, v9, s6 :: v_dual_cndmask_b32 v7, v7, v9, s5
	v_dual_cndmask_b32 v6, v6, v9, s4 :: v_dual_cndmask_b32 v5, v5, v9, s3
	;; [unrolled: 1-line block ×3, first 2 shown]
	v_cndmask_b32_e64 v2, v2, v9, s0
	v_xor_b32_e32 v11, 0x80000000, v9
.LBB70_3:
	v_dual_ashrrev_i32 v19, 31, v18 :: v_dual_ashrrev_i32 v29, 31, v28
	v_ashrrev_i32_e32 v23, 31, v22
	v_ashrrev_i32_e32 v27, 31, v26
	;; [unrolled: 1-line block ×3, first 2 shown]
	v_add_nc_u32_e32 v9, 32, v10
	s_cmp_eq_u32 s8, 0x79
	ds_store_b32 v10, v11
	s_cbranch_scc1 .LBB70_7
; %bb.4:
	s_wait_loadcnt_dscnt 0x1
	v_dual_mov_b32 v16, v8 :: v_dual_mov_b32 v15, v7
	v_cmp_eq_u32_e64 s1, 6, v0
	v_dual_mov_b32 v14, v6 :: v_dual_mov_b32 v13, v5
	v_dual_mov_b32 v12, v4 :: v_dual_mov_b32 v11, v3
	v_mov_b32_e32 v10, v2
	ds_store_b32 v9, v7
	s_wait_dscnt 0x0
	s_barrier_signal -1
	s_barrier_wait -1
	s_and_saveexec_b32 s0, s1
	s_cbranch_execz .LBB70_11
; %bb.5:
	s_and_b32 vcc_lo, exec_lo, s7
	s_cbranch_vccz .LBB70_8
; %bb.6:
	v_cmp_eq_u32_e32 vcc_lo, 1, v0
	ds_load_b32 v11, v9
	v_cndmask_b32_e32 v10, v2, v3, vcc_lo
	v_cmp_eq_u32_e32 vcc_lo, 2, v0
	s_delay_alu instid0(VALU_DEP_2) | instskip(SKIP_1) | instid1(VALU_DEP_2)
	v_cndmask_b32_e32 v10, v10, v4, vcc_lo
	v_cmp_eq_u32_e32 vcc_lo, 3, v0
	v_cndmask_b32_e32 v10, v10, v5, vcc_lo
	v_cmp_eq_u32_e32 vcc_lo, 4, v0
	s_delay_alu instid0(VALU_DEP_2) | instskip(SKIP_1) | instid1(VALU_DEP_2)
	v_cndmask_b32_e32 v10, v10, v6, vcc_lo
	v_cmp_eq_u32_e32 vcc_lo, 5, v0
	v_cndmask_b32_e32 v10, v10, v7, vcc_lo
	v_cmp_eq_u32_e32 vcc_lo, 6, v0
	s_delay_alu instid0(VALU_DEP_2) | instskip(SKIP_1) | instid1(VALU_DEP_1)
	v_cndmask_b32_e32 v10, v10, v8, vcc_lo
	s_wait_dscnt 0x0
	v_mul_f32_e32 v10, v10, v11
	s_cbranch_execz .LBB70_9
	s_branch .LBB70_10
.LBB70_7:
                                        ; implicit-def: $vgpr10_vgpr11_vgpr12_vgpr13_vgpr14_vgpr15_vgpr16
	s_cbranch_execnz .LBB70_82
	s_branch .LBB70_133
.LBB70_8:
                                        ; implicit-def: $vgpr10
.LBB70_9:
	ds_load_b32 v10, v9
.LBB70_10:
	v_mov_b32_e32 v11, 0
	ds_load_b32 v11, v11 offset:20
	s_wait_dscnt 0x0
	v_dual_mul_f32 v17, v10, v11 :: v_dual_mov_b32 v16, v8
	v_dual_mov_b32 v15, v7 :: v_dual_mov_b32 v14, v6
	v_dual_mov_b32 v13, v5 :: v_dual_mov_b32 v12, v4
	;; [unrolled: 1-line block ×3, first 2 shown]
	s_delay_alu instid0(VALU_DEP_4)
	v_mov_b32_e32 v15, v17
.LBB70_11:
	s_or_b32 exec_lo, exec_lo, s0
	v_cmp_lt_u32_e64 s0, 4, v0
	ds_store_b32 v9, v14
	s_wait_dscnt 0x0
	s_barrier_signal -1
	s_barrier_wait -1
	s_and_saveexec_b32 s2, s0
	s_cbranch_execz .LBB70_17
; %bb.12:
	s_and_not1_b32 vcc_lo, exec_lo, s7
	s_cbranch_vccnz .LBB70_14
; %bb.13:
	v_cmp_eq_u32_e32 vcc_lo, 1, v0
	ds_load_b32 v32, v9
	v_cndmask_b32_e32 v17, v10, v11, vcc_lo
	v_cmp_eq_u32_e32 vcc_lo, 2, v0
	s_delay_alu instid0(VALU_DEP_2) | instskip(SKIP_1) | instid1(VALU_DEP_2)
	v_cndmask_b32_e32 v17, v17, v12, vcc_lo
	v_cmp_eq_u32_e32 vcc_lo, 3, v0
	v_cndmask_b32_e32 v17, v17, v13, vcc_lo
	v_cmp_eq_u32_e32 vcc_lo, 4, v0
	s_delay_alu instid0(VALU_DEP_2) | instskip(SKIP_1) | instid1(VALU_DEP_2)
	v_cndmask_b32_e32 v14, v17, v14, vcc_lo
	v_cmp_eq_u32_e32 vcc_lo, 5, v0
	v_cndmask_b32_e32 v14, v14, v15, vcc_lo
	v_cmp_eq_u32_e32 vcc_lo, 6, v0
	s_delay_alu instid0(VALU_DEP_2) | instskip(SKIP_1) | instid1(VALU_DEP_1)
	v_cndmask_b32_e32 v14, v14, v16, vcc_lo
	s_wait_dscnt 0x0
	v_mul_f32_e32 v14, v14, v32
	s_cbranch_execz .LBB70_15
	s_branch .LBB70_16
.LBB70_14:
                                        ; implicit-def: $vgpr14
.LBB70_15:
	ds_load_b32 v14, v9
.LBB70_16:
	v_mov_b32_e32 v17, 0
	ds_load_2addr_b32 v[32:33], v17 offset0:4 offset1:13
	s_wait_dscnt 0x0
	v_fma_f32 v17, v15, v33, v14
	s_delay_alu instid0(VALU_DEP_1) | instskip(NEXT) | instid1(VALU_DEP_1)
	v_cndmask_b32_e64 v14, v14, v17, s1
	v_mul_f32_e32 v14, v14, v32
.LBB70_17:
	s_or_b32 exec_lo, exec_lo, s2
	v_cmp_lt_u32_e64 s1, 3, v0
	ds_store_b32 v9, v13
	s_wait_dscnt 0x0
	s_barrier_signal -1
	s_barrier_wait -1
	s_and_saveexec_b32 s4, s1
	s_cbranch_execz .LBB70_33
; %bb.18:
	s_and_not1_b32 vcc_lo, exec_lo, s7
	s_cbranch_vccnz .LBB70_20
; %bb.19:
	v_cmp_eq_u32_e32 vcc_lo, 1, v0
	ds_load_b32 v32, v9
	v_cndmask_b32_e32 v17, v10, v11, vcc_lo
	v_cmp_eq_u32_e32 vcc_lo, 2, v0
	s_delay_alu instid0(VALU_DEP_2) | instskip(SKIP_1) | instid1(VALU_DEP_2)
	v_cndmask_b32_e32 v17, v17, v12, vcc_lo
	v_cmp_eq_u32_e32 vcc_lo, 3, v0
	v_cndmask_b32_e32 v17, v17, v13, vcc_lo
	v_cmp_eq_u32_e32 vcc_lo, 4, v0
	s_delay_alu instid0(VALU_DEP_2) | instskip(SKIP_1) | instid1(VALU_DEP_2)
	v_cndmask_b32_e32 v17, v17, v14, vcc_lo
	v_cmp_eq_u32_e32 vcc_lo, 5, v0
	v_cndmask_b32_e32 v17, v17, v15, vcc_lo
	v_cmp_eq_u32_e32 vcc_lo, 6, v0
	s_delay_alu instid0(VALU_DEP_2) | instskip(SKIP_1) | instid1(VALU_DEP_1)
	v_cndmask_b32_e32 v17, v17, v16, vcc_lo
	s_wait_dscnt 0x0
	v_mul_f32_e32 v17, v17, v32
	s_cbranch_execz .LBB70_21
	s_branch .LBB70_22
.LBB70_20:
                                        ; implicit-def: $vgpr17
.LBB70_21:
	ds_load_b32 v17, v9
.LBB70_22:
	s_and_saveexec_b32 s5, s0
	s_cbranch_execz .LBB70_32
; %bb.23:
	v_dual_add_nc_u32 v32, -5, v0 :: v_dual_add_nc_u32 v33, -4, v0
	v_mov_b32_e32 v34, 4
	s_mov_b32 s6, exec_lo
	s_delay_alu instid0(VALU_DEP_2)
	v_cmpx_lt_u32_e32 6, v32
	s_cbranch_execz .LBB70_27
; %bb.24:
	v_and_b32_e32 v32, -8, v33
	s_mov_b32 s8, 0
	s_mov_b64 s[2:3], 5
	s_mov_b32 s9, 48
	s_delay_alu instid0(VALU_DEP_1)
	v_sub_nc_u32_e32 v32, 0, v32
.LBB70_25:                              ; =>This Inner Loop Header: Depth=1
	s_add_co_i32 s0, s2, -1
	s_delay_alu instid0(SALU_CYCLE_1) | instskip(SKIP_1) | instid1(SALU_CYCLE_1)
	s_cmp_eq_u32 s0, 1
	s_cselect_b32 vcc_lo, -1, 0
	v_dual_mov_b32 v38, s9 :: v_dual_cndmask_b32 v42, v10, v11, vcc_lo
	s_cmp_eq_u32 s0, 2
	ds_load_b128 v[34:37], v38
	ds_load_b128 v[38:41], v38 offset:16
	s_cselect_b32 vcc_lo, -1, 0
	s_cmp_eq_u32 s0, 3
	v_cndmask_b32_e32 v42, v42, v12, vcc_lo
	s_cselect_b32 vcc_lo, -1, 0
	s_cmp_eq_u32 s0, 4
	s_delay_alu instid0(VALU_DEP_1) | instskip(SKIP_2) | instid1(VALU_DEP_1)
	v_cndmask_b32_e32 v42, v42, v13, vcc_lo
	s_cselect_b32 vcc_lo, -1, 0
	s_cmp_eq_u32 s0, 5
	v_cndmask_b32_e32 v42, v42, v14, vcc_lo
	s_cselect_b32 vcc_lo, -1, 0
	s_cmp_eq_u32 s0, 6
	s_delay_alu instid0(VALU_DEP_1)
	v_cndmask_b32_e32 v42, v42, v15, vcc_lo
	s_cselect_b32 vcc_lo, -1, 0
	s_cmp_eq_u32 s2, 1
	s_cselect_b32 s0, -1, 0
	s_cmp_eq_u32 s2, 2
	v_cndmask_b32_e64 v43, v10, v11, s0
	s_cselect_b32 s0, -1, 0
	v_cndmask_b32_e32 v42, v42, v16, vcc_lo
	s_cmp_eq_u32 s2, 3
	s_delay_alu instid0(VALU_DEP_2)
	v_cndmask_b32_e64 v43, v43, v12, s0
	s_cselect_b32 vcc_lo, -1, 0
	s_wait_dscnt 0x1
	v_fmac_f32_e32 v17, v42, v34
	s_cmp_eq_u32 s2, 4
	v_cndmask_b32_e32 v34, v43, v13, vcc_lo
	s_cselect_b32 vcc_lo, -1, 0
	s_cmp_eq_u32 s2, 5
	s_delay_alu instid0(VALU_DEP_1) | instskip(SKIP_2) | instid1(VALU_DEP_1)
	v_cndmask_b32_e32 v34, v34, v14, vcc_lo
	s_cselect_b32 vcc_lo, -1, 0
	s_cmp_eq_u32 s2, 6
	v_cndmask_b32_e32 v34, v34, v15, vcc_lo
	s_cselect_b32 vcc_lo, -1, 0
	s_add_co_i32 s12, s2, 1
	s_delay_alu instid0(SALU_CYCLE_1) | instskip(NEXT) | instid1(VALU_DEP_1)
	s_cmp_eq_u32 s12, 1
	v_cndmask_b32_e32 v34, v34, v16, vcc_lo
	s_cselect_b32 s0, -1, 0
	s_cmp_eq_u32 s12, 2
	v_cndmask_b32_e64 v42, v10, v11, s0
	s_cselect_b32 vcc_lo, -1, 0
	s_cmp_eq_u32 s12, 3
	s_delay_alu instid0(VALU_DEP_1) | instskip(SKIP_3) | instid1(VALU_DEP_2)
	v_cndmask_b32_e32 v42, v42, v12, vcc_lo
	s_cselect_b32 vcc_lo, -1, 0
	v_fmac_f32_e32 v17, v34, v35
	s_cmp_eq_u32 s12, 4
	v_cndmask_b32_e32 v34, v42, v13, vcc_lo
	s_cselect_b32 vcc_lo, -1, 0
	s_cmp_eq_u32 s12, 5
	s_delay_alu instid0(VALU_DEP_1) | instskip(SKIP_2) | instid1(VALU_DEP_1)
	v_cndmask_b32_e32 v34, v34, v14, vcc_lo
	s_cselect_b32 vcc_lo, -1, 0
	s_cmp_eq_u32 s12, 6
	v_cndmask_b32_e32 v34, v34, v15, vcc_lo
	s_cselect_b32 vcc_lo, -1, 0
	s_add_co_i32 s12, s2, 2
	s_delay_alu instid0(SALU_CYCLE_1) | instskip(NEXT) | instid1(VALU_DEP_1)
	s_cmp_eq_u32 s12, 1
	v_cndmask_b32_e32 v34, v34, v16, vcc_lo
	s_cselect_b32 s0, -1, 0
	s_cmp_eq_u32 s12, 2
	v_cndmask_b32_e64 v35, v10, v11, s0
	s_cselect_b32 vcc_lo, -1, 0
	s_cmp_eq_u32 s12, 3
	v_fmac_f32_e32 v17, v34, v36
	s_delay_alu instid0(VALU_DEP_2) | instskip(SKIP_2) | instid1(VALU_DEP_1)
	v_cndmask_b32_e32 v35, v35, v12, vcc_lo
	s_cselect_b32 vcc_lo, -1, 0
	s_cmp_eq_u32 s12, 4
	v_cndmask_b32_e32 v34, v35, v13, vcc_lo
	s_cselect_b32 vcc_lo, -1, 0
	s_cmp_eq_u32 s12, 5
	s_delay_alu instid0(VALU_DEP_1) | instskip(SKIP_2) | instid1(VALU_DEP_1)
	v_cndmask_b32_e32 v34, v34, v14, vcc_lo
	s_cselect_b32 vcc_lo, -1, 0
	s_cmp_eq_u32 s12, 6
	v_cndmask_b32_e32 v34, v34, v15, vcc_lo
	s_cselect_b32 vcc_lo, -1, 0
	s_add_co_i32 s12, s2, 3
	s_delay_alu instid0(SALU_CYCLE_1) | instskip(NEXT) | instid1(VALU_DEP_1)
	s_cmp_eq_u32 s12, 1
	v_cndmask_b32_e32 v34, v34, v16, vcc_lo
	s_cselect_b32 s0, -1, 0
	s_cmp_eq_u32 s12, 2
	v_cndmask_b32_e64 v35, v10, v11, s0
	s_cselect_b32 vcc_lo, -1, 0
	s_cmp_eq_u32 s12, 3
	s_delay_alu instid0(VALU_DEP_1) | instskip(SKIP_2) | instid1(VALU_DEP_1)
	v_dual_fmac_f32 v17, v34, v37 :: v_dual_cndmask_b32 v35, v35, v12, vcc_lo
	s_cselect_b32 vcc_lo, -1, 0
	s_cmp_eq_u32 s12, 4
	v_cndmask_b32_e32 v34, v35, v13, vcc_lo
	s_cselect_b32 vcc_lo, -1, 0
	s_cmp_eq_u32 s12, 5
	s_delay_alu instid0(VALU_DEP_1) | instskip(SKIP_2) | instid1(VALU_DEP_1)
	v_cndmask_b32_e32 v34, v34, v14, vcc_lo
	s_cselect_b32 vcc_lo, -1, 0
	s_cmp_eq_u32 s12, 6
	v_cndmask_b32_e32 v34, v34, v15, vcc_lo
	s_cselect_b32 vcc_lo, -1, 0
	s_add_co_i32 s12, s2, 4
	s_delay_alu instid0(SALU_CYCLE_1) | instskip(NEXT) | instid1(VALU_DEP_1)
	s_cmp_eq_u32 s12, 1
	v_cndmask_b32_e32 v34, v34, v16, vcc_lo
	s_cselect_b32 s0, -1, 0
	s_cmp_eq_u32 s12, 2
	v_cndmask_b32_e64 v35, v10, v11, s0
	s_cselect_b32 vcc_lo, -1, 0
	s_cmp_eq_u32 s12, 3
	s_delay_alu instid0(VALU_DEP_1)
	v_cndmask_b32_e32 v35, v35, v12, vcc_lo
	s_cselect_b32 vcc_lo, -1, 0
	s_wait_dscnt 0x0
	v_fmac_f32_e32 v17, v34, v38
	s_cmp_eq_u32 s12, 4
	v_cndmask_b32_e32 v34, v35, v13, vcc_lo
	s_cselect_b32 vcc_lo, -1, 0
	s_cmp_eq_u32 s12, 5
	s_delay_alu instid0(VALU_DEP_1) | instskip(SKIP_2) | instid1(VALU_DEP_1)
	v_cndmask_b32_e32 v34, v34, v14, vcc_lo
	s_cselect_b32 vcc_lo, -1, 0
	s_cmp_eq_u32 s12, 6
	v_cndmask_b32_e32 v34, v34, v15, vcc_lo
	s_cselect_b32 vcc_lo, -1, 0
	s_add_co_i32 s12, s2, 5
	s_delay_alu instid0(SALU_CYCLE_1) | instskip(NEXT) | instid1(VALU_DEP_1)
	s_cmp_eq_u32 s12, 1
	v_cndmask_b32_e32 v34, v34, v16, vcc_lo
	s_cselect_b32 s0, -1, 0
	s_cmp_eq_u32 s12, 2
	v_cndmask_b32_e64 v35, v10, v11, s0
	s_cselect_b32 vcc_lo, -1, 0
	s_cmp_eq_u32 s12, 3
	s_delay_alu instid0(VALU_DEP_1) | instskip(SKIP_2) | instid1(VALU_DEP_1)
	v_dual_fmac_f32 v17, v34, v39 :: v_dual_cndmask_b32 v35, v35, v12, vcc_lo
	s_cselect_b32 vcc_lo, -1, 0
	s_cmp_eq_u32 s12, 4
	v_cndmask_b32_e32 v35, v35, v13, vcc_lo
	s_cselect_b32 vcc_lo, -1, 0
	s_cmp_eq_u32 s12, 5
	s_delay_alu instid0(VALU_DEP_1) | instskip(SKIP_2) | instid1(VALU_DEP_1)
	v_cndmask_b32_e32 v35, v35, v14, vcc_lo
	s_cselect_b32 vcc_lo, -1, 0
	s_cmp_eq_u32 s12, 6
	v_cndmask_b32_e32 v35, v35, v15, vcc_lo
	s_cselect_b32 vcc_lo, -1, 0
	s_add_co_i32 s12, s2, 6
	s_add_nc_u64 s[2:3], s[2:3], 8
	s_cmp_eq_u32 s12, 1
	v_cndmask_b32_e32 v35, v35, v16, vcc_lo
	s_cselect_b32 s0, -1, 0
	s_cmp_eq_u32 s12, 2
	v_cndmask_b32_e64 v36, v10, v11, s0
	s_cselect_b32 s0, -1, 0
	s_cmp_eq_u32 s12, 3
	s_delay_alu instid0(VALU_DEP_1) | instskip(SKIP_2) | instid1(VALU_DEP_1)
	v_cndmask_b32_e64 v34, v36, v12, s0
	s_cselect_b32 s0, -1, 0
	s_cmp_eq_u32 s12, 4
	v_dual_add_nc_u32 v36, s2, v32 :: v_dual_cndmask_b32 v34, v34, v13, s0
	s_cselect_b32 s0, -1, 0
	s_cmp_eq_u32 s12, 5
	v_fmac_f32_e32 v17, v35, v40
	s_cselect_b32 vcc_lo, -1, 0
	v_cndmask_b32_e64 v34, v34, v14, s0
	s_cmp_eq_u32 s12, 6
	s_delay_alu instid0(VALU_DEP_1) | instskip(SKIP_3) | instid1(VALU_DEP_1)
	v_cndmask_b32_e32 v34, v34, v15, vcc_lo
	s_cselect_b32 vcc_lo, -1, 0
	s_add_co_i32 s0, s2, -1
	s_add_co_i32 s9, s9, 32
	v_cndmask_b32_e32 v35, v34, v16, vcc_lo
	v_cmp_eq_u32_e32 vcc_lo, 5, v36
	s_delay_alu instid0(VALU_DEP_2) | instskip(SKIP_1) | instid1(SALU_CYCLE_1)
	v_dual_mov_b32 v34, s0 :: v_dual_fmac_f32 v17, v35, v41
	s_or_b32 s8, vcc_lo, s8
	s_and_not1_b32 exec_lo, exec_lo, s8
	s_cbranch_execnz .LBB70_25
; %bb.26:
	s_or_b32 exec_lo, exec_lo, s8
.LBB70_27:
	s_delay_alu instid0(SALU_CYCLE_1) | instskip(SKIP_3) | instid1(VALU_DEP_1)
	s_or_b32 exec_lo, exec_lo, s6
	v_and_b32_e32 v32, 7, v33
	s_mov_b32 s2, 0
	s_mov_b32 s0, exec_lo
	v_cmpx_ne_u32_e32 0, v32
	s_cbranch_execz .LBB70_31
; %bb.28:
	v_lshl_add_u32 v33, v34, 2, 32
	v_mov_b32_e32 v35, 0
.LBB70_29:                              ; =>This Inner Loop Header: Depth=1
	v_cmp_eq_u32_e32 vcc_lo, 1, v34
	ds_load_b32 v37, v33
	v_dual_add_nc_u32 v32, -1, v32 :: v_dual_add_nc_u32 v33, 4, v33
	v_cndmask_b32_e32 v36, v10, v11, vcc_lo
	v_cmp_eq_u32_e32 vcc_lo, 2, v34
	s_delay_alu instid0(VALU_DEP_2) | instskip(SKIP_1) | instid1(VALU_DEP_2)
	v_cndmask_b32_e32 v36, v36, v12, vcc_lo
	v_cmp_eq_u32_e32 vcc_lo, 3, v34
	v_cndmask_b32_e32 v36, v36, v13, vcc_lo
	v_cmp_eq_u32_e32 vcc_lo, 4, v34
	s_delay_alu instid0(VALU_DEP_2) | instskip(SKIP_1) | instid1(VALU_DEP_2)
	v_cndmask_b32_e32 v36, v36, v14, vcc_lo
	v_cmp_eq_u32_e32 vcc_lo, 5, v34
	v_cndmask_b32_e32 v36, v36, v15, vcc_lo
	v_cmp_eq_u32_e32 vcc_lo, 6, v34
	v_add_nc_u64_e32 v[34:35], 1, v[34:35]
	s_delay_alu instid0(VALU_DEP_3) | instskip(SKIP_2) | instid1(VALU_DEP_2)
	v_cndmask_b32_e32 v36, v36, v16, vcc_lo
	v_cmp_eq_u32_e32 vcc_lo, 0, v32
	s_wait_dscnt 0x0
	v_fmac_f32_e32 v17, v36, v37
	s_or_b32 s2, vcc_lo, s2
	s_delay_alu instid0(SALU_CYCLE_1)
	s_and_not1_b32 exec_lo, exec_lo, s2
	s_cbranch_execnz .LBB70_29
; %bb.30:
	s_or_b32 exec_lo, exec_lo, s2
.LBB70_31:
	s_delay_alu instid0(SALU_CYCLE_1)
	s_or_b32 exec_lo, exec_lo, s0
.LBB70_32:
	s_delay_alu instid0(SALU_CYCLE_1)
	s_or_b32 exec_lo, exec_lo, s5
	v_mov_b32_e32 v13, 0
	ds_load_b32 v13, v13 offset:12
	s_wait_dscnt 0x0
	v_mul_f32_e32 v13, v17, v13
.LBB70_33:
	s_or_b32 exec_lo, exec_lo, s4
	v_cmp_lt_u32_e64 s0, 2, v0
	ds_store_b32 v9, v12
	s_wait_dscnt 0x0
	s_barrier_signal -1
	s_barrier_wait -1
	s_and_saveexec_b32 s4, s0
	s_cbranch_execz .LBB70_49
; %bb.34:
	s_and_not1_b32 vcc_lo, exec_lo, s7
	s_cbranch_vccnz .LBB70_36
; %bb.35:
	v_cmp_eq_u32_e32 vcc_lo, 1, v0
	ds_load_b32 v32, v9
	v_cndmask_b32_e32 v17, v10, v11, vcc_lo
	v_cmp_eq_u32_e32 vcc_lo, 2, v0
	s_delay_alu instid0(VALU_DEP_2) | instskip(SKIP_1) | instid1(VALU_DEP_2)
	v_cndmask_b32_e32 v17, v17, v12, vcc_lo
	v_cmp_eq_u32_e32 vcc_lo, 3, v0
	v_cndmask_b32_e32 v17, v17, v13, vcc_lo
	v_cmp_eq_u32_e32 vcc_lo, 4, v0
	s_delay_alu instid0(VALU_DEP_2) | instskip(SKIP_1) | instid1(VALU_DEP_2)
	v_cndmask_b32_e32 v17, v17, v14, vcc_lo
	v_cmp_eq_u32_e32 vcc_lo, 5, v0
	v_cndmask_b32_e32 v17, v17, v15, vcc_lo
	v_cmp_eq_u32_e32 vcc_lo, 6, v0
	s_delay_alu instid0(VALU_DEP_2) | instskip(SKIP_1) | instid1(VALU_DEP_1)
	v_cndmask_b32_e32 v17, v17, v16, vcc_lo
	s_wait_dscnt 0x0
	v_mul_f32_e32 v17, v17, v32
	s_cbranch_execz .LBB70_37
	s_branch .LBB70_38
.LBB70_36:
                                        ; implicit-def: $vgpr17
.LBB70_37:
	ds_load_b32 v17, v9
.LBB70_38:
	s_and_saveexec_b32 s5, s1
	s_cbranch_execz .LBB70_48
; %bb.39:
	v_dual_add_nc_u32 v32, -4, v0 :: v_dual_add_nc_u32 v33, -3, v0
	v_mov_b32_e32 v34, 3
	s_mov_b32 s6, exec_lo
	s_delay_alu instid0(VALU_DEP_2)
	v_cmpx_lt_u32_e32 6, v32
	s_cbranch_execz .LBB70_43
; %bb.40:
	v_and_b32_e32 v32, -8, v33
	s_mov_b32 s8, 0
	s_mov_b64 s[2:3], 10
	s_mov_b32 s9, 44
	s_delay_alu instid0(VALU_DEP_1)
	v_sub_nc_u32_e32 v32, 0, v32
.LBB70_41:                              ; =>This Inner Loop Header: Depth=1
	s_add_co_i32 s1, s2, -7
	s_delay_alu instid0(SALU_CYCLE_1) | instskip(SKIP_1) | instid1(SALU_CYCLE_1)
	s_cmp_eq_u32 s1, 1
	s_cselect_b32 vcc_lo, -1, 0
	v_dual_mov_b32 v40, s9 :: v_dual_cndmask_b32 v42, v10, v11, vcc_lo
	s_cmp_eq_u32 s1, 2
	ds_load_2addr_b32 v[34:35], v40 offset1:1
	ds_load_2addr_b32 v[36:37], v40 offset0:2 offset1:3
	ds_load_2addr_b32 v[38:39], v40 offset0:4 offset1:5
	;; [unrolled: 1-line block ×3, first 2 shown]
	s_cselect_b32 vcc_lo, -1, 0
	s_cmp_eq_u32 s1, 3
	v_cndmask_b32_e32 v42, v42, v12, vcc_lo
	s_cselect_b32 vcc_lo, -1, 0
	s_cmp_eq_u32 s1, 4
	s_delay_alu instid0(VALU_DEP_1) | instskip(SKIP_2) | instid1(VALU_DEP_1)
	v_cndmask_b32_e32 v42, v42, v13, vcc_lo
	s_cselect_b32 vcc_lo, -1, 0
	s_cmp_eq_u32 s1, 5
	v_cndmask_b32_e32 v42, v42, v14, vcc_lo
	s_cselect_b32 vcc_lo, -1, 0
	s_cmp_eq_u32 s1, 6
	s_delay_alu instid0(VALU_DEP_1) | instskip(SKIP_2) | instid1(SALU_CYCLE_1)
	v_cndmask_b32_e32 v42, v42, v15, vcc_lo
	s_cselect_b32 vcc_lo, -1, 0
	s_add_co_i32 s12, s2, -6
	s_cmp_eq_u32 s12, 1
	s_delay_alu instid0(VALU_DEP_1)
	v_cndmask_b32_e32 v42, v42, v16, vcc_lo
	s_cselect_b32 s1, -1, 0
	s_cmp_eq_u32 s12, 2
	v_cndmask_b32_e64 v43, v10, v11, s1
	s_cselect_b32 vcc_lo, -1, 0
	s_cmp_eq_u32 s12, 3
	s_wait_dscnt 0x3
	s_delay_alu instid0(VALU_DEP_1) | instskip(SKIP_2) | instid1(VALU_DEP_1)
	v_dual_fmac_f32 v17, v42, v34 :: v_dual_cndmask_b32 v43, v43, v12, vcc_lo
	s_cselect_b32 vcc_lo, -1, 0
	s_cmp_eq_u32 s12, 4
	v_cndmask_b32_e32 v34, v43, v13, vcc_lo
	s_cselect_b32 vcc_lo, -1, 0
	s_cmp_eq_u32 s12, 5
	s_delay_alu instid0(VALU_DEP_1) | instskip(SKIP_2) | instid1(VALU_DEP_1)
	v_cndmask_b32_e32 v34, v34, v14, vcc_lo
	s_cselect_b32 vcc_lo, -1, 0
	s_cmp_eq_u32 s12, 6
	v_cndmask_b32_e32 v34, v34, v15, vcc_lo
	s_cselect_b32 vcc_lo, -1, 0
	s_add_co_i32 s12, s2, -5
	s_delay_alu instid0(SALU_CYCLE_1) | instskip(NEXT) | instid1(VALU_DEP_1)
	s_cmp_eq_u32 s12, 1
	v_cndmask_b32_e32 v34, v34, v16, vcc_lo
	s_cselect_b32 s1, -1, 0
	s_cmp_eq_u32 s12, 2
	v_cndmask_b32_e64 v42, v10, v11, s1
	s_cselect_b32 vcc_lo, -1, 0
	s_cmp_eq_u32 s12, 3
	s_delay_alu instid0(VALU_DEP_1) | instskip(SKIP_3) | instid1(VALU_DEP_2)
	v_cndmask_b32_e32 v42, v42, v12, vcc_lo
	s_cselect_b32 vcc_lo, -1, 0
	v_fmac_f32_e32 v17, v34, v35
	s_cmp_eq_u32 s12, 4
	v_cndmask_b32_e32 v34, v42, v13, vcc_lo
	s_cselect_b32 vcc_lo, -1, 0
	s_cmp_eq_u32 s12, 5
	s_delay_alu instid0(VALU_DEP_1) | instskip(SKIP_2) | instid1(VALU_DEP_1)
	v_cndmask_b32_e32 v34, v34, v14, vcc_lo
	s_cselect_b32 vcc_lo, -1, 0
	s_cmp_eq_u32 s12, 6
	v_cndmask_b32_e32 v34, v34, v15, vcc_lo
	s_cselect_b32 vcc_lo, -1, 0
	s_add_co_i32 s12, s2, -4
	s_delay_alu instid0(SALU_CYCLE_1) | instskip(NEXT) | instid1(VALU_DEP_1)
	s_cmp_eq_u32 s12, 1
	v_cndmask_b32_e32 v34, v34, v16, vcc_lo
	s_cselect_b32 s1, -1, 0
	s_cmp_eq_u32 s12, 2
	v_cndmask_b32_e64 v35, v10, v11, s1
	s_cselect_b32 vcc_lo, -1, 0
	s_cmp_eq_u32 s12, 3
	s_wait_dscnt 0x2
	v_fmac_f32_e32 v17, v34, v36
	v_cndmask_b32_e32 v35, v35, v12, vcc_lo
	s_cselect_b32 vcc_lo, -1, 0
	s_cmp_eq_u32 s12, 4
	s_delay_alu instid0(VALU_DEP_1) | instskip(SKIP_2) | instid1(VALU_DEP_1)
	v_cndmask_b32_e32 v34, v35, v13, vcc_lo
	s_cselect_b32 vcc_lo, -1, 0
	s_cmp_eq_u32 s12, 5
	v_cndmask_b32_e32 v34, v34, v14, vcc_lo
	s_cselect_b32 vcc_lo, -1, 0
	s_cmp_eq_u32 s12, 6
	s_delay_alu instid0(VALU_DEP_1) | instskip(SKIP_2) | instid1(SALU_CYCLE_1)
	v_cndmask_b32_e32 v34, v34, v15, vcc_lo
	s_cselect_b32 vcc_lo, -1, 0
	s_add_co_i32 s12, s2, -3
	s_cmp_eq_u32 s12, 1
	s_delay_alu instid0(VALU_DEP_1)
	v_cndmask_b32_e32 v34, v34, v16, vcc_lo
	s_cselect_b32 s1, -1, 0
	s_cmp_eq_u32 s12, 2
	v_cndmask_b32_e64 v35, v10, v11, s1
	s_cselect_b32 vcc_lo, -1, 0
	s_cmp_eq_u32 s12, 3
	s_delay_alu instid0(VALU_DEP_1) | instskip(SKIP_2) | instid1(VALU_DEP_1)
	v_dual_fmac_f32 v17, v34, v37 :: v_dual_cndmask_b32 v35, v35, v12, vcc_lo
	s_cselect_b32 vcc_lo, -1, 0
	s_cmp_eq_u32 s12, 4
	v_cndmask_b32_e32 v34, v35, v13, vcc_lo
	s_cselect_b32 vcc_lo, -1, 0
	s_cmp_eq_u32 s12, 5
	s_delay_alu instid0(VALU_DEP_1) | instskip(SKIP_2) | instid1(VALU_DEP_1)
	v_cndmask_b32_e32 v34, v34, v14, vcc_lo
	s_cselect_b32 vcc_lo, -1, 0
	s_cmp_eq_u32 s12, 6
	v_cndmask_b32_e32 v34, v34, v15, vcc_lo
	s_cselect_b32 vcc_lo, -1, 0
	s_add_co_i32 s12, s2, -2
	s_delay_alu instid0(SALU_CYCLE_1) | instskip(NEXT) | instid1(VALU_DEP_1)
	s_cmp_eq_u32 s12, 1
	v_cndmask_b32_e32 v34, v34, v16, vcc_lo
	s_cselect_b32 s1, -1, 0
	s_cmp_eq_u32 s12, 2
	v_cndmask_b32_e64 v35, v10, v11, s1
	s_cselect_b32 vcc_lo, -1, 0
	s_cmp_eq_u32 s12, 3
	s_delay_alu instid0(VALU_DEP_1)
	v_cndmask_b32_e32 v35, v35, v12, vcc_lo
	s_cselect_b32 vcc_lo, -1, 0
	s_wait_dscnt 0x1
	v_fmac_f32_e32 v17, v34, v38
	s_cmp_eq_u32 s12, 4
	v_cndmask_b32_e32 v34, v35, v13, vcc_lo
	s_cselect_b32 vcc_lo, -1, 0
	s_cmp_eq_u32 s12, 5
	s_delay_alu instid0(VALU_DEP_1) | instskip(SKIP_2) | instid1(VALU_DEP_1)
	v_cndmask_b32_e32 v34, v34, v14, vcc_lo
	s_cselect_b32 vcc_lo, -1, 0
	s_cmp_eq_u32 s12, 6
	v_cndmask_b32_e32 v34, v34, v15, vcc_lo
	s_cselect_b32 vcc_lo, -1, 0
	s_add_co_i32 s12, s2, -1
	s_delay_alu instid0(SALU_CYCLE_1) | instskip(NEXT) | instid1(VALU_DEP_1)
	s_cmp_eq_u32 s12, 1
	v_cndmask_b32_e32 v34, v34, v16, vcc_lo
	s_cselect_b32 s1, -1, 0
	s_cmp_eq_u32 s12, 2
	v_cndmask_b32_e64 v35, v10, v11, s1
	s_cselect_b32 vcc_lo, -1, 0
	s_cmp_eq_u32 s12, 3
	s_delay_alu instid0(VALU_DEP_1) | instskip(SKIP_3) | instid1(VALU_DEP_2)
	v_cndmask_b32_e32 v35, v35, v12, vcc_lo
	s_cselect_b32 vcc_lo, -1, 0
	v_fmac_f32_e32 v17, v34, v39
	s_cmp_eq_u32 s12, 4
	v_cndmask_b32_e32 v34, v35, v13, vcc_lo
	s_cselect_b32 vcc_lo, -1, 0
	s_cmp_eq_u32 s12, 5
	s_delay_alu instid0(VALU_DEP_1) | instskip(SKIP_2) | instid1(VALU_DEP_1)
	v_cndmask_b32_e32 v34, v34, v14, vcc_lo
	s_cselect_b32 vcc_lo, -1, 0
	s_cmp_eq_u32 s12, 6
	v_cndmask_b32_e32 v34, v34, v15, vcc_lo
	s_cselect_b32 vcc_lo, -1, 0
	s_cmp_eq_u32 s2, 1
	s_cselect_b32 s1, -1, 0
	s_cmp_eq_u32 s2, 2
	v_cndmask_b32_e64 v35, v10, v11, s1
	s_cselect_b32 s1, -1, 0
	s_cmp_eq_u32 s2, 3
	v_cndmask_b32_e32 v34, v34, v16, vcc_lo
	s_cselect_b32 vcc_lo, -1, 0
	v_cndmask_b32_e64 v35, v35, v12, s1
	s_cmp_eq_u32 s2, 4
	s_wait_dscnt 0x0
	s_delay_alu instid0(VALU_DEP_1) | instskip(SKIP_2) | instid1(VALU_DEP_1)
	v_dual_fmac_f32 v17, v34, v40 :: v_dual_cndmask_b32 v35, v35, v13, vcc_lo
	s_cselect_b32 vcc_lo, -1, 0
	s_cmp_eq_u32 s2, 5
	v_cndmask_b32_e32 v35, v35, v14, vcc_lo
	s_cselect_b32 vcc_lo, -1, 0
	s_cmp_eq_u32 s2, 6
	s_add_nc_u64 s[2:3], s[2:3], 8
	s_delay_alu instid0(VALU_DEP_1) | instid1(SALU_CYCLE_1)
	v_dual_cndmask_b32 v35, v35, v15 :: v_dual_add_nc_u32 v36, s2, v32
	s_cselect_b32 vcc_lo, -1, 0
	s_add_co_i32 s1, s2, -7
	s_add_co_i32 s9, s9, 32
	s_delay_alu instid0(VALU_DEP_1) | instskip(SKIP_1) | instid1(VALU_DEP_2)
	v_cndmask_b32_e32 v35, v35, v16, vcc_lo
	v_cmp_eq_u32_e32 vcc_lo, 10, v36
	v_dual_mov_b32 v34, s1 :: v_dual_fmac_f32 v17, v35, v41
	s_or_b32 s8, vcc_lo, s8
	s_delay_alu instid0(SALU_CYCLE_1)
	s_and_not1_b32 exec_lo, exec_lo, s8
	s_cbranch_execnz .LBB70_41
; %bb.42:
	s_or_b32 exec_lo, exec_lo, s8
.LBB70_43:
	s_delay_alu instid0(SALU_CYCLE_1) | instskip(SKIP_3) | instid1(VALU_DEP_1)
	s_or_b32 exec_lo, exec_lo, s6
	v_and_b32_e32 v32, 7, v33
	s_mov_b32 s2, 0
	s_mov_b32 s1, exec_lo
	v_cmpx_ne_u32_e32 0, v32
	s_cbranch_execz .LBB70_47
; %bb.44:
	v_lshl_add_u32 v33, v34, 2, 32
	v_mov_b32_e32 v35, 0
.LBB70_45:                              ; =>This Inner Loop Header: Depth=1
	v_cmp_eq_u32_e32 vcc_lo, 1, v34
	ds_load_b32 v37, v33
	v_dual_add_nc_u32 v32, -1, v32 :: v_dual_add_nc_u32 v33, 4, v33
	v_cndmask_b32_e32 v36, v10, v11, vcc_lo
	v_cmp_eq_u32_e32 vcc_lo, 2, v34
	s_delay_alu instid0(VALU_DEP_2) | instskip(SKIP_1) | instid1(VALU_DEP_2)
	v_cndmask_b32_e32 v36, v36, v12, vcc_lo
	v_cmp_eq_u32_e32 vcc_lo, 3, v34
	v_cndmask_b32_e32 v36, v36, v13, vcc_lo
	v_cmp_eq_u32_e32 vcc_lo, 4, v34
	s_delay_alu instid0(VALU_DEP_2) | instskip(SKIP_1) | instid1(VALU_DEP_2)
	v_cndmask_b32_e32 v36, v36, v14, vcc_lo
	v_cmp_eq_u32_e32 vcc_lo, 5, v34
	v_cndmask_b32_e32 v36, v36, v15, vcc_lo
	v_cmp_eq_u32_e32 vcc_lo, 6, v34
	v_add_nc_u64_e32 v[34:35], 1, v[34:35]
	s_delay_alu instid0(VALU_DEP_3) | instskip(SKIP_2) | instid1(VALU_DEP_2)
	v_cndmask_b32_e32 v36, v36, v16, vcc_lo
	v_cmp_eq_u32_e32 vcc_lo, 0, v32
	s_wait_dscnt 0x0
	v_fmac_f32_e32 v17, v36, v37
	s_or_b32 s2, vcc_lo, s2
	s_delay_alu instid0(SALU_CYCLE_1)
	s_and_not1_b32 exec_lo, exec_lo, s2
	s_cbranch_execnz .LBB70_45
; %bb.46:
	s_or_b32 exec_lo, exec_lo, s2
.LBB70_47:
	s_delay_alu instid0(SALU_CYCLE_1)
	s_or_b32 exec_lo, exec_lo, s1
.LBB70_48:
	s_delay_alu instid0(SALU_CYCLE_1)
	s_or_b32 exec_lo, exec_lo, s5
	v_mov_b32_e32 v12, 0
	ds_load_b32 v12, v12 offset:8
	s_wait_dscnt 0x0
	v_mul_f32_e32 v12, v17, v12
.LBB70_49:
	s_or_b32 exec_lo, exec_lo, s4
	v_cmp_lt_u32_e64 s1, 1, v0
	ds_store_b32 v9, v11
	s_wait_dscnt 0x0
	s_barrier_signal -1
	s_barrier_wait -1
	s_and_saveexec_b32 s4, s1
	s_cbranch_execz .LBB70_65
; %bb.50:
	s_and_not1_b32 vcc_lo, exec_lo, s7
	s_cbranch_vccnz .LBB70_52
; %bb.51:
	v_cmp_eq_u32_e32 vcc_lo, 1, v0
	ds_load_b32 v32, v9
	v_cndmask_b32_e32 v17, v10, v11, vcc_lo
	v_cmp_eq_u32_e32 vcc_lo, 2, v0
	s_delay_alu instid0(VALU_DEP_2) | instskip(SKIP_1) | instid1(VALU_DEP_2)
	v_cndmask_b32_e32 v17, v17, v12, vcc_lo
	v_cmp_eq_u32_e32 vcc_lo, 3, v0
	v_cndmask_b32_e32 v17, v17, v13, vcc_lo
	v_cmp_eq_u32_e32 vcc_lo, 4, v0
	s_delay_alu instid0(VALU_DEP_2) | instskip(SKIP_1) | instid1(VALU_DEP_2)
	v_cndmask_b32_e32 v17, v17, v14, vcc_lo
	v_cmp_eq_u32_e32 vcc_lo, 5, v0
	v_cndmask_b32_e32 v17, v17, v15, vcc_lo
	v_cmp_eq_u32_e32 vcc_lo, 6, v0
	s_delay_alu instid0(VALU_DEP_2) | instskip(SKIP_1) | instid1(VALU_DEP_1)
	v_cndmask_b32_e32 v17, v17, v16, vcc_lo
	s_wait_dscnt 0x0
	v_mul_f32_e32 v17, v17, v32
	s_cbranch_execz .LBB70_53
	s_branch .LBB70_54
.LBB70_52:
                                        ; implicit-def: $vgpr17
.LBB70_53:
	ds_load_b32 v17, v9
.LBB70_54:
	s_and_saveexec_b32 s5, s0
	s_cbranch_execz .LBB70_64
; %bb.55:
	v_dual_add_nc_u32 v32, -3, v0 :: v_dual_add_nc_u32 v33, -2, v0
	v_mov_b32_e32 v34, 2
	s_mov_b32 s6, exec_lo
	s_delay_alu instid0(VALU_DEP_2)
	v_cmpx_lt_u32_e32 6, v32
	s_cbranch_execz .LBB70_59
; %bb.56:
	v_and_b32_e32 v32, -8, v33
	s_mov_b32 s8, 0
	s_mov_b64 s[2:3], 9
	s_mov_b32 s9, 40
	s_delay_alu instid0(VALU_DEP_1)
	v_sub_nc_u32_e32 v32, 0, v32
.LBB70_57:                              ; =>This Inner Loop Header: Depth=1
	s_add_co_i32 s0, s2, -7
	s_delay_alu instid0(SALU_CYCLE_1) | instskip(SKIP_1) | instid1(SALU_CYCLE_1)
	s_cmp_eq_u32 s0, 1
	s_cselect_b32 vcc_lo, -1, 0
	v_dual_mov_b32 v38, s9 :: v_dual_cndmask_b32 v42, v10, v11, vcc_lo
	s_cmp_eq_u32 s0, 2
	ds_load_2addr_b64 v[34:37], v38 offset1:1
	ds_load_2addr_b64 v[38:41], v38 offset0:2 offset1:3
	s_cselect_b32 vcc_lo, -1, 0
	s_cmp_eq_u32 s0, 3
	v_cndmask_b32_e32 v42, v42, v12, vcc_lo
	s_cselect_b32 vcc_lo, -1, 0
	s_cmp_eq_u32 s0, 4
	s_delay_alu instid0(VALU_DEP_1) | instskip(SKIP_2) | instid1(VALU_DEP_1)
	v_cndmask_b32_e32 v42, v42, v13, vcc_lo
	s_cselect_b32 vcc_lo, -1, 0
	s_cmp_eq_u32 s0, 5
	v_cndmask_b32_e32 v42, v42, v14, vcc_lo
	s_cselect_b32 vcc_lo, -1, 0
	s_cmp_eq_u32 s0, 6
	s_delay_alu instid0(VALU_DEP_1) | instskip(SKIP_2) | instid1(SALU_CYCLE_1)
	v_cndmask_b32_e32 v42, v42, v15, vcc_lo
	s_cselect_b32 vcc_lo, -1, 0
	s_add_co_i32 s12, s2, -6
	s_cmp_eq_u32 s12, 1
	s_delay_alu instid0(VALU_DEP_1)
	v_cndmask_b32_e32 v42, v42, v16, vcc_lo
	s_cselect_b32 s0, -1, 0
	s_cmp_eq_u32 s12, 2
	v_cndmask_b32_e64 v43, v10, v11, s0
	s_cselect_b32 vcc_lo, -1, 0
	s_cmp_eq_u32 s12, 3
	s_wait_dscnt 0x1
	s_delay_alu instid0(VALU_DEP_1) | instskip(SKIP_2) | instid1(VALU_DEP_1)
	v_dual_fmac_f32 v17, v42, v34 :: v_dual_cndmask_b32 v43, v43, v12, vcc_lo
	s_cselect_b32 vcc_lo, -1, 0
	s_cmp_eq_u32 s12, 4
	v_cndmask_b32_e32 v34, v43, v13, vcc_lo
	s_cselect_b32 vcc_lo, -1, 0
	s_cmp_eq_u32 s12, 5
	s_delay_alu instid0(VALU_DEP_1) | instskip(SKIP_2) | instid1(VALU_DEP_1)
	v_cndmask_b32_e32 v34, v34, v14, vcc_lo
	s_cselect_b32 vcc_lo, -1, 0
	s_cmp_eq_u32 s12, 6
	v_cndmask_b32_e32 v34, v34, v15, vcc_lo
	s_cselect_b32 vcc_lo, -1, 0
	s_add_co_i32 s12, s2, -5
	s_delay_alu instid0(SALU_CYCLE_1) | instskip(NEXT) | instid1(VALU_DEP_1)
	s_cmp_eq_u32 s12, 1
	v_cndmask_b32_e32 v34, v34, v16, vcc_lo
	s_cselect_b32 s0, -1, 0
	s_cmp_eq_u32 s12, 2
	v_cndmask_b32_e64 v42, v10, v11, s0
	s_cselect_b32 vcc_lo, -1, 0
	s_cmp_eq_u32 s12, 3
	s_delay_alu instid0(VALU_DEP_1) | instskip(SKIP_3) | instid1(VALU_DEP_2)
	v_cndmask_b32_e32 v42, v42, v12, vcc_lo
	s_cselect_b32 vcc_lo, -1, 0
	v_fmac_f32_e32 v17, v34, v35
	s_cmp_eq_u32 s12, 4
	v_cndmask_b32_e32 v34, v42, v13, vcc_lo
	s_cselect_b32 vcc_lo, -1, 0
	s_cmp_eq_u32 s12, 5
	s_delay_alu instid0(VALU_DEP_1) | instskip(SKIP_2) | instid1(VALU_DEP_1)
	v_cndmask_b32_e32 v34, v34, v14, vcc_lo
	s_cselect_b32 vcc_lo, -1, 0
	s_cmp_eq_u32 s12, 6
	v_cndmask_b32_e32 v34, v34, v15, vcc_lo
	s_cselect_b32 vcc_lo, -1, 0
	s_add_co_i32 s12, s2, -4
	s_delay_alu instid0(SALU_CYCLE_1) | instskip(NEXT) | instid1(VALU_DEP_1)
	s_cmp_eq_u32 s12, 1
	v_cndmask_b32_e32 v34, v34, v16, vcc_lo
	s_cselect_b32 s0, -1, 0
	s_cmp_eq_u32 s12, 2
	v_cndmask_b32_e64 v35, v10, v11, s0
	s_cselect_b32 vcc_lo, -1, 0
	s_cmp_eq_u32 s12, 3
	v_fmac_f32_e32 v17, v34, v36
	s_delay_alu instid0(VALU_DEP_2) | instskip(SKIP_2) | instid1(VALU_DEP_1)
	v_cndmask_b32_e32 v35, v35, v12, vcc_lo
	s_cselect_b32 vcc_lo, -1, 0
	s_cmp_eq_u32 s12, 4
	v_cndmask_b32_e32 v34, v35, v13, vcc_lo
	s_cselect_b32 vcc_lo, -1, 0
	s_cmp_eq_u32 s12, 5
	s_delay_alu instid0(VALU_DEP_1) | instskip(SKIP_2) | instid1(VALU_DEP_1)
	v_cndmask_b32_e32 v34, v34, v14, vcc_lo
	s_cselect_b32 vcc_lo, -1, 0
	s_cmp_eq_u32 s12, 6
	v_cndmask_b32_e32 v34, v34, v15, vcc_lo
	s_cselect_b32 vcc_lo, -1, 0
	s_add_co_i32 s12, s2, -3
	s_delay_alu instid0(SALU_CYCLE_1) | instskip(NEXT) | instid1(VALU_DEP_1)
	s_cmp_eq_u32 s12, 1
	v_cndmask_b32_e32 v34, v34, v16, vcc_lo
	s_cselect_b32 s0, -1, 0
	s_cmp_eq_u32 s12, 2
	v_cndmask_b32_e64 v35, v10, v11, s0
	s_cselect_b32 vcc_lo, -1, 0
	s_cmp_eq_u32 s12, 3
	s_delay_alu instid0(VALU_DEP_1) | instskip(SKIP_2) | instid1(VALU_DEP_1)
	v_dual_fmac_f32 v17, v34, v37 :: v_dual_cndmask_b32 v35, v35, v12, vcc_lo
	s_cselect_b32 vcc_lo, -1, 0
	s_cmp_eq_u32 s12, 4
	v_cndmask_b32_e32 v34, v35, v13, vcc_lo
	s_cselect_b32 vcc_lo, -1, 0
	s_cmp_eq_u32 s12, 5
	s_delay_alu instid0(VALU_DEP_1) | instskip(SKIP_2) | instid1(VALU_DEP_1)
	v_cndmask_b32_e32 v34, v34, v14, vcc_lo
	s_cselect_b32 vcc_lo, -1, 0
	s_cmp_eq_u32 s12, 6
	v_cndmask_b32_e32 v34, v34, v15, vcc_lo
	s_cselect_b32 vcc_lo, -1, 0
	s_add_co_i32 s12, s2, -2
	s_delay_alu instid0(SALU_CYCLE_1) | instskip(NEXT) | instid1(VALU_DEP_1)
	s_cmp_eq_u32 s12, 1
	v_cndmask_b32_e32 v34, v34, v16, vcc_lo
	s_cselect_b32 s0, -1, 0
	s_cmp_eq_u32 s12, 2
	v_cndmask_b32_e64 v35, v10, v11, s0
	s_cselect_b32 vcc_lo, -1, 0
	s_cmp_eq_u32 s12, 3
	s_delay_alu instid0(VALU_DEP_1)
	v_cndmask_b32_e32 v35, v35, v12, vcc_lo
	s_cselect_b32 vcc_lo, -1, 0
	s_wait_dscnt 0x0
	v_fmac_f32_e32 v17, v34, v38
	s_cmp_eq_u32 s12, 4
	v_cndmask_b32_e32 v34, v35, v13, vcc_lo
	s_cselect_b32 vcc_lo, -1, 0
	s_cmp_eq_u32 s12, 5
	s_delay_alu instid0(VALU_DEP_1) | instskip(SKIP_2) | instid1(VALU_DEP_1)
	v_cndmask_b32_e32 v34, v34, v14, vcc_lo
	s_cselect_b32 vcc_lo, -1, 0
	s_cmp_eq_u32 s12, 6
	v_cndmask_b32_e32 v34, v34, v15, vcc_lo
	s_cselect_b32 vcc_lo, -1, 0
	s_add_co_i32 s12, s2, -1
	s_delay_alu instid0(SALU_CYCLE_1) | instskip(NEXT) | instid1(VALU_DEP_1)
	s_cmp_eq_u32 s12, 1
	v_cndmask_b32_e32 v34, v34, v16, vcc_lo
	s_cselect_b32 s0, -1, 0
	s_cmp_eq_u32 s12, 2
	v_cndmask_b32_e64 v35, v10, v11, s0
	s_cselect_b32 vcc_lo, -1, 0
	s_cmp_eq_u32 s12, 3
	s_delay_alu instid0(VALU_DEP_1) | instskip(SKIP_3) | instid1(VALU_DEP_2)
	v_cndmask_b32_e32 v35, v35, v12, vcc_lo
	s_cselect_b32 vcc_lo, -1, 0
	v_fmac_f32_e32 v17, v34, v39
	s_cmp_eq_u32 s12, 4
	v_cndmask_b32_e32 v34, v35, v13, vcc_lo
	s_cselect_b32 vcc_lo, -1, 0
	s_cmp_eq_u32 s12, 5
	s_delay_alu instid0(VALU_DEP_1) | instskip(SKIP_2) | instid1(VALU_DEP_1)
	v_cndmask_b32_e32 v34, v34, v14, vcc_lo
	s_cselect_b32 vcc_lo, -1, 0
	s_cmp_eq_u32 s12, 6
	v_cndmask_b32_e32 v34, v34, v15, vcc_lo
	s_cselect_b32 vcc_lo, -1, 0
	s_cmp_eq_u32 s2, 1
	s_cselect_b32 s0, -1, 0
	s_cmp_eq_u32 s2, 2
	v_cndmask_b32_e64 v35, v10, v11, s0
	s_cselect_b32 s0, -1, 0
	s_cmp_eq_u32 s2, 3
	v_cndmask_b32_e32 v34, v34, v16, vcc_lo
	s_cselect_b32 vcc_lo, -1, 0
	v_cndmask_b32_e64 v35, v35, v12, s0
	s_cmp_eq_u32 s2, 4
	s_delay_alu instid0(VALU_DEP_1) | instskip(SKIP_2) | instid1(VALU_DEP_1)
	v_dual_fmac_f32 v17, v34, v40 :: v_dual_cndmask_b32 v35, v35, v13, vcc_lo
	s_cselect_b32 vcc_lo, -1, 0
	s_cmp_eq_u32 s2, 5
	v_cndmask_b32_e32 v35, v35, v14, vcc_lo
	s_cselect_b32 vcc_lo, -1, 0
	s_cmp_eq_u32 s2, 6
	s_add_nc_u64 s[2:3], s[2:3], 8
	s_delay_alu instid0(VALU_DEP_1) | instid1(SALU_CYCLE_1)
	v_dual_cndmask_b32 v35, v35, v15 :: v_dual_add_nc_u32 v36, s2, v32
	s_cselect_b32 vcc_lo, -1, 0
	s_add_co_i32 s0, s2, -7
	s_add_co_i32 s9, s9, 32
	s_delay_alu instid0(VALU_DEP_1) | instskip(SKIP_1) | instid1(VALU_DEP_2)
	v_cndmask_b32_e32 v35, v35, v16, vcc_lo
	v_cmp_eq_u32_e32 vcc_lo, 9, v36
	v_dual_mov_b32 v34, s0 :: v_dual_fmac_f32 v17, v35, v41
	s_or_b32 s8, vcc_lo, s8
	s_delay_alu instid0(SALU_CYCLE_1)
	s_and_not1_b32 exec_lo, exec_lo, s8
	s_cbranch_execnz .LBB70_57
; %bb.58:
	s_or_b32 exec_lo, exec_lo, s8
.LBB70_59:
	s_delay_alu instid0(SALU_CYCLE_1) | instskip(SKIP_3) | instid1(VALU_DEP_1)
	s_or_b32 exec_lo, exec_lo, s6
	v_and_b32_e32 v32, 7, v33
	s_mov_b32 s2, 0
	s_mov_b32 s0, exec_lo
	v_cmpx_ne_u32_e32 0, v32
	s_cbranch_execz .LBB70_63
; %bb.60:
	v_lshl_add_u32 v33, v34, 2, 32
	v_mov_b32_e32 v35, 0
.LBB70_61:                              ; =>This Inner Loop Header: Depth=1
	v_cmp_eq_u32_e32 vcc_lo, 1, v34
	ds_load_b32 v37, v33
	v_dual_add_nc_u32 v32, -1, v32 :: v_dual_add_nc_u32 v33, 4, v33
	v_cndmask_b32_e32 v36, v10, v11, vcc_lo
	v_cmp_eq_u32_e32 vcc_lo, 2, v34
	s_delay_alu instid0(VALU_DEP_2) | instskip(SKIP_1) | instid1(VALU_DEP_2)
	v_cndmask_b32_e32 v36, v36, v12, vcc_lo
	v_cmp_eq_u32_e32 vcc_lo, 3, v34
	v_cndmask_b32_e32 v36, v36, v13, vcc_lo
	v_cmp_eq_u32_e32 vcc_lo, 4, v34
	s_delay_alu instid0(VALU_DEP_2) | instskip(SKIP_1) | instid1(VALU_DEP_2)
	v_cndmask_b32_e32 v36, v36, v14, vcc_lo
	v_cmp_eq_u32_e32 vcc_lo, 5, v34
	v_cndmask_b32_e32 v36, v36, v15, vcc_lo
	v_cmp_eq_u32_e32 vcc_lo, 6, v34
	v_add_nc_u64_e32 v[34:35], 1, v[34:35]
	s_delay_alu instid0(VALU_DEP_3) | instskip(SKIP_2) | instid1(VALU_DEP_2)
	v_cndmask_b32_e32 v36, v36, v16, vcc_lo
	v_cmp_eq_u32_e32 vcc_lo, 0, v32
	s_wait_dscnt 0x0
	v_fmac_f32_e32 v17, v36, v37
	s_or_b32 s2, vcc_lo, s2
	s_delay_alu instid0(SALU_CYCLE_1)
	s_and_not1_b32 exec_lo, exec_lo, s2
	s_cbranch_execnz .LBB70_61
; %bb.62:
	s_or_b32 exec_lo, exec_lo, s2
.LBB70_63:
	s_delay_alu instid0(SALU_CYCLE_1)
	s_or_b32 exec_lo, exec_lo, s0
.LBB70_64:
	s_delay_alu instid0(SALU_CYCLE_1)
	s_or_b32 exec_lo, exec_lo, s5
	v_mov_b32_e32 v11, 0
	ds_load_b32 v11, v11 offset:4
	s_wait_dscnt 0x0
	v_mul_f32_e32 v11, v17, v11
.LBB70_65:
	s_or_b32 exec_lo, exec_lo, s4
	s_mov_b32 s4, 0
	s_mov_b32 s5, exec_lo
	ds_store_b32 v9, v10
	s_wait_dscnt 0x0
	s_barrier_signal -1
	s_barrier_wait -1
	v_cmpx_ne_u32_e32 0, v0
	s_cbranch_execz .LBB70_81
; %bb.66:
	s_and_not1_b32 vcc_lo, exec_lo, s7
	s_cbranch_vccnz .LBB70_68
; %bb.67:
	v_cmp_eq_u32_e32 vcc_lo, 1, v0
	ds_load_b32 v32, v9
	v_cndmask_b32_e32 v17, v10, v11, vcc_lo
	v_cmp_eq_u32_e32 vcc_lo, 2, v0
	s_delay_alu instid0(VALU_DEP_2) | instskip(SKIP_1) | instid1(VALU_DEP_2)
	v_cndmask_b32_e32 v17, v17, v12, vcc_lo
	v_cmp_eq_u32_e32 vcc_lo, 3, v0
	v_cndmask_b32_e32 v17, v17, v13, vcc_lo
	v_cmp_eq_u32_e32 vcc_lo, 4, v0
	s_delay_alu instid0(VALU_DEP_2) | instskip(SKIP_1) | instid1(VALU_DEP_2)
	v_cndmask_b32_e32 v17, v17, v14, vcc_lo
	v_cmp_eq_u32_e32 vcc_lo, 5, v0
	v_cndmask_b32_e32 v17, v17, v15, vcc_lo
	v_cmp_eq_u32_e32 vcc_lo, 6, v0
	s_delay_alu instid0(VALU_DEP_2) | instskip(SKIP_1) | instid1(VALU_DEP_1)
	v_cndmask_b32_e32 v17, v17, v16, vcc_lo
	s_wait_dscnt 0x0
	v_mul_f32_e32 v17, v17, v32
	s_cbranch_execz .LBB70_69
	s_branch .LBB70_70
.LBB70_68:
                                        ; implicit-def: $vgpr17
.LBB70_69:
	ds_load_b32 v17, v9
.LBB70_70:
	s_and_saveexec_b32 s6, s1
	s_cbranch_execz .LBB70_80
; %bb.71:
	v_dual_add_nc_u32 v32, -2, v0 :: v_dual_add_nc_u32 v33, -1, v0
	v_mov_b32_e32 v34, 1
	s_mov_b32 s1, exec_lo
	s_delay_alu instid0(VALU_DEP_2)
	v_cmpx_lt_u32_e32 6, v32
	s_cbranch_execz .LBB70_75
; %bb.72:
	v_and_b32_e32 v32, -8, v33
	s_mov_b32 s8, 0
	s_mov_b64 s[2:3], 8
	s_mov_b32 s9, 36
	s_delay_alu instid0(VALU_DEP_1)
	v_sub_nc_u32_e32 v32, 0, v32
.LBB70_73:                              ; =>This Inner Loop Header: Depth=1
	s_add_co_i32 s0, s2, -7
	s_delay_alu instid0(SALU_CYCLE_1) | instskip(SKIP_1) | instid1(SALU_CYCLE_1)
	s_cmp_eq_u32 s0, 1
	s_cselect_b32 vcc_lo, -1, 0
	v_dual_mov_b32 v40, s9 :: v_dual_cndmask_b32 v42, v10, v11, vcc_lo
	s_cmp_eq_u32 s0, 2
	ds_load_2addr_b32 v[34:35], v40 offset1:1
	ds_load_2addr_b32 v[36:37], v40 offset0:2 offset1:3
	ds_load_2addr_b32 v[38:39], v40 offset0:4 offset1:5
	;; [unrolled: 1-line block ×3, first 2 shown]
	s_cselect_b32 vcc_lo, -1, 0
	s_cmp_eq_u32 s0, 3
	v_cndmask_b32_e32 v42, v42, v12, vcc_lo
	s_cselect_b32 vcc_lo, -1, 0
	s_cmp_eq_u32 s0, 4
	s_delay_alu instid0(VALU_DEP_1) | instskip(SKIP_2) | instid1(VALU_DEP_1)
	v_cndmask_b32_e32 v42, v42, v13, vcc_lo
	s_cselect_b32 vcc_lo, -1, 0
	s_cmp_eq_u32 s0, 5
	v_cndmask_b32_e32 v42, v42, v14, vcc_lo
	s_cselect_b32 vcc_lo, -1, 0
	s_cmp_eq_u32 s0, 6
	s_delay_alu instid0(VALU_DEP_1) | instskip(SKIP_2) | instid1(SALU_CYCLE_1)
	v_cndmask_b32_e32 v42, v42, v15, vcc_lo
	s_cselect_b32 vcc_lo, -1, 0
	s_add_co_i32 s12, s2, -6
	s_cmp_eq_u32 s12, 1
	s_delay_alu instid0(VALU_DEP_1)
	v_cndmask_b32_e32 v42, v42, v16, vcc_lo
	s_cselect_b32 s0, -1, 0
	s_cmp_eq_u32 s12, 2
	v_cndmask_b32_e64 v43, v10, v11, s0
	s_cselect_b32 vcc_lo, -1, 0
	s_cmp_eq_u32 s12, 3
	s_wait_dscnt 0x3
	s_delay_alu instid0(VALU_DEP_1) | instskip(SKIP_2) | instid1(VALU_DEP_1)
	v_dual_fmac_f32 v17, v42, v34 :: v_dual_cndmask_b32 v43, v43, v12, vcc_lo
	s_cselect_b32 vcc_lo, -1, 0
	s_cmp_eq_u32 s12, 4
	v_cndmask_b32_e32 v34, v43, v13, vcc_lo
	s_cselect_b32 vcc_lo, -1, 0
	s_cmp_eq_u32 s12, 5
	s_delay_alu instid0(VALU_DEP_1) | instskip(SKIP_2) | instid1(VALU_DEP_1)
	v_cndmask_b32_e32 v34, v34, v14, vcc_lo
	s_cselect_b32 vcc_lo, -1, 0
	s_cmp_eq_u32 s12, 6
	v_cndmask_b32_e32 v34, v34, v15, vcc_lo
	s_cselect_b32 vcc_lo, -1, 0
	s_add_co_i32 s12, s2, -5
	s_delay_alu instid0(SALU_CYCLE_1) | instskip(NEXT) | instid1(VALU_DEP_1)
	s_cmp_eq_u32 s12, 1
	v_cndmask_b32_e32 v34, v34, v16, vcc_lo
	s_cselect_b32 s0, -1, 0
	s_cmp_eq_u32 s12, 2
	v_cndmask_b32_e64 v42, v10, v11, s0
	s_cselect_b32 vcc_lo, -1, 0
	s_cmp_eq_u32 s12, 3
	s_delay_alu instid0(VALU_DEP_1) | instskip(SKIP_3) | instid1(VALU_DEP_2)
	v_cndmask_b32_e32 v42, v42, v12, vcc_lo
	s_cselect_b32 vcc_lo, -1, 0
	v_fmac_f32_e32 v17, v34, v35
	s_cmp_eq_u32 s12, 4
	v_cndmask_b32_e32 v34, v42, v13, vcc_lo
	s_cselect_b32 vcc_lo, -1, 0
	s_cmp_eq_u32 s12, 5
	s_delay_alu instid0(VALU_DEP_1) | instskip(SKIP_2) | instid1(VALU_DEP_1)
	v_cndmask_b32_e32 v34, v34, v14, vcc_lo
	s_cselect_b32 vcc_lo, -1, 0
	s_cmp_eq_u32 s12, 6
	v_cndmask_b32_e32 v34, v34, v15, vcc_lo
	s_cselect_b32 vcc_lo, -1, 0
	s_add_co_i32 s12, s2, -4
	s_delay_alu instid0(SALU_CYCLE_1) | instskip(NEXT) | instid1(VALU_DEP_1)
	s_cmp_eq_u32 s12, 1
	v_cndmask_b32_e32 v34, v34, v16, vcc_lo
	s_cselect_b32 s0, -1, 0
	s_cmp_eq_u32 s12, 2
	v_cndmask_b32_e64 v35, v10, v11, s0
	s_cselect_b32 vcc_lo, -1, 0
	s_cmp_eq_u32 s12, 3
	s_wait_dscnt 0x2
	v_fmac_f32_e32 v17, v34, v36
	v_cndmask_b32_e32 v35, v35, v12, vcc_lo
	s_cselect_b32 vcc_lo, -1, 0
	s_cmp_eq_u32 s12, 4
	s_delay_alu instid0(VALU_DEP_1) | instskip(SKIP_2) | instid1(VALU_DEP_1)
	v_cndmask_b32_e32 v34, v35, v13, vcc_lo
	s_cselect_b32 vcc_lo, -1, 0
	s_cmp_eq_u32 s12, 5
	v_cndmask_b32_e32 v34, v34, v14, vcc_lo
	s_cselect_b32 vcc_lo, -1, 0
	s_cmp_eq_u32 s12, 6
	s_delay_alu instid0(VALU_DEP_1) | instskip(SKIP_2) | instid1(SALU_CYCLE_1)
	v_cndmask_b32_e32 v34, v34, v15, vcc_lo
	s_cselect_b32 vcc_lo, -1, 0
	s_add_co_i32 s12, s2, -3
	s_cmp_eq_u32 s12, 1
	s_delay_alu instid0(VALU_DEP_1)
	v_cndmask_b32_e32 v34, v34, v16, vcc_lo
	s_cselect_b32 s0, -1, 0
	s_cmp_eq_u32 s12, 2
	v_cndmask_b32_e64 v35, v10, v11, s0
	s_cselect_b32 vcc_lo, -1, 0
	s_cmp_eq_u32 s12, 3
	s_delay_alu instid0(VALU_DEP_1) | instskip(SKIP_2) | instid1(VALU_DEP_1)
	v_dual_fmac_f32 v17, v34, v37 :: v_dual_cndmask_b32 v35, v35, v12, vcc_lo
	s_cselect_b32 vcc_lo, -1, 0
	s_cmp_eq_u32 s12, 4
	v_cndmask_b32_e32 v34, v35, v13, vcc_lo
	s_cselect_b32 vcc_lo, -1, 0
	s_cmp_eq_u32 s12, 5
	s_delay_alu instid0(VALU_DEP_1) | instskip(SKIP_2) | instid1(VALU_DEP_1)
	v_cndmask_b32_e32 v34, v34, v14, vcc_lo
	s_cselect_b32 vcc_lo, -1, 0
	s_cmp_eq_u32 s12, 6
	v_cndmask_b32_e32 v34, v34, v15, vcc_lo
	s_cselect_b32 vcc_lo, -1, 0
	s_add_co_i32 s12, s2, -2
	s_delay_alu instid0(SALU_CYCLE_1) | instskip(NEXT) | instid1(VALU_DEP_1)
	s_cmp_eq_u32 s12, 1
	v_cndmask_b32_e32 v34, v34, v16, vcc_lo
	s_cselect_b32 s0, -1, 0
	s_cmp_eq_u32 s12, 2
	v_cndmask_b32_e64 v35, v10, v11, s0
	s_cselect_b32 vcc_lo, -1, 0
	s_cmp_eq_u32 s12, 3
	s_delay_alu instid0(VALU_DEP_1)
	v_cndmask_b32_e32 v35, v35, v12, vcc_lo
	s_cselect_b32 vcc_lo, -1, 0
	s_wait_dscnt 0x1
	v_fmac_f32_e32 v17, v34, v38
	s_cmp_eq_u32 s12, 4
	v_cndmask_b32_e32 v34, v35, v13, vcc_lo
	s_cselect_b32 vcc_lo, -1, 0
	s_cmp_eq_u32 s12, 5
	s_delay_alu instid0(VALU_DEP_1) | instskip(SKIP_2) | instid1(VALU_DEP_1)
	v_cndmask_b32_e32 v34, v34, v14, vcc_lo
	s_cselect_b32 vcc_lo, -1, 0
	s_cmp_eq_u32 s12, 6
	v_cndmask_b32_e32 v34, v34, v15, vcc_lo
	s_cselect_b32 vcc_lo, -1, 0
	s_add_co_i32 s12, s2, -1
	s_delay_alu instid0(SALU_CYCLE_1) | instskip(NEXT) | instid1(VALU_DEP_1)
	s_cmp_eq_u32 s12, 1
	v_cndmask_b32_e32 v34, v34, v16, vcc_lo
	s_cselect_b32 s0, -1, 0
	s_cmp_eq_u32 s12, 2
	v_cndmask_b32_e64 v35, v10, v11, s0
	s_cselect_b32 vcc_lo, -1, 0
	s_cmp_eq_u32 s12, 3
	s_delay_alu instid0(VALU_DEP_1) | instskip(SKIP_3) | instid1(VALU_DEP_2)
	v_cndmask_b32_e32 v35, v35, v12, vcc_lo
	s_cselect_b32 vcc_lo, -1, 0
	v_fmac_f32_e32 v17, v34, v39
	s_cmp_eq_u32 s12, 4
	v_cndmask_b32_e32 v34, v35, v13, vcc_lo
	s_cselect_b32 vcc_lo, -1, 0
	s_cmp_eq_u32 s12, 5
	s_delay_alu instid0(VALU_DEP_1) | instskip(SKIP_2) | instid1(VALU_DEP_1)
	v_cndmask_b32_e32 v34, v34, v14, vcc_lo
	s_cselect_b32 vcc_lo, -1, 0
	s_cmp_eq_u32 s12, 6
	v_cndmask_b32_e32 v34, v34, v15, vcc_lo
	s_cselect_b32 vcc_lo, -1, 0
	s_cmp_eq_u32 s2, 1
	s_cselect_b32 s0, -1, 0
	s_cmp_eq_u32 s2, 2
	v_cndmask_b32_e64 v35, v10, v11, s0
	s_cselect_b32 s0, -1, 0
	s_cmp_eq_u32 s2, 3
	v_cndmask_b32_e32 v34, v34, v16, vcc_lo
	s_cselect_b32 vcc_lo, -1, 0
	v_cndmask_b32_e64 v35, v35, v12, s0
	s_cmp_eq_u32 s2, 4
	s_wait_dscnt 0x0
	s_delay_alu instid0(VALU_DEP_1) | instskip(SKIP_2) | instid1(VALU_DEP_1)
	v_dual_fmac_f32 v17, v34, v40 :: v_dual_cndmask_b32 v35, v35, v13, vcc_lo
	s_cselect_b32 vcc_lo, -1, 0
	s_cmp_eq_u32 s2, 5
	v_cndmask_b32_e32 v35, v35, v14, vcc_lo
	s_cselect_b32 vcc_lo, -1, 0
	s_cmp_eq_u32 s2, 6
	s_add_nc_u64 s[2:3], s[2:3], 8
	s_delay_alu instid0(VALU_DEP_1) | instid1(SALU_CYCLE_1)
	v_dual_cndmask_b32 v35, v35, v15 :: v_dual_add_nc_u32 v36, s2, v32
	s_cselect_b32 vcc_lo, -1, 0
	s_add_co_i32 s0, s2, -7
	s_add_co_i32 s9, s9, 32
	s_delay_alu instid0(VALU_DEP_1) | instskip(SKIP_1) | instid1(VALU_DEP_2)
	v_cndmask_b32_e32 v35, v35, v16, vcc_lo
	v_cmp_eq_u32_e32 vcc_lo, 8, v36
	v_dual_mov_b32 v34, s0 :: v_dual_fmac_f32 v17, v35, v41
	s_or_b32 s8, vcc_lo, s8
	s_delay_alu instid0(SALU_CYCLE_1)
	s_and_not1_b32 exec_lo, exec_lo, s8
	s_cbranch_execnz .LBB70_73
; %bb.74:
	s_or_b32 exec_lo, exec_lo, s8
.LBB70_75:
	s_delay_alu instid0(SALU_CYCLE_1) | instskip(SKIP_3) | instid1(VALU_DEP_1)
	s_or_b32 exec_lo, exec_lo, s1
	v_and_b32_e32 v32, 7, v33
	s_mov_b32 s1, 0
	s_mov_b32 s0, exec_lo
	v_cmpx_ne_u32_e32 0, v32
	s_cbranch_execz .LBB70_79
; %bb.76:
	v_lshl_add_u32 v33, v34, 2, 32
	v_mov_b32_e32 v35, 0
.LBB70_77:                              ; =>This Inner Loop Header: Depth=1
	v_cmp_eq_u32_e32 vcc_lo, 1, v34
	ds_load_b32 v37, v33
	v_dual_add_nc_u32 v32, -1, v32 :: v_dual_add_nc_u32 v33, 4, v33
	v_cndmask_b32_e32 v36, v10, v11, vcc_lo
	v_cmp_eq_u32_e32 vcc_lo, 2, v34
	s_delay_alu instid0(VALU_DEP_2) | instskip(SKIP_1) | instid1(VALU_DEP_2)
	v_cndmask_b32_e32 v36, v36, v12, vcc_lo
	v_cmp_eq_u32_e32 vcc_lo, 3, v34
	v_cndmask_b32_e32 v36, v36, v13, vcc_lo
	v_cmp_eq_u32_e32 vcc_lo, 4, v34
	s_delay_alu instid0(VALU_DEP_2) | instskip(SKIP_1) | instid1(VALU_DEP_2)
	v_cndmask_b32_e32 v36, v36, v14, vcc_lo
	v_cmp_eq_u32_e32 vcc_lo, 5, v34
	v_cndmask_b32_e32 v36, v36, v15, vcc_lo
	v_cmp_eq_u32_e32 vcc_lo, 6, v34
	v_add_nc_u64_e32 v[34:35], 1, v[34:35]
	s_delay_alu instid0(VALU_DEP_3) | instskip(SKIP_2) | instid1(VALU_DEP_2)
	v_cndmask_b32_e32 v36, v36, v16, vcc_lo
	v_cmp_eq_u32_e32 vcc_lo, 0, v32
	s_wait_dscnt 0x0
	v_fmac_f32_e32 v17, v36, v37
	s_or_b32 s1, vcc_lo, s1
	s_delay_alu instid0(SALU_CYCLE_1)
	s_and_not1_b32 exec_lo, exec_lo, s1
	s_cbranch_execnz .LBB70_77
; %bb.78:
	s_or_b32 exec_lo, exec_lo, s1
.LBB70_79:
	s_delay_alu instid0(SALU_CYCLE_1)
	s_or_b32 exec_lo, exec_lo, s0
.LBB70_80:
	s_delay_alu instid0(SALU_CYCLE_1)
	s_or_b32 exec_lo, exec_lo, s6
	v_mov_b32_e32 v10, 0
	ds_load_b32 v10, v10
	s_wait_dscnt 0x0
	v_mul_f32_e32 v10, v17, v10
.LBB70_81:
	s_or_b32 exec_lo, exec_lo, s5
	s_delay_alu instid0(SALU_CYCLE_1)
	s_and_b32 vcc_lo, exec_lo, s4
	s_cbranch_vccz .LBB70_133
.LBB70_82:
	v_cmp_eq_u32_e64 s0, 0, v0
	s_wait_loadcnt_dscnt 0x506
	ds_store_b32 v9, v3
	s_wait_loadcnt_dscnt 0x0
	s_barrier_signal -1
	s_barrier_wait -1
	s_and_saveexec_b32 s1, s0
	s_cbranch_execz .LBB70_88
; %bb.83:
	s_and_b32 vcc_lo, exec_lo, s7
	s_cbranch_vccz .LBB70_85
; %bb.84:
	v_cmp_eq_u32_e32 vcc_lo, 1, v0
	ds_load_b32 v10, v9
	v_cndmask_b32_e32 v3, v2, v3, vcc_lo
	v_cmp_eq_u32_e32 vcc_lo, 2, v0
	s_delay_alu instid0(VALU_DEP_2) | instskip(SKIP_1) | instid1(VALU_DEP_2)
	v_cndmask_b32_e32 v3, v3, v4, vcc_lo
	v_cmp_eq_u32_e32 vcc_lo, 3, v0
	v_cndmask_b32_e32 v3, v3, v5, vcc_lo
	v_cmp_eq_u32_e32 vcc_lo, 4, v0
	s_delay_alu instid0(VALU_DEP_2) | instskip(SKIP_1) | instid1(VALU_DEP_2)
	v_cndmask_b32_e32 v3, v3, v6, vcc_lo
	v_cmp_eq_u32_e32 vcc_lo, 5, v0
	v_cndmask_b32_e32 v3, v3, v7, vcc_lo
	v_cmp_eq_u32_e32 vcc_lo, 6, v0
	s_delay_alu instid0(VALU_DEP_2) | instskip(SKIP_1) | instid1(VALU_DEP_1)
	v_cndmask_b32_e32 v3, v3, v8, vcc_lo
	s_wait_dscnt 0x0
	v_mul_f32_e32 v3, v3, v10
	s_cbranch_execz .LBB70_86
	s_branch .LBB70_87
.LBB70_85:
                                        ; implicit-def: $vgpr3
.LBB70_86:
	ds_load_b32 v3, v9
.LBB70_87:
	v_mov_b32_e32 v10, 0
	ds_load_b32 v10, v10 offset:4
	s_wait_dscnt 0x0
	v_mul_f32_e32 v3, v3, v10
.LBB70_88:
	s_or_b32 exec_lo, exec_lo, s1
	v_cndmask_b32_e64 v12, 0, 1, s7
	s_mov_b32 s1, exec_lo
	ds_store_b32 v9, v4
	s_wait_dscnt 0x0
	s_barrier_signal -1
	s_barrier_wait -1
	v_cmpx_gt_u32_e32 2, v0
	s_cbranch_execz .LBB70_94
; %bb.89:
	s_and_not1_b32 vcc_lo, exec_lo, s7
	s_cbranch_vccnz .LBB70_91
; %bb.90:
	v_cmp_eq_u32_e32 vcc_lo, 1, v0
	v_cndmask_b32_e32 v10, v2, v3, vcc_lo
	v_cmp_eq_u32_e32 vcc_lo, 2, v0
	s_delay_alu instid0(VALU_DEP_2) | instskip(SKIP_4) | instid1(VALU_DEP_2)
	v_cndmask_b32_e32 v4, v10, v4, vcc_lo
	v_cmp_eq_u32_e32 vcc_lo, 3, v0
	ds_load_b32 v10, v9
	v_cndmask_b32_e32 v4, v4, v5, vcc_lo
	v_cmp_eq_u32_e32 vcc_lo, 4, v0
	v_cndmask_b32_e32 v4, v4, v6, vcc_lo
	v_cmp_eq_u32_e32 vcc_lo, 5, v0
	s_delay_alu instid0(VALU_DEP_2) | instskip(SKIP_1) | instid1(VALU_DEP_2)
	v_cndmask_b32_e32 v4, v4, v7, vcc_lo
	v_cmp_eq_u32_e32 vcc_lo, 6, v0
	v_cndmask_b32_e32 v4, v4, v8, vcc_lo
	s_wait_dscnt 0x0
	s_delay_alu instid0(VALU_DEP_1)
	v_mul_f32_e32 v4, v4, v10
	s_cbranch_execz .LBB70_92
	s_branch .LBB70_93
.LBB70_91:
                                        ; implicit-def: $vgpr4
.LBB70_92:
	ds_load_b32 v4, v9
.LBB70_93:
	v_mov_b32_e32 v10, 0
	ds_load_2addr_b32 v[10:11], v10 offset0:2 offset1:9
	s_wait_dscnt 0x0
	v_fma_f32 v11, v3, v11, v4
	s_delay_alu instid0(VALU_DEP_1) | instskip(NEXT) | instid1(VALU_DEP_1)
	v_cndmask_b32_e64 v4, v4, v11, s0
	v_mul_f32_e32 v4, v4, v10
.LBB70_94:
	s_or_b32 exec_lo, exec_lo, s1
	s_delay_alu instid0(SALU_CYCLE_1)
	s_mov_b32 s1, exec_lo
	ds_store_b32 v9, v5
	s_wait_dscnt 0x0
	s_barrier_signal -1
	s_barrier_wait -1
	v_cmpx_gt_u32_e32 3, v0
	s_cbranch_execz .LBB70_102
; %bb.95:
	v_cmp_ne_u32_e32 vcc_lo, 1, v12
	s_cbranch_vccnz .LBB70_97
; %bb.96:
	v_cmp_eq_u32_e32 vcc_lo, 1, v0
	ds_load_b32 v11, v9
	v_cndmask_b32_e32 v10, v2, v3, vcc_lo
	v_cmp_eq_u32_e32 vcc_lo, 2, v0
	s_delay_alu instid0(VALU_DEP_2) | instskip(SKIP_1) | instid1(VALU_DEP_2)
	v_cndmask_b32_e32 v10, v10, v4, vcc_lo
	v_cmp_eq_u32_e32 vcc_lo, 3, v0
	v_cndmask_b32_e32 v10, v10, v5, vcc_lo
	v_cmp_eq_u32_e32 vcc_lo, 4, v0
	s_delay_alu instid0(VALU_DEP_2) | instskip(SKIP_1) | instid1(VALU_DEP_2)
	v_cndmask_b32_e32 v10, v10, v6, vcc_lo
	v_cmp_eq_u32_e32 vcc_lo, 5, v0
	v_cndmask_b32_e32 v10, v10, v7, vcc_lo
	v_cmp_eq_u32_e32 vcc_lo, 6, v0
	s_delay_alu instid0(VALU_DEP_2) | instskip(SKIP_1) | instid1(VALU_DEP_1)
	v_cndmask_b32_e32 v10, v10, v8, vcc_lo
	s_wait_dscnt 0x0
	v_mul_f32_e32 v10, v10, v11
	s_cbranch_execz .LBB70_98
	s_branch .LBB70_99
.LBB70_97:
                                        ; implicit-def: $vgpr10
.LBB70_98:
	ds_load_b32 v10, v9
.LBB70_99:
	s_mov_b32 s2, exec_lo
	v_cmpx_ne_u32_e32 2, v0
	s_cbranch_execz .LBB70_101
; %bb.100:
	v_add_nc_u32_e32 v11, 1, v0
	ds_load_b32 v14, v9 offset:4
	v_cmp_eq_u32_e32 vcc_lo, 1, v11
	v_cndmask_b32_e32 v13, v2, v3, vcc_lo
	v_cmp_eq_u32_e32 vcc_lo, 2, v11
	s_delay_alu instid0(VALU_DEP_2) | instskip(SKIP_1) | instid1(VALU_DEP_2)
	v_cndmask_b32_e32 v13, v13, v4, vcc_lo
	v_cmp_eq_u32_e32 vcc_lo, 3, v11
	v_dual_cndmask_b32 v5, v13, v5, vcc_lo :: v_dual_mov_b32 v13, 0
	v_cmp_eq_u32_e32 vcc_lo, 4, v11
	ds_load_b32 v13, v13 offset:40
	v_cndmask_b32_e32 v5, v5, v6, vcc_lo
	v_cmp_eq_u32_e32 vcc_lo, 5, v11
	s_delay_alu instid0(VALU_DEP_2) | instskip(SKIP_1) | instid1(VALU_DEP_2)
	v_cndmask_b32_e32 v5, v5, v7, vcc_lo
	v_cmp_eq_u32_e32 vcc_lo, 6, v11
	v_cndmask_b32_e32 v5, v5, v8, vcc_lo
	s_wait_dscnt 0x1
	s_delay_alu instid0(VALU_DEP_1) | instskip(SKIP_1) | instid1(VALU_DEP_1)
	v_fmac_f32_e32 v10, v5, v14
	s_wait_dscnt 0x0
	v_fma_f32 v5, v4, v13, v10
	s_delay_alu instid0(VALU_DEP_1)
	v_cndmask_b32_e64 v10, v10, v5, s0
.LBB70_101:
	s_or_b32 exec_lo, exec_lo, s2
	v_mov_b32_e32 v5, 0
	ds_load_b32 v5, v5 offset:12
	s_wait_dscnt 0x0
	v_mul_f32_e32 v5, v10, v5
.LBB70_102:
	s_or_b32 exec_lo, exec_lo, s1
	s_delay_alu instid0(SALU_CYCLE_1)
	s_mov_b32 s0, exec_lo
	ds_store_b32 v9, v6
	s_wait_dscnt 0x0
	s_barrier_signal -1
	s_barrier_wait -1
	v_cmpx_gt_u32_e32 4, v0
	s_cbranch_execz .LBB70_112
; %bb.103:
	v_cmp_ne_u32_e32 vcc_lo, 1, v12
	s_cbranch_vccnz .LBB70_105
; %bb.104:
	v_cmp_eq_u32_e32 vcc_lo, 1, v0
	ds_load_b32 v11, v9
	v_cndmask_b32_e32 v10, v2, v3, vcc_lo
	v_cmp_eq_u32_e32 vcc_lo, 2, v0
	s_delay_alu instid0(VALU_DEP_2) | instskip(SKIP_1) | instid1(VALU_DEP_2)
	v_cndmask_b32_e32 v10, v10, v4, vcc_lo
	v_cmp_eq_u32_e32 vcc_lo, 3, v0
	v_cndmask_b32_e32 v10, v10, v5, vcc_lo
	v_cmp_eq_u32_e32 vcc_lo, 4, v0
	s_delay_alu instid0(VALU_DEP_2) | instskip(SKIP_1) | instid1(VALU_DEP_2)
	v_cndmask_b32_e32 v10, v10, v6, vcc_lo
	v_cmp_eq_u32_e32 vcc_lo, 5, v0
	v_cndmask_b32_e32 v10, v10, v7, vcc_lo
	v_cmp_eq_u32_e32 vcc_lo, 6, v0
	s_delay_alu instid0(VALU_DEP_2) | instskip(SKIP_1) | instid1(VALU_DEP_1)
	v_cndmask_b32_e32 v10, v10, v8, vcc_lo
	s_wait_dscnt 0x0
	v_mul_f32_e32 v13, v10, v11
	s_cbranch_execz .LBB70_106
	s_branch .LBB70_107
.LBB70_105:
                                        ; implicit-def: $vgpr13
.LBB70_106:
	ds_load_b32 v13, v9
.LBB70_107:
	s_mov_b32 s1, exec_lo
	v_cmpx_ne_u32_e32 3, v0
	s_cbranch_execz .LBB70_111
; %bb.108:
	v_mov_b64_e32 v[10:11], v[0:1]
	v_lshl_add_u32 v14, v0, 2, 36
	s_mov_b32 s2, 0
.LBB70_109:                             ; =>This Inner Loop Header: Depth=1
	s_delay_alu instid0(VALU_DEP_2)
	v_add_nc_u64_e32 v[10:11], 1, v[10:11]
	ds_load_b32 v16, v14
	v_add_nc_u32_e32 v14, 4, v14
	v_cmp_eq_u32_e32 vcc_lo, 1, v10
	v_cndmask_b32_e32 v15, v2, v3, vcc_lo
	v_cmp_eq_u32_e32 vcc_lo, 2, v10
	s_delay_alu instid0(VALU_DEP_2) | instskip(SKIP_1) | instid1(VALU_DEP_2)
	v_cndmask_b32_e32 v15, v15, v4, vcc_lo
	v_cmp_eq_u32_e32 vcc_lo, 3, v10
	v_cndmask_b32_e32 v15, v15, v5, vcc_lo
	v_cmp_eq_u32_e32 vcc_lo, 4, v10
	s_delay_alu instid0(VALU_DEP_2) | instskip(SKIP_1) | instid1(VALU_DEP_2)
	v_cndmask_b32_e32 v15, v15, v6, vcc_lo
	v_cmp_eq_u32_e32 vcc_lo, 5, v10
	v_cndmask_b32_e32 v15, v15, v7, vcc_lo
	v_cmp_eq_u32_e32 vcc_lo, 6, v10
	s_delay_alu instid0(VALU_DEP_2) | instskip(SKIP_2) | instid1(VALU_DEP_2)
	v_cndmask_b32_e32 v15, v15, v8, vcc_lo
	v_cmp_lt_u32_e32 vcc_lo, 2, v10
	s_wait_dscnt 0x0
	v_fmac_f32_e32 v13, v15, v16
	s_or_b32 s2, vcc_lo, s2
	s_delay_alu instid0(SALU_CYCLE_1)
	s_and_not1_b32 exec_lo, exec_lo, s2
	s_cbranch_execnz .LBB70_109
; %bb.110:
	s_or_b32 exec_lo, exec_lo, s2
.LBB70_111:
	s_delay_alu instid0(SALU_CYCLE_1)
	s_or_b32 exec_lo, exec_lo, s1
	v_mov_b32_e32 v6, 0
	ds_load_b32 v6, v6 offset:16
	s_wait_dscnt 0x0
	v_mul_f32_e32 v6, v13, v6
.LBB70_112:
	s_or_b32 exec_lo, exec_lo, s0
	v_cmp_gt_u32_e64 s0, 5, v0
	ds_store_b32 v9, v7
	s_wait_dscnt 0x0
	s_barrier_signal -1
	s_barrier_wait -1
	s_and_saveexec_b32 s1, s0
	s_cbranch_execz .LBB70_122
; %bb.113:
	v_cmp_ne_u32_e32 vcc_lo, 1, v12
	s_cbranch_vccnz .LBB70_115
; %bb.114:
	v_cmp_eq_u32_e32 vcc_lo, 1, v0
	ds_load_b32 v11, v9
	v_cndmask_b32_e32 v10, v2, v3, vcc_lo
	v_cmp_eq_u32_e32 vcc_lo, 2, v0
	s_delay_alu instid0(VALU_DEP_2) | instskip(SKIP_1) | instid1(VALU_DEP_2)
	v_cndmask_b32_e32 v10, v10, v4, vcc_lo
	v_cmp_eq_u32_e32 vcc_lo, 3, v0
	v_cndmask_b32_e32 v10, v10, v5, vcc_lo
	v_cmp_eq_u32_e32 vcc_lo, 4, v0
	s_delay_alu instid0(VALU_DEP_2) | instskip(SKIP_1) | instid1(VALU_DEP_2)
	v_cndmask_b32_e32 v10, v10, v6, vcc_lo
	v_cmp_eq_u32_e32 vcc_lo, 5, v0
	v_cndmask_b32_e32 v10, v10, v7, vcc_lo
	v_cmp_eq_u32_e32 vcc_lo, 6, v0
	s_delay_alu instid0(VALU_DEP_2) | instskip(SKIP_1) | instid1(VALU_DEP_1)
	v_cndmask_b32_e32 v10, v10, v8, vcc_lo
	s_wait_dscnt 0x0
	v_mul_f32_e32 v13, v10, v11
	s_cbranch_execz .LBB70_116
	s_branch .LBB70_117
.LBB70_115:
                                        ; implicit-def: $vgpr13
.LBB70_116:
	ds_load_b32 v13, v9
.LBB70_117:
	s_mov_b32 s2, exec_lo
	v_cmpx_ne_u32_e32 4, v0
	s_cbranch_execz .LBB70_121
; %bb.118:
	v_mov_b64_e32 v[10:11], v[0:1]
	v_lshl_add_u32 v14, v0, 2, 36
	s_mov_b32 s3, 0
.LBB70_119:                             ; =>This Inner Loop Header: Depth=1
	s_delay_alu instid0(VALU_DEP_2)
	v_add_nc_u64_e32 v[10:11], 1, v[10:11]
	ds_load_b32 v16, v14
	v_add_nc_u32_e32 v14, 4, v14
	v_cmp_eq_u32_e32 vcc_lo, 1, v10
	v_cndmask_b32_e32 v15, v2, v3, vcc_lo
	v_cmp_eq_u32_e32 vcc_lo, 2, v10
	s_delay_alu instid0(VALU_DEP_2) | instskip(SKIP_1) | instid1(VALU_DEP_2)
	v_cndmask_b32_e32 v15, v15, v4, vcc_lo
	v_cmp_eq_u32_e32 vcc_lo, 3, v10
	v_cndmask_b32_e32 v15, v15, v5, vcc_lo
	v_cmp_eq_u32_e32 vcc_lo, 4, v10
	s_delay_alu instid0(VALU_DEP_2) | instskip(SKIP_1) | instid1(VALU_DEP_2)
	v_cndmask_b32_e32 v15, v15, v6, vcc_lo
	v_cmp_eq_u32_e32 vcc_lo, 5, v10
	v_cndmask_b32_e32 v15, v15, v7, vcc_lo
	v_cmp_eq_u32_e32 vcc_lo, 6, v10
	s_delay_alu instid0(VALU_DEP_2) | instskip(SKIP_2) | instid1(VALU_DEP_2)
	v_cndmask_b32_e32 v15, v15, v8, vcc_lo
	v_cmp_lt_u32_e32 vcc_lo, 3, v10
	s_wait_dscnt 0x0
	v_fmac_f32_e32 v13, v15, v16
	s_or_b32 s3, vcc_lo, s3
	s_delay_alu instid0(SALU_CYCLE_1)
	s_and_not1_b32 exec_lo, exec_lo, s3
	s_cbranch_execnz .LBB70_119
; %bb.120:
	s_or_b32 exec_lo, exec_lo, s3
.LBB70_121:
	s_delay_alu instid0(SALU_CYCLE_1)
	s_or_b32 exec_lo, exec_lo, s2
	v_mov_b32_e32 v7, 0
	ds_load_b32 v7, v7 offset:20
	s_wait_dscnt 0x0
	v_mul_f32_e32 v7, v13, v7
.LBB70_122:
	s_or_b32 exec_lo, exec_lo, s1
	s_delay_alu instid0(SALU_CYCLE_1)
	s_mov_b32 s1, exec_lo
	ds_store_b32 v9, v8
	s_wait_dscnt 0x0
	s_barrier_signal -1
	s_barrier_wait -1
	v_cmpx_ne_u32_e32 6, v0
	s_cbranch_execz .LBB70_132
; %bb.123:
	v_cmp_ne_u32_e32 vcc_lo, 1, v12
	s_cbranch_vccnz .LBB70_125
; %bb.124:
	v_cmp_eq_u32_e32 vcc_lo, 1, v0
	ds_load_b32 v11, v9
	v_cndmask_b32_e32 v10, v2, v3, vcc_lo
	v_cmp_eq_u32_e32 vcc_lo, 2, v0
	s_delay_alu instid0(VALU_DEP_2) | instskip(SKIP_1) | instid1(VALU_DEP_2)
	v_cndmask_b32_e32 v10, v10, v4, vcc_lo
	v_cmp_eq_u32_e32 vcc_lo, 3, v0
	v_cndmask_b32_e32 v10, v10, v5, vcc_lo
	v_cmp_eq_u32_e32 vcc_lo, 4, v0
	s_delay_alu instid0(VALU_DEP_2) | instskip(SKIP_1) | instid1(VALU_DEP_2)
	v_cndmask_b32_e32 v10, v10, v6, vcc_lo
	v_cmp_eq_u32_e32 vcc_lo, 5, v0
	v_cndmask_b32_e32 v10, v10, v7, vcc_lo
	v_cmp_eq_u32_e32 vcc_lo, 6, v0
	s_delay_alu instid0(VALU_DEP_2) | instskip(SKIP_1) | instid1(VALU_DEP_1)
	v_cndmask_b32_e32 v10, v10, v8, vcc_lo
	s_wait_dscnt 0x0
	v_mul_f32_e32 v10, v10, v11
	s_cbranch_execz .LBB70_126
	s_branch .LBB70_127
.LBB70_125:
                                        ; implicit-def: $vgpr10
.LBB70_126:
	ds_load_b32 v10, v9
.LBB70_127:
	s_and_saveexec_b32 s2, s0
	s_cbranch_execz .LBB70_131
; %bb.128:
	v_lshl_add_u32 v9, v0, 2, 36
	s_mov_b32 s0, 0
.LBB70_129:                             ; =>This Inner Loop Header: Depth=1
	v_add_nc_u64_e32 v[0:1], 1, v[0:1]
	ds_load_b32 v12, v9
	v_add_nc_u32_e32 v9, 4, v9
	v_cmp_eq_u32_e32 vcc_lo, 1, v0
	v_cndmask_b32_e32 v11, v2, v3, vcc_lo
	v_cmp_eq_u32_e32 vcc_lo, 2, v0
	s_delay_alu instid0(VALU_DEP_2) | instskip(SKIP_1) | instid1(VALU_DEP_2)
	v_cndmask_b32_e32 v11, v11, v4, vcc_lo
	v_cmp_eq_u32_e32 vcc_lo, 3, v0
	v_cndmask_b32_e32 v11, v11, v5, vcc_lo
	v_cmp_eq_u32_e32 vcc_lo, 4, v0
	s_delay_alu instid0(VALU_DEP_2) | instskip(SKIP_1) | instid1(VALU_DEP_2)
	v_cndmask_b32_e32 v11, v11, v6, vcc_lo
	v_cmp_eq_u32_e32 vcc_lo, 5, v0
	v_cndmask_b32_e32 v11, v11, v7, vcc_lo
	v_cmp_eq_u32_e32 vcc_lo, 6, v0
	s_delay_alu instid0(VALU_DEP_2) | instskip(SKIP_2) | instid1(VALU_DEP_2)
	v_cndmask_b32_e32 v11, v11, v8, vcc_lo
	v_cmp_lt_u32_e32 vcc_lo, 4, v0
	s_wait_dscnt 0x0
	v_fmac_f32_e32 v10, v11, v12
	s_or_b32 s0, vcc_lo, s0
	s_delay_alu instid0(SALU_CYCLE_1)
	s_and_not1_b32 exec_lo, exec_lo, s0
	s_cbranch_execnz .LBB70_129
; %bb.130:
	s_or_b32 exec_lo, exec_lo, s0
.LBB70_131:
	s_delay_alu instid0(SALU_CYCLE_1)
	s_or_b32 exec_lo, exec_lo, s2
	v_mov_b32_e32 v0, 0
	ds_load_b32 v0, v0 offset:24
	s_wait_dscnt 0x0
	v_mul_f32_e32 v8, v10, v0
.LBB70_132:
	s_or_b32 exec_lo, exec_lo, s1
	s_delay_alu instid0(VALU_DEP_1)
	v_dual_mov_b32 v16, v8 :: v_dual_mov_b32 v15, v7
	v_dual_mov_b32 v14, v6 :: v_dual_mov_b32 v13, v5
	;; [unrolled: 1-line block ×3, first 2 shown]
	v_mov_b32_e32 v10, v2
.LBB70_133:
	s_wait_xcnt 0x6
	v_lshl_add_u64 v[0:1], v[18:19], 2, s[10:11]
	s_wait_loadcnt_dscnt 0x506
	v_lshl_add_u64 v[2:3], v[22:23], 2, s[10:11]
	s_wait_loadcnt_dscnt 0x304
	;; [unrolled: 2-line block ×4, first 2 shown]
	v_lshl_add_u64 v[8:9], v[30:31], 2, s[10:11]
	s_clause 0x6
	flat_store_b32 v[20:21], v10
	flat_store_b32 v[24:25], v11
	;; [unrolled: 1-line block ×7, first 2 shown]
.LBB70_134:
	s_endpgm
	.section	.rodata,"a",@progbits
	.p2align	6, 0x0
	.amdhsa_kernel _ZN9rocsolver6v33100L18trti2_kernel_smallILi7EfPKPfEEv13rocblas_fill_17rocblas_diagonal_T1_iil
		.amdhsa_group_segment_fixed_size 60
		.amdhsa_private_segment_fixed_size 0
		.amdhsa_kernarg_size 32
		.amdhsa_user_sgpr_count 2
		.amdhsa_user_sgpr_dispatch_ptr 0
		.amdhsa_user_sgpr_queue_ptr 0
		.amdhsa_user_sgpr_kernarg_segment_ptr 1
		.amdhsa_user_sgpr_dispatch_id 0
		.amdhsa_user_sgpr_kernarg_preload_length 0
		.amdhsa_user_sgpr_kernarg_preload_offset 0
		.amdhsa_user_sgpr_private_segment_size 0
		.amdhsa_wavefront_size32 1
		.amdhsa_uses_dynamic_stack 0
		.amdhsa_enable_private_segment 0
		.amdhsa_system_sgpr_workgroup_id_x 1
		.amdhsa_system_sgpr_workgroup_id_y 0
		.amdhsa_system_sgpr_workgroup_id_z 0
		.amdhsa_system_sgpr_workgroup_info 0
		.amdhsa_system_vgpr_workitem_id 0
		.amdhsa_next_free_vgpr 44
		.amdhsa_next_free_sgpr 13
		.amdhsa_named_barrier_count 0
		.amdhsa_reserve_vcc 1
		.amdhsa_float_round_mode_32 0
		.amdhsa_float_round_mode_16_64 0
		.amdhsa_float_denorm_mode_32 3
		.amdhsa_float_denorm_mode_16_64 3
		.amdhsa_fp16_overflow 0
		.amdhsa_memory_ordered 1
		.amdhsa_forward_progress 1
		.amdhsa_inst_pref_size 62
		.amdhsa_round_robin_scheduling 0
		.amdhsa_exception_fp_ieee_invalid_op 0
		.amdhsa_exception_fp_denorm_src 0
		.amdhsa_exception_fp_ieee_div_zero 0
		.amdhsa_exception_fp_ieee_overflow 0
		.amdhsa_exception_fp_ieee_underflow 0
		.amdhsa_exception_fp_ieee_inexact 0
		.amdhsa_exception_int_div_zero 0
	.end_amdhsa_kernel
	.section	.text._ZN9rocsolver6v33100L18trti2_kernel_smallILi7EfPKPfEEv13rocblas_fill_17rocblas_diagonal_T1_iil,"axG",@progbits,_ZN9rocsolver6v33100L18trti2_kernel_smallILi7EfPKPfEEv13rocblas_fill_17rocblas_diagonal_T1_iil,comdat
.Lfunc_end70:
	.size	_ZN9rocsolver6v33100L18trti2_kernel_smallILi7EfPKPfEEv13rocblas_fill_17rocblas_diagonal_T1_iil, .Lfunc_end70-_ZN9rocsolver6v33100L18trti2_kernel_smallILi7EfPKPfEEv13rocblas_fill_17rocblas_diagonal_T1_iil
                                        ; -- End function
	.set _ZN9rocsolver6v33100L18trti2_kernel_smallILi7EfPKPfEEv13rocblas_fill_17rocblas_diagonal_T1_iil.num_vgpr, 44
	.set _ZN9rocsolver6v33100L18trti2_kernel_smallILi7EfPKPfEEv13rocblas_fill_17rocblas_diagonal_T1_iil.num_agpr, 0
	.set _ZN9rocsolver6v33100L18trti2_kernel_smallILi7EfPKPfEEv13rocblas_fill_17rocblas_diagonal_T1_iil.numbered_sgpr, 13
	.set _ZN9rocsolver6v33100L18trti2_kernel_smallILi7EfPKPfEEv13rocblas_fill_17rocblas_diagonal_T1_iil.num_named_barrier, 0
	.set _ZN9rocsolver6v33100L18trti2_kernel_smallILi7EfPKPfEEv13rocblas_fill_17rocblas_diagonal_T1_iil.private_seg_size, 0
	.set _ZN9rocsolver6v33100L18trti2_kernel_smallILi7EfPKPfEEv13rocblas_fill_17rocblas_diagonal_T1_iil.uses_vcc, 1
	.set _ZN9rocsolver6v33100L18trti2_kernel_smallILi7EfPKPfEEv13rocblas_fill_17rocblas_diagonal_T1_iil.uses_flat_scratch, 1
	.set _ZN9rocsolver6v33100L18trti2_kernel_smallILi7EfPKPfEEv13rocblas_fill_17rocblas_diagonal_T1_iil.has_dyn_sized_stack, 0
	.set _ZN9rocsolver6v33100L18trti2_kernel_smallILi7EfPKPfEEv13rocblas_fill_17rocblas_diagonal_T1_iil.has_recursion, 0
	.set _ZN9rocsolver6v33100L18trti2_kernel_smallILi7EfPKPfEEv13rocblas_fill_17rocblas_diagonal_T1_iil.has_indirect_call, 0
	.section	.AMDGPU.csdata,"",@progbits
; Kernel info:
; codeLenInByte = 7844
; TotalNumSgprs: 15
; NumVgprs: 44
; ScratchSize: 0
; MemoryBound: 0
; FloatMode: 240
; IeeeMode: 1
; LDSByteSize: 60 bytes/workgroup (compile time only)
; SGPRBlocks: 0
; VGPRBlocks: 2
; NumSGPRsForWavesPerEU: 15
; NumVGPRsForWavesPerEU: 44
; NamedBarCnt: 0
; Occupancy: 16
; WaveLimiterHint : 1
; COMPUTE_PGM_RSRC2:SCRATCH_EN: 0
; COMPUTE_PGM_RSRC2:USER_SGPR: 2
; COMPUTE_PGM_RSRC2:TRAP_HANDLER: 0
; COMPUTE_PGM_RSRC2:TGID_X_EN: 1
; COMPUTE_PGM_RSRC2:TGID_Y_EN: 0
; COMPUTE_PGM_RSRC2:TGID_Z_EN: 0
; COMPUTE_PGM_RSRC2:TIDIG_COMP_CNT: 0
	.section	.text._ZN9rocsolver6v33100L18trti2_kernel_smallILi8EfPKPfEEv13rocblas_fill_17rocblas_diagonal_T1_iil,"axG",@progbits,_ZN9rocsolver6v33100L18trti2_kernel_smallILi8EfPKPfEEv13rocblas_fill_17rocblas_diagonal_T1_iil,comdat
	.globl	_ZN9rocsolver6v33100L18trti2_kernel_smallILi8EfPKPfEEv13rocblas_fill_17rocblas_diagonal_T1_iil ; -- Begin function _ZN9rocsolver6v33100L18trti2_kernel_smallILi8EfPKPfEEv13rocblas_fill_17rocblas_diagonal_T1_iil
	.p2align	8
	.type	_ZN9rocsolver6v33100L18trti2_kernel_smallILi8EfPKPfEEv13rocblas_fill_17rocblas_diagonal_T1_iil,@function
_ZN9rocsolver6v33100L18trti2_kernel_smallILi8EfPKPfEEv13rocblas_fill_17rocblas_diagonal_T1_iil: ; @_ZN9rocsolver6v33100L18trti2_kernel_smallILi8EfPKPfEEv13rocblas_fill_17rocblas_diagonal_T1_iil
; %bb.0:
	s_mov_b32 s2, exec_lo
	v_cmpx_gt_u32_e32 8, v0
	s_cbranch_execz .LBB71_160
; %bb.1:
	s_clause 0x1
	s_load_b64 s[2:3], s[0:1], 0x10
	s_load_b128 s[8:11], s[0:1], 0x0
	s_wait_xcnt 0x0
	s_bfe_u32 s0, ttmp6, 0x4000c
	s_and_b32 s1, ttmp6, 15
	s_add_co_i32 s0, s0, 1
	s_getreg_b32 s4, hwreg(HW_REG_IB_STS2, 6, 4)
	s_mul_i32 s0, ttmp9, s0
	v_mov_b32_e32 v1, 0
	s_add_co_i32 s0, s1, s0
	s_delay_alu instid0(VALU_DEP_1)
	v_dual_mov_b32 v11, v1 :: v_dual_lshlrev_b32 v10, 2, v0
	s_wait_kmcnt 0x0
	s_ashr_i32 s1, s2, 31
	s_cmp_eq_u32 s4, 0
	v_add3_u32 v18, s3, s3, v0
	s_cselect_b32 s4, ttmp9, s0
	s_mov_b32 s0, s2
	s_ashr_i32 s5, s4, 31
	s_lshl_b64 s[0:1], s[0:1], 2
	s_lshl_b64 s[4:5], s[4:5], 3
	v_add_nc_u32_e32 v20, s3, v18
	s_add_nc_u64 s[4:5], s[10:11], s[4:5]
	s_load_b64 s[4:5], s[4:5], 0x0
	s_delay_alu instid0(VALU_DEP_1) | instskip(NEXT) | instid1(VALU_DEP_1)
	v_add_nc_u32_e32 v24, s3, v20
	v_add_nc_u32_e32 v28, s3, v24
	s_wait_kmcnt 0x0
	s_add_nc_u64 s[10:11], s[4:5], s[0:1]
	s_mov_b32 s0, s3
	v_add_nc_u64_e32 v[22:23], s[10:11], v[10:11]
	s_ashr_i32 s1, s3, 31
	v_dual_mov_b32 v11, -1.0 :: v_dual_add_nc_u32 v30, s3, v28
	s_cmp_lg_u32 s9, 0x84
	s_cselect_b32 s12, -1, 0
	s_delay_alu instid0(VALU_DEP_2) | instskip(NEXT) | instid1(VALU_DEP_2)
	v_lshl_add_u64 v[26:27], s[0:1], 2, v[22:23]
	v_add_nc_u32_e32 v32, s3, v30
	v_cmp_eq_u32_e64 s0, 0, v0
	s_cmp_eq_u32 s9, 0x84
	s_clause 0x7
	flat_load_b32 v2, v0, s[10:11] scale_offset
	flat_load_b32 v3, v[26:27]
	flat_load_b32 v4, v18, s[10:11] scale_offset
	flat_load_b32 v5, v20, s[10:11] scale_offset
	;; [unrolled: 1-line block ×6, first 2 shown]
	s_cbranch_scc1 .LBB71_3
; %bb.2:
	v_cmp_eq_u32_e64 s1, 1, v0
	v_cmp_eq_u32_e64 s2, 2, v0
	;; [unrolled: 1-line block ×5, first 2 shown]
	s_wait_loadcnt_dscnt 0x606
	v_cndmask_b32_e64 v11, v2, v3, s1
	v_cmp_eq_u32_e64 s6, 6, v0
	v_cmp_eq_u32_e64 s7, 7, v0
	s_wait_loadcnt_dscnt 0x505
	s_delay_alu instid0(VALU_DEP_3) | instskip(SKIP_1) | instid1(VALU_DEP_1)
	v_cndmask_b32_e64 v11, v11, v4, s2
	s_wait_loadcnt_dscnt 0x404
	v_cndmask_b32_e64 v11, v11, v5, s3
	s_wait_loadcnt_dscnt 0x303
	s_delay_alu instid0(VALU_DEP_1) | instskip(SKIP_1) | instid1(VALU_DEP_1)
	v_cndmask_b32_e64 v11, v11, v6, s4
	s_wait_loadcnt_dscnt 0x202
	v_cndmask_b32_e64 v11, v11, v7, s5
	s_wait_loadcnt_dscnt 0x101
	s_delay_alu instid0(VALU_DEP_1) | instskip(SKIP_1) | instid1(VALU_DEP_1)
	v_cndmask_b32_e64 v11, v11, v8, s6
	s_wait_loadcnt_dscnt 0x0
	v_cndmask_b32_e64 v11, v11, v9, s7
	s_delay_alu instid0(VALU_DEP_1) | instskip(SKIP_1) | instid1(VALU_DEP_2)
	v_div_scale_f32 v12, null, v11, v11, 1.0
	v_div_scale_f32 v15, vcc_lo, 1.0, v11, 1.0
	v_rcp_f32_e32 v13, v12
	v_nop
	s_delay_alu instid0(TRANS32_DEP_1) | instskip(NEXT) | instid1(VALU_DEP_1)
	v_fma_f32 v14, -v12, v13, 1.0
	v_fmac_f32_e32 v13, v14, v13
	s_delay_alu instid0(VALU_DEP_1) | instskip(NEXT) | instid1(VALU_DEP_1)
	v_mul_f32_e32 v14, v15, v13
	v_fma_f32 v16, -v12, v14, v15
	s_delay_alu instid0(VALU_DEP_1) | instskip(NEXT) | instid1(VALU_DEP_1)
	v_fmac_f32_e32 v14, v16, v13
	v_fma_f32 v12, -v12, v14, v15
	s_delay_alu instid0(VALU_DEP_1) | instskip(NEXT) | instid1(VALU_DEP_1)
	v_div_fmas_f32 v12, v12, v13, v14
	v_div_fixup_f32 v11, v12, v11, 1.0
	s_delay_alu instid0(VALU_DEP_1)
	v_dual_cndmask_b32 v9, v9, v11, s7 :: v_dual_cndmask_b32 v8, v8, v11, s6
	v_dual_cndmask_b32 v7, v7, v11, s5 :: v_dual_cndmask_b32 v6, v6, v11, s4
	;; [unrolled: 1-line block ×4, first 2 shown]
	v_xor_b32_e32 v11, 0x80000000, v11
.LBB71_3:
	v_dual_ashrrev_i32 v19, 31, v18 :: v_dual_ashrrev_i32 v21, 31, v20
	v_dual_ashrrev_i32 v25, 31, v24 :: v_dual_ashrrev_i32 v31, 31, v30
	v_dual_ashrrev_i32 v29, 31, v28 :: v_dual_add_nc_u32 v37, 32, v10
	v_ashrrev_i32_e32 v33, 31, v32
	s_cmp_eq_u32 s8, 0x79
	ds_store_b32 v10, v11
	s_cbranch_scc1 .LBB71_7
; %bb.4:
	s_wait_loadcnt_dscnt 0x1
	v_mov_b64_e32 v[16:17], v[8:9]
	v_mov_b64_e32 v[14:15], v[6:7]
	;; [unrolled: 1-line block ×4, first 2 shown]
	v_cmp_eq_u32_e64 s0, 7, v0
	ds_store_b32 v37, v8
	s_wait_dscnt 0x0
	s_barrier_signal -1
	s_barrier_wait -1
	s_and_saveexec_b32 s1, s0
	s_cbranch_execz .LBB71_11
; %bb.5:
	s_and_b32 vcc_lo, exec_lo, s12
	s_cbranch_vccz .LBB71_8
; %bb.6:
	v_cmp_eq_u32_e32 vcc_lo, 1, v0
	ds_load_b32 v11, v37
	v_cndmask_b32_e32 v10, v2, v3, vcc_lo
	v_cmp_eq_u32_e32 vcc_lo, 2, v0
	s_delay_alu instid0(VALU_DEP_2) | instskip(SKIP_1) | instid1(VALU_DEP_2)
	v_cndmask_b32_e32 v10, v10, v4, vcc_lo
	v_cmp_eq_u32_e32 vcc_lo, 3, v0
	v_cndmask_b32_e32 v10, v10, v5, vcc_lo
	v_cmp_eq_u32_e32 vcc_lo, 4, v0
	s_delay_alu instid0(VALU_DEP_2) | instskip(SKIP_1) | instid1(VALU_DEP_2)
	v_cndmask_b32_e32 v10, v10, v6, vcc_lo
	v_cmp_eq_u32_e32 vcc_lo, 5, v0
	;; [unrolled: 5-line block ×3, first 2 shown]
	v_cndmask_b32_e32 v10, v10, v9, vcc_lo
	s_wait_dscnt 0x0
	s_delay_alu instid0(VALU_DEP_1)
	v_mul_f32_e32 v10, v10, v11
	s_cbranch_execz .LBB71_9
	s_branch .LBB71_10
.LBB71_7:
                                        ; implicit-def: $vgpr10_vgpr11_vgpr12_vgpr13_vgpr14_vgpr15_vgpr16_vgpr17
	s_cbranch_execnz .LBB71_98
	s_branch .LBB71_159
.LBB71_8:
                                        ; implicit-def: $vgpr10
.LBB71_9:
	ds_load_b32 v10, v37
.LBB71_10:
	v_mov_b32_e32 v11, 0
	ds_load_b32 v11, v11 offset:24
	s_wait_dscnt 0x0
	v_mul_f32_e32 v34, v10, v11
	v_mov_b64_e32 v[16:17], v[8:9]
	v_mov_b64_e32 v[14:15], v[6:7]
	;; [unrolled: 1-line block ×4, first 2 shown]
	v_mov_b32_e32 v16, v34
.LBB71_11:
	s_or_b32 exec_lo, exec_lo, s1
	v_cmp_lt_u32_e64 s1, 5, v0
	ds_store_b32 v37, v15
	s_wait_dscnt 0x0
	s_barrier_signal -1
	s_barrier_wait -1
	s_and_saveexec_b32 s2, s1
	s_cbranch_execz .LBB71_17
; %bb.12:
	s_and_not1_b32 vcc_lo, exec_lo, s12
	s_cbranch_vccnz .LBB71_14
; %bb.13:
	v_cmp_eq_u32_e32 vcc_lo, 1, v0
	ds_load_b32 v35, v37
	v_cndmask_b32_e32 v34, v10, v11, vcc_lo
	v_cmp_eq_u32_e32 vcc_lo, 2, v0
	s_delay_alu instid0(VALU_DEP_2) | instskip(SKIP_1) | instid1(VALU_DEP_2)
	v_cndmask_b32_e32 v34, v34, v12, vcc_lo
	v_cmp_eq_u32_e32 vcc_lo, 3, v0
	v_cndmask_b32_e32 v34, v34, v13, vcc_lo
	v_cmp_eq_u32_e32 vcc_lo, 4, v0
	s_delay_alu instid0(VALU_DEP_2) | instskip(SKIP_1) | instid1(VALU_DEP_2)
	v_cndmask_b32_e32 v34, v34, v14, vcc_lo
	v_cmp_eq_u32_e32 vcc_lo, 5, v0
	;; [unrolled: 5-line block ×3, first 2 shown]
	v_cndmask_b32_e32 v15, v15, v17, vcc_lo
	s_wait_dscnt 0x0
	s_delay_alu instid0(VALU_DEP_1)
	v_mul_f32_e32 v15, v15, v35
	s_cbranch_execz .LBB71_15
	s_branch .LBB71_16
.LBB71_14:
                                        ; implicit-def: $vgpr15
.LBB71_15:
	ds_load_b32 v15, v37
.LBB71_16:
	v_mov_b32_e32 v34, 0
	ds_load_2addr_b32 v[34:35], v34 offset0:5 offset1:14
	s_wait_dscnt 0x0
	v_fma_f32 v35, v16, v35, v15
	s_delay_alu instid0(VALU_DEP_1) | instskip(NEXT) | instid1(VALU_DEP_1)
	v_cndmask_b32_e64 v15, v15, v35, s0
	v_mul_f32_e32 v15, v15, v34
.LBB71_17:
	s_or_b32 exec_lo, exec_lo, s2
	v_cmp_lt_u32_e64 s0, 4, v0
	ds_store_b32 v37, v14
	s_wait_dscnt 0x0
	s_barrier_signal -1
	s_barrier_wait -1
	s_and_saveexec_b32 s4, s0
	s_cbranch_execz .LBB71_33
; %bb.18:
	s_and_not1_b32 vcc_lo, exec_lo, s12
	s_cbranch_vccnz .LBB71_20
; %bb.19:
	v_cmp_eq_u32_e32 vcc_lo, 1, v0
	ds_load_b32 v35, v37
	v_cndmask_b32_e32 v34, v10, v11, vcc_lo
	v_cmp_eq_u32_e32 vcc_lo, 2, v0
	s_delay_alu instid0(VALU_DEP_2) | instskip(SKIP_1) | instid1(VALU_DEP_2)
	v_cndmask_b32_e32 v34, v34, v12, vcc_lo
	v_cmp_eq_u32_e32 vcc_lo, 3, v0
	v_cndmask_b32_e32 v34, v34, v13, vcc_lo
	v_cmp_eq_u32_e32 vcc_lo, 4, v0
	s_delay_alu instid0(VALU_DEP_2) | instskip(SKIP_1) | instid1(VALU_DEP_2)
	v_cndmask_b32_e32 v34, v34, v14, vcc_lo
	v_cmp_eq_u32_e32 vcc_lo, 5, v0
	;; [unrolled: 5-line block ×3, first 2 shown]
	v_cndmask_b32_e32 v34, v34, v17, vcc_lo
	s_wait_dscnt 0x0
	s_delay_alu instid0(VALU_DEP_1)
	v_mul_f32_e32 v38, v34, v35
	s_cbranch_execz .LBB71_21
	s_branch .LBB71_22
.LBB71_20:
                                        ; implicit-def: $vgpr38
.LBB71_21:
	ds_load_b32 v38, v37
.LBB71_22:
	s_and_saveexec_b32 s5, s1
	s_cbranch_execz .LBB71_32
; %bb.23:
	v_dual_add_nc_u32 v34, -6, v0 :: v_dual_add_nc_u32 v35, -5, v0
	s_delay_alu instid0(VALU_DEP_1)
	v_cmp_lt_u32_e32 vcc_lo, 6, v34
	v_mov_b32_e32 v34, 5
	s_and_saveexec_b32 s1, vcc_lo
	s_cbranch_execz .LBB71_27
; %bb.24:
	v_and_b32_e32 v34, -8, v35
	s_mov_b32 s6, 0
	s_mov_b64 s[2:3], 12
	s_mov_b32 s7, 52
	s_delay_alu instid0(VALU_DEP_1)
	v_sub_nc_u32_e32 v36, 0, v34
.LBB71_25:                              ; =>This Inner Loop Header: Depth=1
	s_add_co_i32 m0, s2, -7
	v_movrels_b32_e32 v39, v10
	v_mov_b32_e32 v34, s7
	s_add_co_i32 m0, s2, -6
	s_add_co_i32 s7, s7, 32
	v_movrels_b32_e32 v48, v10
	ds_load_2addr_b32 v[40:41], v34 offset1:1
	ds_load_2addr_b32 v[42:43], v34 offset0:2 offset1:3
	s_add_co_i32 m0, s2, -5
	s_wait_dscnt 0x1
	v_fmac_f32_e32 v38, v39, v40
	ds_load_2addr_b32 v[44:45], v34 offset0:4 offset1:5
	ds_load_2addr_b32 v[46:47], v34 offset0:6 offset1:7
	v_movrels_b32_e32 v34, v10
	s_add_co_i32 m0, s2, -4
	v_fmac_f32_e32 v38, v48, v41
	v_movrels_b32_e32 v39, v10
	s_add_co_i32 m0, s2, -3
	s_wait_dscnt 0x2
	s_delay_alu instid0(VALU_DEP_2) | instskip(SKIP_2) | instid1(VALU_DEP_2)
	v_fmac_f32_e32 v38, v34, v42
	v_movrels_b32_e32 v34, v10
	s_add_co_i32 m0, s2, -2
	v_fmac_f32_e32 v38, v39, v43
	v_movrels_b32_e32 v39, v10
	s_add_co_i32 m0, s2, -1
	s_wait_dscnt 0x1
	s_delay_alu instid0(VALU_DEP_2)
	v_fmac_f32_e32 v38, v34, v44
	v_movrels_b32_e32 v34, v10
	s_mov_b32 m0, s2
	s_add_nc_u64 s[2:3], s[2:3], 8
	v_movrels_b32_e32 v40, v10
	v_dual_fmac_f32 v38, v39, v45 :: v_dual_add_nc_u32 v39, s2, v36
	s_add_co_i32 s8, s2, -7
	s_wait_dscnt 0x0
	s_delay_alu instid0(VALU_DEP_1) | instskip(NEXT) | instid1(VALU_DEP_2)
	v_fmac_f32_e32 v38, v34, v46
	v_cmp_eq_u32_e32 vcc_lo, 12, v39
	s_delay_alu instid0(VALU_DEP_2) | instskip(SKIP_1) | instid1(SALU_CYCLE_1)
	v_dual_mov_b32 v34, s8 :: v_dual_fmac_f32 v38, v40, v47
	s_or_b32 s6, vcc_lo, s6
	s_and_not1_b32 exec_lo, exec_lo, s6
	s_cbranch_execnz .LBB71_25
; %bb.26:
	s_or_b32 exec_lo, exec_lo, s6
.LBB71_27:
	s_delay_alu instid0(SALU_CYCLE_1) | instskip(SKIP_3) | instid1(VALU_DEP_1)
	s_or_b32 exec_lo, exec_lo, s1
	v_and_b32_e32 v36, 7, v35
	s_mov_b32 s2, 0
	s_mov_b32 s1, exec_lo
	v_cmpx_ne_u32_e32 0, v36
	s_cbranch_execz .LBB71_31
; %bb.28:
	v_lshl_add_u32 v39, v34, 2, 32
	v_mov_b32_e32 v35, 0
.LBB71_29:                              ; =>This Inner Loop Header: Depth=1
	v_cmp_eq_u32_e32 vcc_lo, 1, v34
	ds_load_b32 v41, v39
	v_dual_add_nc_u32 v36, -1, v36 :: v_dual_add_nc_u32 v39, 4, v39
	v_cndmask_b32_e32 v40, v10, v11, vcc_lo
	v_cmp_eq_u32_e32 vcc_lo, 2, v34
	s_delay_alu instid0(VALU_DEP_2) | instskip(SKIP_1) | instid1(VALU_DEP_2)
	v_cndmask_b32_e32 v40, v40, v12, vcc_lo
	v_cmp_eq_u32_e32 vcc_lo, 3, v34
	v_cndmask_b32_e32 v40, v40, v13, vcc_lo
	v_cmp_eq_u32_e32 vcc_lo, 4, v34
	s_delay_alu instid0(VALU_DEP_2) | instskip(SKIP_1) | instid1(VALU_DEP_2)
	v_cndmask_b32_e32 v40, v40, v14, vcc_lo
	v_cmp_eq_u32_e32 vcc_lo, 5, v34
	v_cndmask_b32_e32 v40, v40, v15, vcc_lo
	v_cmp_eq_u32_e32 vcc_lo, 6, v34
	s_delay_alu instid0(VALU_DEP_2) | instskip(SKIP_2) | instid1(VALU_DEP_3)
	v_cndmask_b32_e32 v40, v40, v16, vcc_lo
	v_cmp_eq_u32_e32 vcc_lo, 7, v34
	v_add_nc_u64_e32 v[34:35], 1, v[34:35]
	v_cndmask_b32_e32 v40, v40, v17, vcc_lo
	v_cmp_eq_u32_e32 vcc_lo, 0, v36
	s_wait_dscnt 0x0
	s_delay_alu instid0(VALU_DEP_2) | instskip(SKIP_1) | instid1(SALU_CYCLE_1)
	v_fmac_f32_e32 v38, v40, v41
	s_or_b32 s2, vcc_lo, s2
	s_and_not1_b32 exec_lo, exec_lo, s2
	s_cbranch_execnz .LBB71_29
; %bb.30:
	s_or_b32 exec_lo, exec_lo, s2
.LBB71_31:
	s_delay_alu instid0(SALU_CYCLE_1)
	s_or_b32 exec_lo, exec_lo, s1
.LBB71_32:
	s_delay_alu instid0(SALU_CYCLE_1)
	s_or_b32 exec_lo, exec_lo, s5
	v_mov_b32_e32 v14, 0
	ds_load_b32 v14, v14 offset:16
	s_wait_dscnt 0x0
	v_mul_f32_e32 v14, v38, v14
.LBB71_33:
	s_or_b32 exec_lo, exec_lo, s4
	v_cmp_lt_u32_e64 s1, 3, v0
	ds_store_b32 v37, v13
	s_wait_dscnt 0x0
	s_barrier_signal -1
	s_barrier_wait -1
	s_and_saveexec_b32 s4, s1
	s_cbranch_execz .LBB71_49
; %bb.34:
	s_and_not1_b32 vcc_lo, exec_lo, s12
	s_cbranch_vccnz .LBB71_36
; %bb.35:
	v_cmp_eq_u32_e32 vcc_lo, 1, v0
	ds_load_b32 v35, v37
	v_cndmask_b32_e32 v34, v10, v11, vcc_lo
	v_cmp_eq_u32_e32 vcc_lo, 2, v0
	s_delay_alu instid0(VALU_DEP_2) | instskip(SKIP_1) | instid1(VALU_DEP_2)
	v_cndmask_b32_e32 v34, v34, v12, vcc_lo
	v_cmp_eq_u32_e32 vcc_lo, 3, v0
	v_cndmask_b32_e32 v34, v34, v13, vcc_lo
	v_cmp_eq_u32_e32 vcc_lo, 4, v0
	s_delay_alu instid0(VALU_DEP_2) | instskip(SKIP_1) | instid1(VALU_DEP_2)
	v_cndmask_b32_e32 v34, v34, v14, vcc_lo
	v_cmp_eq_u32_e32 vcc_lo, 5, v0
	;; [unrolled: 5-line block ×3, first 2 shown]
	v_cndmask_b32_e32 v34, v34, v17, vcc_lo
	s_wait_dscnt 0x0
	s_delay_alu instid0(VALU_DEP_1)
	v_mul_f32_e32 v38, v34, v35
	s_cbranch_execz .LBB71_37
	s_branch .LBB71_38
.LBB71_36:
                                        ; implicit-def: $vgpr38
.LBB71_37:
	ds_load_b32 v38, v37
.LBB71_38:
	s_and_saveexec_b32 s5, s0
	s_cbranch_execz .LBB71_48
; %bb.39:
	v_dual_add_nc_u32 v34, -5, v0 :: v_dual_add_nc_u32 v35, -4, v0
	s_delay_alu instid0(VALU_DEP_1)
	v_cmp_lt_u32_e32 vcc_lo, 6, v34
	v_mov_b32_e32 v34, 4
	s_and_saveexec_b32 s0, vcc_lo
	s_cbranch_execz .LBB71_43
; %bb.40:
	v_and_b32_e32 v34, -8, v35
	s_mov_b32 s6, 0
	s_mov_b64 s[2:3], 5
	s_mov_b32 s7, 48
	s_delay_alu instid0(VALU_DEP_1)
	v_sub_nc_u32_e32 v36, 0, v34
.LBB71_41:                              ; =>This Inner Loop Header: Depth=1
	s_add_co_i32 m0, s2, -1
	v_movrels_b32_e32 v39, v10
	v_mov_b32_e32 v34, s7
	s_mov_b32 m0, s2
	s_add_co_i32 s7, s7, 32
	v_movrels_b32_e32 v48, v10
	s_add_co_i32 m0, s2, 1
	ds_load_b128 v[40:43], v34
	ds_load_b128 v[44:47], v34 offset:16
	v_movrels_b32_e32 v34, v10
	s_add_co_i32 m0, s2, 2
	s_wait_dscnt 0x1
	v_fmac_f32_e32 v38, v39, v40
	v_movrels_b32_e32 v39, v10
	s_add_co_i32 m0, s2, 3
	s_delay_alu instid0(VALU_DEP_2) | instskip(NEXT) | instid1(VALU_DEP_1)
	v_fmac_f32_e32 v38, v48, v41
	v_fmac_f32_e32 v38, v34, v42
	v_movrels_b32_e32 v34, v10
	s_add_co_i32 m0, s2, 4
	s_delay_alu instid0(VALU_DEP_2) | instskip(SKIP_3) | instid1(VALU_DEP_2)
	v_fmac_f32_e32 v38, v39, v43
	v_movrels_b32_e32 v39, v10
	s_add_co_i32 m0, s2, 5
	s_wait_dscnt 0x0
	v_fmac_f32_e32 v38, v34, v44
	v_movrels_b32_e32 v34, v10
	s_add_co_i32 m0, s2, 6
	s_add_nc_u64 s[2:3], s[2:3], 8
	v_movrels_b32_e32 v40, v10
	v_dual_fmac_f32 v38, v39, v45 :: v_dual_add_nc_u32 v39, s2, v36
	s_add_co_i32 s8, s2, -1
	s_delay_alu instid0(VALU_DEP_1) | instskip(NEXT) | instid1(VALU_DEP_2)
	v_fmac_f32_e32 v38, v34, v46
	v_cmp_eq_u32_e32 vcc_lo, 5, v39
	s_delay_alu instid0(VALU_DEP_2) | instskip(SKIP_1) | instid1(SALU_CYCLE_1)
	v_dual_mov_b32 v34, s8 :: v_dual_fmac_f32 v38, v40, v47
	s_or_b32 s6, vcc_lo, s6
	s_and_not1_b32 exec_lo, exec_lo, s6
	s_cbranch_execnz .LBB71_41
; %bb.42:
	s_or_b32 exec_lo, exec_lo, s6
.LBB71_43:
	s_delay_alu instid0(SALU_CYCLE_1) | instskip(SKIP_3) | instid1(VALU_DEP_1)
	s_or_b32 exec_lo, exec_lo, s0
	v_and_b32_e32 v36, 7, v35
	s_mov_b32 s2, 0
	s_mov_b32 s0, exec_lo
	v_cmpx_ne_u32_e32 0, v36
	s_cbranch_execz .LBB71_47
; %bb.44:
	v_lshl_add_u32 v39, v34, 2, 32
	v_mov_b32_e32 v35, 0
.LBB71_45:                              ; =>This Inner Loop Header: Depth=1
	v_cmp_eq_u32_e32 vcc_lo, 1, v34
	ds_load_b32 v41, v39
	v_dual_add_nc_u32 v36, -1, v36 :: v_dual_add_nc_u32 v39, 4, v39
	v_cndmask_b32_e32 v40, v10, v11, vcc_lo
	v_cmp_eq_u32_e32 vcc_lo, 2, v34
	s_delay_alu instid0(VALU_DEP_2) | instskip(SKIP_1) | instid1(VALU_DEP_2)
	v_cndmask_b32_e32 v40, v40, v12, vcc_lo
	v_cmp_eq_u32_e32 vcc_lo, 3, v34
	v_cndmask_b32_e32 v40, v40, v13, vcc_lo
	v_cmp_eq_u32_e32 vcc_lo, 4, v34
	s_delay_alu instid0(VALU_DEP_2) | instskip(SKIP_1) | instid1(VALU_DEP_2)
	v_cndmask_b32_e32 v40, v40, v14, vcc_lo
	v_cmp_eq_u32_e32 vcc_lo, 5, v34
	v_cndmask_b32_e32 v40, v40, v15, vcc_lo
	v_cmp_eq_u32_e32 vcc_lo, 6, v34
	s_delay_alu instid0(VALU_DEP_2) | instskip(SKIP_2) | instid1(VALU_DEP_3)
	v_cndmask_b32_e32 v40, v40, v16, vcc_lo
	v_cmp_eq_u32_e32 vcc_lo, 7, v34
	v_add_nc_u64_e32 v[34:35], 1, v[34:35]
	v_cndmask_b32_e32 v40, v40, v17, vcc_lo
	v_cmp_eq_u32_e32 vcc_lo, 0, v36
	s_wait_dscnt 0x0
	s_delay_alu instid0(VALU_DEP_2) | instskip(SKIP_1) | instid1(SALU_CYCLE_1)
	v_fmac_f32_e32 v38, v40, v41
	s_or_b32 s2, vcc_lo, s2
	s_and_not1_b32 exec_lo, exec_lo, s2
	s_cbranch_execnz .LBB71_45
; %bb.46:
	s_or_b32 exec_lo, exec_lo, s2
.LBB71_47:
	s_delay_alu instid0(SALU_CYCLE_1)
	s_or_b32 exec_lo, exec_lo, s0
.LBB71_48:
	s_delay_alu instid0(SALU_CYCLE_1)
	s_or_b32 exec_lo, exec_lo, s5
	v_mov_b32_e32 v13, 0
	ds_load_b32 v13, v13 offset:12
	s_wait_dscnt 0x0
	v_mul_f32_e32 v13, v38, v13
.LBB71_49:
	s_or_b32 exec_lo, exec_lo, s4
	v_cmp_lt_u32_e64 s0, 2, v0
	ds_store_b32 v37, v12
	s_wait_dscnt 0x0
	s_barrier_signal -1
	s_barrier_wait -1
	s_and_saveexec_b32 s4, s0
	s_cbranch_execz .LBB71_65
; %bb.50:
	s_and_not1_b32 vcc_lo, exec_lo, s12
	s_cbranch_vccnz .LBB71_52
; %bb.51:
	v_cmp_eq_u32_e32 vcc_lo, 1, v0
	ds_load_b32 v35, v37
	v_cndmask_b32_e32 v34, v10, v11, vcc_lo
	v_cmp_eq_u32_e32 vcc_lo, 2, v0
	s_delay_alu instid0(VALU_DEP_2) | instskip(SKIP_1) | instid1(VALU_DEP_2)
	v_cndmask_b32_e32 v34, v34, v12, vcc_lo
	v_cmp_eq_u32_e32 vcc_lo, 3, v0
	v_cndmask_b32_e32 v34, v34, v13, vcc_lo
	v_cmp_eq_u32_e32 vcc_lo, 4, v0
	s_delay_alu instid0(VALU_DEP_2) | instskip(SKIP_1) | instid1(VALU_DEP_2)
	v_cndmask_b32_e32 v34, v34, v14, vcc_lo
	v_cmp_eq_u32_e32 vcc_lo, 5, v0
	;; [unrolled: 5-line block ×3, first 2 shown]
	v_cndmask_b32_e32 v34, v34, v17, vcc_lo
	s_wait_dscnt 0x0
	s_delay_alu instid0(VALU_DEP_1)
	v_mul_f32_e32 v38, v34, v35
	s_cbranch_execz .LBB71_53
	s_branch .LBB71_54
.LBB71_52:
                                        ; implicit-def: $vgpr38
.LBB71_53:
	ds_load_b32 v38, v37
.LBB71_54:
	s_and_saveexec_b32 s5, s1
	s_cbranch_execz .LBB71_64
; %bb.55:
	v_dual_add_nc_u32 v34, -4, v0 :: v_dual_add_nc_u32 v35, -3, v0
	s_delay_alu instid0(VALU_DEP_1)
	v_cmp_lt_u32_e32 vcc_lo, 6, v34
	v_mov_b32_e32 v34, 3
	s_and_saveexec_b32 s1, vcc_lo
	s_cbranch_execz .LBB71_59
; %bb.56:
	v_and_b32_e32 v34, -8, v35
	s_mov_b32 s6, 0
	s_mov_b64 s[2:3], 10
	s_mov_b32 s7, 44
	s_delay_alu instid0(VALU_DEP_1)
	v_sub_nc_u32_e32 v36, 0, v34
.LBB71_57:                              ; =>This Inner Loop Header: Depth=1
	s_add_co_i32 m0, s2, -7
	v_movrels_b32_e32 v39, v10
	v_mov_b32_e32 v34, s7
	s_add_co_i32 m0, s2, -6
	s_add_co_i32 s7, s7, 32
	v_movrels_b32_e32 v48, v10
	ds_load_2addr_b32 v[40:41], v34 offset1:1
	ds_load_2addr_b32 v[42:43], v34 offset0:2 offset1:3
	s_add_co_i32 m0, s2, -5
	s_wait_dscnt 0x1
	v_fmac_f32_e32 v38, v39, v40
	ds_load_2addr_b32 v[44:45], v34 offset0:4 offset1:5
	ds_load_2addr_b32 v[46:47], v34 offset0:6 offset1:7
	v_movrels_b32_e32 v34, v10
	s_add_co_i32 m0, s2, -4
	v_fmac_f32_e32 v38, v48, v41
	v_movrels_b32_e32 v39, v10
	s_add_co_i32 m0, s2, -3
	s_wait_dscnt 0x2
	s_delay_alu instid0(VALU_DEP_2) | instskip(SKIP_2) | instid1(VALU_DEP_2)
	v_fmac_f32_e32 v38, v34, v42
	v_movrels_b32_e32 v34, v10
	s_add_co_i32 m0, s2, -2
	v_fmac_f32_e32 v38, v39, v43
	v_movrels_b32_e32 v39, v10
	s_add_co_i32 m0, s2, -1
	s_wait_dscnt 0x1
	s_delay_alu instid0(VALU_DEP_2)
	v_fmac_f32_e32 v38, v34, v44
	v_movrels_b32_e32 v34, v10
	s_mov_b32 m0, s2
	s_add_nc_u64 s[2:3], s[2:3], 8
	v_movrels_b32_e32 v40, v10
	v_dual_fmac_f32 v38, v39, v45 :: v_dual_add_nc_u32 v39, s2, v36
	s_add_co_i32 s8, s2, -7
	s_wait_dscnt 0x0
	s_delay_alu instid0(VALU_DEP_1) | instskip(NEXT) | instid1(VALU_DEP_2)
	v_fmac_f32_e32 v38, v34, v46
	v_cmp_eq_u32_e32 vcc_lo, 10, v39
	s_delay_alu instid0(VALU_DEP_2) | instskip(SKIP_1) | instid1(SALU_CYCLE_1)
	v_dual_mov_b32 v34, s8 :: v_dual_fmac_f32 v38, v40, v47
	s_or_b32 s6, vcc_lo, s6
	s_and_not1_b32 exec_lo, exec_lo, s6
	s_cbranch_execnz .LBB71_57
; %bb.58:
	s_or_b32 exec_lo, exec_lo, s6
.LBB71_59:
	s_delay_alu instid0(SALU_CYCLE_1) | instskip(SKIP_3) | instid1(VALU_DEP_1)
	s_or_b32 exec_lo, exec_lo, s1
	v_and_b32_e32 v36, 7, v35
	s_mov_b32 s2, 0
	s_mov_b32 s1, exec_lo
	v_cmpx_ne_u32_e32 0, v36
	s_cbranch_execz .LBB71_63
; %bb.60:
	v_lshl_add_u32 v39, v34, 2, 32
	v_mov_b32_e32 v35, 0
.LBB71_61:                              ; =>This Inner Loop Header: Depth=1
	v_cmp_eq_u32_e32 vcc_lo, 1, v34
	ds_load_b32 v41, v39
	v_dual_add_nc_u32 v36, -1, v36 :: v_dual_add_nc_u32 v39, 4, v39
	v_cndmask_b32_e32 v40, v10, v11, vcc_lo
	v_cmp_eq_u32_e32 vcc_lo, 2, v34
	s_delay_alu instid0(VALU_DEP_2) | instskip(SKIP_1) | instid1(VALU_DEP_2)
	v_cndmask_b32_e32 v40, v40, v12, vcc_lo
	v_cmp_eq_u32_e32 vcc_lo, 3, v34
	v_cndmask_b32_e32 v40, v40, v13, vcc_lo
	v_cmp_eq_u32_e32 vcc_lo, 4, v34
	s_delay_alu instid0(VALU_DEP_2) | instskip(SKIP_1) | instid1(VALU_DEP_2)
	v_cndmask_b32_e32 v40, v40, v14, vcc_lo
	v_cmp_eq_u32_e32 vcc_lo, 5, v34
	v_cndmask_b32_e32 v40, v40, v15, vcc_lo
	v_cmp_eq_u32_e32 vcc_lo, 6, v34
	s_delay_alu instid0(VALU_DEP_2) | instskip(SKIP_2) | instid1(VALU_DEP_3)
	v_cndmask_b32_e32 v40, v40, v16, vcc_lo
	v_cmp_eq_u32_e32 vcc_lo, 7, v34
	v_add_nc_u64_e32 v[34:35], 1, v[34:35]
	v_cndmask_b32_e32 v40, v40, v17, vcc_lo
	v_cmp_eq_u32_e32 vcc_lo, 0, v36
	s_wait_dscnt 0x0
	s_delay_alu instid0(VALU_DEP_2) | instskip(SKIP_1) | instid1(SALU_CYCLE_1)
	v_fmac_f32_e32 v38, v40, v41
	s_or_b32 s2, vcc_lo, s2
	s_and_not1_b32 exec_lo, exec_lo, s2
	s_cbranch_execnz .LBB71_61
; %bb.62:
	s_or_b32 exec_lo, exec_lo, s2
.LBB71_63:
	s_delay_alu instid0(SALU_CYCLE_1)
	s_or_b32 exec_lo, exec_lo, s1
.LBB71_64:
	s_delay_alu instid0(SALU_CYCLE_1)
	s_or_b32 exec_lo, exec_lo, s5
	v_mov_b32_e32 v12, 0
	ds_load_b32 v12, v12 offset:8
	s_wait_dscnt 0x0
	v_mul_f32_e32 v12, v38, v12
.LBB71_65:
	s_or_b32 exec_lo, exec_lo, s4
	v_cmp_lt_u32_e64 s1, 1, v0
	ds_store_b32 v37, v11
	s_wait_dscnt 0x0
	s_barrier_signal -1
	s_barrier_wait -1
	s_and_saveexec_b32 s4, s1
	s_cbranch_execz .LBB71_81
; %bb.66:
	s_and_not1_b32 vcc_lo, exec_lo, s12
	s_cbranch_vccnz .LBB71_68
; %bb.67:
	v_cmp_eq_u32_e32 vcc_lo, 1, v0
	ds_load_b32 v35, v37
	v_cndmask_b32_e32 v34, v10, v11, vcc_lo
	v_cmp_eq_u32_e32 vcc_lo, 2, v0
	s_delay_alu instid0(VALU_DEP_2) | instskip(SKIP_1) | instid1(VALU_DEP_2)
	v_cndmask_b32_e32 v34, v34, v12, vcc_lo
	v_cmp_eq_u32_e32 vcc_lo, 3, v0
	v_cndmask_b32_e32 v34, v34, v13, vcc_lo
	v_cmp_eq_u32_e32 vcc_lo, 4, v0
	s_delay_alu instid0(VALU_DEP_2) | instskip(SKIP_1) | instid1(VALU_DEP_2)
	v_cndmask_b32_e32 v34, v34, v14, vcc_lo
	v_cmp_eq_u32_e32 vcc_lo, 5, v0
	;; [unrolled: 5-line block ×3, first 2 shown]
	v_cndmask_b32_e32 v34, v34, v17, vcc_lo
	s_wait_dscnt 0x0
	s_delay_alu instid0(VALU_DEP_1)
	v_mul_f32_e32 v38, v34, v35
	s_cbranch_execz .LBB71_69
	s_branch .LBB71_70
.LBB71_68:
                                        ; implicit-def: $vgpr38
.LBB71_69:
	ds_load_b32 v38, v37
.LBB71_70:
	s_and_saveexec_b32 s5, s0
	s_cbranch_execz .LBB71_80
; %bb.71:
	v_dual_add_nc_u32 v34, -3, v0 :: v_dual_add_nc_u32 v35, -2, v0
	s_delay_alu instid0(VALU_DEP_1)
	v_cmp_lt_u32_e32 vcc_lo, 6, v34
	v_mov_b32_e32 v34, 2
	s_and_saveexec_b32 s0, vcc_lo
	s_cbranch_execz .LBB71_75
; %bb.72:
	v_and_b32_e32 v34, -8, v35
	s_mov_b32 s6, 0
	s_mov_b64 s[2:3], 9
	s_mov_b32 s7, 40
	s_delay_alu instid0(VALU_DEP_1)
	v_sub_nc_u32_e32 v36, 0, v34
.LBB71_73:                              ; =>This Inner Loop Header: Depth=1
	s_add_co_i32 m0, s2, -7
	v_movrels_b32_e32 v39, v10
	v_mov_b32_e32 v34, s7
	s_add_co_i32 m0, s2, -6
	s_add_co_i32 s7, s7, 32
	v_movrels_b32_e32 v48, v10
	s_add_co_i32 m0, s2, -5
	ds_load_2addr_b64 v[40:43], v34 offset1:1
	ds_load_2addr_b64 v[44:47], v34 offset0:2 offset1:3
	v_movrels_b32_e32 v34, v10
	s_add_co_i32 m0, s2, -4
	s_wait_dscnt 0x1
	v_fmac_f32_e32 v38, v39, v40
	v_movrels_b32_e32 v39, v10
	s_add_co_i32 m0, s2, -3
	s_delay_alu instid0(VALU_DEP_2) | instskip(NEXT) | instid1(VALU_DEP_1)
	v_fmac_f32_e32 v38, v48, v41
	v_fmac_f32_e32 v38, v34, v42
	v_movrels_b32_e32 v34, v10
	s_add_co_i32 m0, s2, -2
	s_delay_alu instid0(VALU_DEP_2) | instskip(SKIP_3) | instid1(VALU_DEP_2)
	v_fmac_f32_e32 v38, v39, v43
	v_movrels_b32_e32 v39, v10
	s_add_co_i32 m0, s2, -1
	s_wait_dscnt 0x0
	v_fmac_f32_e32 v38, v34, v44
	v_movrels_b32_e32 v34, v10
	s_mov_b32 m0, s2
	s_add_nc_u64 s[2:3], s[2:3], 8
	v_movrels_b32_e32 v40, v10
	v_dual_fmac_f32 v38, v39, v45 :: v_dual_add_nc_u32 v39, s2, v36
	s_add_co_i32 s8, s2, -7
	s_delay_alu instid0(VALU_DEP_1) | instskip(NEXT) | instid1(VALU_DEP_2)
	v_fmac_f32_e32 v38, v34, v46
	v_cmp_eq_u32_e32 vcc_lo, 9, v39
	s_delay_alu instid0(VALU_DEP_2) | instskip(SKIP_1) | instid1(SALU_CYCLE_1)
	v_dual_mov_b32 v34, s8 :: v_dual_fmac_f32 v38, v40, v47
	s_or_b32 s6, vcc_lo, s6
	s_and_not1_b32 exec_lo, exec_lo, s6
	s_cbranch_execnz .LBB71_73
; %bb.74:
	s_or_b32 exec_lo, exec_lo, s6
.LBB71_75:
	s_delay_alu instid0(SALU_CYCLE_1) | instskip(SKIP_3) | instid1(VALU_DEP_1)
	s_or_b32 exec_lo, exec_lo, s0
	v_and_b32_e32 v36, 7, v35
	s_mov_b32 s2, 0
	s_mov_b32 s0, exec_lo
	v_cmpx_ne_u32_e32 0, v36
	s_cbranch_execz .LBB71_79
; %bb.76:
	v_lshl_add_u32 v39, v34, 2, 32
	v_mov_b32_e32 v35, 0
.LBB71_77:                              ; =>This Inner Loop Header: Depth=1
	v_cmp_eq_u32_e32 vcc_lo, 1, v34
	ds_load_b32 v41, v39
	v_dual_add_nc_u32 v36, -1, v36 :: v_dual_add_nc_u32 v39, 4, v39
	v_cndmask_b32_e32 v40, v10, v11, vcc_lo
	v_cmp_eq_u32_e32 vcc_lo, 2, v34
	s_delay_alu instid0(VALU_DEP_2) | instskip(SKIP_1) | instid1(VALU_DEP_2)
	v_cndmask_b32_e32 v40, v40, v12, vcc_lo
	v_cmp_eq_u32_e32 vcc_lo, 3, v34
	v_cndmask_b32_e32 v40, v40, v13, vcc_lo
	v_cmp_eq_u32_e32 vcc_lo, 4, v34
	s_delay_alu instid0(VALU_DEP_2) | instskip(SKIP_1) | instid1(VALU_DEP_2)
	v_cndmask_b32_e32 v40, v40, v14, vcc_lo
	v_cmp_eq_u32_e32 vcc_lo, 5, v34
	v_cndmask_b32_e32 v40, v40, v15, vcc_lo
	v_cmp_eq_u32_e32 vcc_lo, 6, v34
	s_delay_alu instid0(VALU_DEP_2) | instskip(SKIP_2) | instid1(VALU_DEP_3)
	v_cndmask_b32_e32 v40, v40, v16, vcc_lo
	v_cmp_eq_u32_e32 vcc_lo, 7, v34
	v_add_nc_u64_e32 v[34:35], 1, v[34:35]
	v_cndmask_b32_e32 v40, v40, v17, vcc_lo
	v_cmp_eq_u32_e32 vcc_lo, 0, v36
	s_wait_dscnt 0x0
	s_delay_alu instid0(VALU_DEP_2) | instskip(SKIP_1) | instid1(SALU_CYCLE_1)
	v_fmac_f32_e32 v38, v40, v41
	s_or_b32 s2, vcc_lo, s2
	s_and_not1_b32 exec_lo, exec_lo, s2
	s_cbranch_execnz .LBB71_77
; %bb.78:
	s_or_b32 exec_lo, exec_lo, s2
.LBB71_79:
	s_delay_alu instid0(SALU_CYCLE_1)
	s_or_b32 exec_lo, exec_lo, s0
.LBB71_80:
	s_delay_alu instid0(SALU_CYCLE_1)
	s_or_b32 exec_lo, exec_lo, s5
	v_mov_b32_e32 v11, 0
	ds_load_b32 v11, v11 offset:4
	s_wait_dscnt 0x0
	v_mul_f32_e32 v11, v38, v11
.LBB71_81:
	s_or_b32 exec_lo, exec_lo, s4
	s_mov_b32 s2, 0
	s_mov_b32 s3, exec_lo
	ds_store_b32 v37, v10
	s_wait_dscnt 0x0
	s_barrier_signal -1
	s_barrier_wait -1
	v_cmpx_ne_u32_e32 0, v0
	s_cbranch_execz .LBB71_97
; %bb.82:
	s_and_not1_b32 vcc_lo, exec_lo, s12
	s_cbranch_vccnz .LBB71_84
; %bb.83:
	v_cmp_eq_u32_e32 vcc_lo, 1, v0
	ds_load_b32 v35, v37
	v_cndmask_b32_e32 v34, v10, v11, vcc_lo
	v_cmp_eq_u32_e32 vcc_lo, 2, v0
	s_delay_alu instid0(VALU_DEP_2) | instskip(SKIP_1) | instid1(VALU_DEP_2)
	v_cndmask_b32_e32 v34, v34, v12, vcc_lo
	v_cmp_eq_u32_e32 vcc_lo, 3, v0
	v_cndmask_b32_e32 v34, v34, v13, vcc_lo
	v_cmp_eq_u32_e32 vcc_lo, 4, v0
	s_delay_alu instid0(VALU_DEP_2) | instskip(SKIP_1) | instid1(VALU_DEP_2)
	v_cndmask_b32_e32 v34, v34, v14, vcc_lo
	v_cmp_eq_u32_e32 vcc_lo, 5, v0
	;; [unrolled: 5-line block ×3, first 2 shown]
	v_cndmask_b32_e32 v34, v34, v17, vcc_lo
	s_wait_dscnt 0x0
	s_delay_alu instid0(VALU_DEP_1)
	v_mul_f32_e32 v38, v34, v35
	s_cbranch_execz .LBB71_85
	s_branch .LBB71_86
.LBB71_84:
                                        ; implicit-def: $vgpr38
.LBB71_85:
	ds_load_b32 v38, v37
.LBB71_86:
	s_and_saveexec_b32 s4, s1
	s_cbranch_execz .LBB71_96
; %bb.87:
	v_dual_add_nc_u32 v34, -2, v0 :: v_dual_add_nc_u32 v35, -1, v0
	s_delay_alu instid0(VALU_DEP_1)
	v_cmp_lt_u32_e32 vcc_lo, 6, v34
	v_mov_b32_e32 v34, 1
	s_and_saveexec_b32 s5, vcc_lo
	s_cbranch_execz .LBB71_91
; %bb.88:
	v_and_b32_e32 v34, -8, v35
	s_mov_b32 s6, 0
	s_mov_b64 s[0:1], 8
	s_mov_b32 s7, 36
	s_delay_alu instid0(VALU_DEP_1)
	v_sub_nc_u32_e32 v36, 0, v34
.LBB71_89:                              ; =>This Inner Loop Header: Depth=1
	s_add_co_i32 m0, s0, -7
	v_movrels_b32_e32 v39, v10
	v_mov_b32_e32 v34, s7
	s_add_co_i32 m0, s0, -6
	s_add_co_i32 s7, s7, 32
	v_movrels_b32_e32 v48, v10
	ds_load_2addr_b32 v[40:41], v34 offset1:1
	ds_load_2addr_b32 v[42:43], v34 offset0:2 offset1:3
	s_add_co_i32 m0, s0, -5
	s_wait_dscnt 0x1
	v_fmac_f32_e32 v38, v39, v40
	ds_load_2addr_b32 v[44:45], v34 offset0:4 offset1:5
	ds_load_2addr_b32 v[46:47], v34 offset0:6 offset1:7
	v_movrels_b32_e32 v34, v10
	s_add_co_i32 m0, s0, -4
	v_fmac_f32_e32 v38, v48, v41
	v_movrels_b32_e32 v39, v10
	s_add_co_i32 m0, s0, -3
	s_wait_dscnt 0x2
	s_delay_alu instid0(VALU_DEP_2) | instskip(SKIP_2) | instid1(VALU_DEP_2)
	v_fmac_f32_e32 v38, v34, v42
	v_movrels_b32_e32 v34, v10
	s_add_co_i32 m0, s0, -2
	v_fmac_f32_e32 v38, v39, v43
	v_movrels_b32_e32 v39, v10
	s_add_co_i32 m0, s0, -1
	s_wait_dscnt 0x1
	s_delay_alu instid0(VALU_DEP_2)
	v_fmac_f32_e32 v38, v34, v44
	v_movrels_b32_e32 v34, v10
	s_mov_b32 m0, s0
	s_add_nc_u64 s[0:1], s[0:1], 8
	v_movrels_b32_e32 v40, v10
	v_dual_fmac_f32 v38, v39, v45 :: v_dual_add_nc_u32 v39, s0, v36
	s_add_co_i32 s8, s0, -7
	s_wait_dscnt 0x0
	s_delay_alu instid0(VALU_DEP_1) | instskip(NEXT) | instid1(VALU_DEP_2)
	v_fmac_f32_e32 v38, v34, v46
	v_cmp_eq_u32_e32 vcc_lo, 8, v39
	s_delay_alu instid0(VALU_DEP_2) | instskip(SKIP_1) | instid1(SALU_CYCLE_1)
	v_dual_mov_b32 v34, s8 :: v_dual_fmac_f32 v38, v40, v47
	s_or_b32 s6, vcc_lo, s6
	s_and_not1_b32 exec_lo, exec_lo, s6
	s_cbranch_execnz .LBB71_89
; %bb.90:
	s_or_b32 exec_lo, exec_lo, s6
.LBB71_91:
	s_delay_alu instid0(SALU_CYCLE_1) | instskip(SKIP_3) | instid1(VALU_DEP_1)
	s_or_b32 exec_lo, exec_lo, s5
	v_and_b32_e32 v36, 7, v35
	s_mov_b32 s1, 0
	s_mov_b32 s0, exec_lo
	v_cmpx_ne_u32_e32 0, v36
	s_cbranch_execz .LBB71_95
; %bb.92:
	v_lshl_add_u32 v39, v34, 2, 32
	v_mov_b32_e32 v35, 0
.LBB71_93:                              ; =>This Inner Loop Header: Depth=1
	v_cmp_eq_u32_e32 vcc_lo, 1, v34
	ds_load_b32 v41, v39
	v_dual_add_nc_u32 v36, -1, v36 :: v_dual_add_nc_u32 v39, 4, v39
	v_cndmask_b32_e32 v40, v10, v11, vcc_lo
	v_cmp_eq_u32_e32 vcc_lo, 2, v34
	s_delay_alu instid0(VALU_DEP_2) | instskip(SKIP_1) | instid1(VALU_DEP_2)
	v_cndmask_b32_e32 v40, v40, v12, vcc_lo
	v_cmp_eq_u32_e32 vcc_lo, 3, v34
	v_cndmask_b32_e32 v40, v40, v13, vcc_lo
	v_cmp_eq_u32_e32 vcc_lo, 4, v34
	s_delay_alu instid0(VALU_DEP_2) | instskip(SKIP_1) | instid1(VALU_DEP_2)
	v_cndmask_b32_e32 v40, v40, v14, vcc_lo
	v_cmp_eq_u32_e32 vcc_lo, 5, v34
	v_cndmask_b32_e32 v40, v40, v15, vcc_lo
	v_cmp_eq_u32_e32 vcc_lo, 6, v34
	s_delay_alu instid0(VALU_DEP_2) | instskip(SKIP_2) | instid1(VALU_DEP_3)
	v_cndmask_b32_e32 v40, v40, v16, vcc_lo
	v_cmp_eq_u32_e32 vcc_lo, 7, v34
	v_add_nc_u64_e32 v[34:35], 1, v[34:35]
	v_cndmask_b32_e32 v40, v40, v17, vcc_lo
	v_cmp_eq_u32_e32 vcc_lo, 0, v36
	s_wait_dscnt 0x0
	s_delay_alu instid0(VALU_DEP_2) | instskip(SKIP_1) | instid1(SALU_CYCLE_1)
	v_fmac_f32_e32 v38, v40, v41
	s_or_b32 s1, vcc_lo, s1
	s_and_not1_b32 exec_lo, exec_lo, s1
	s_cbranch_execnz .LBB71_93
; %bb.94:
	s_or_b32 exec_lo, exec_lo, s1
.LBB71_95:
	s_delay_alu instid0(SALU_CYCLE_1)
	s_or_b32 exec_lo, exec_lo, s0
.LBB71_96:
	s_delay_alu instid0(SALU_CYCLE_1)
	s_or_b32 exec_lo, exec_lo, s4
	v_mov_b32_e32 v10, 0
	ds_load_b32 v10, v10
	s_wait_dscnt 0x0
	v_mul_f32_e32 v10, v38, v10
.LBB71_97:
	s_or_b32 exec_lo, exec_lo, s3
	s_delay_alu instid0(SALU_CYCLE_1)
	s_and_b32 vcc_lo, exec_lo, s2
	s_cbranch_vccz .LBB71_159
.LBB71_98:
	v_cmp_eq_u32_e64 s0, 0, v0
	s_wait_loadcnt_dscnt 0x607
	ds_store_b32 v37, v3
	s_wait_loadcnt_dscnt 0x0
	s_barrier_signal -1
	s_barrier_wait -1
	s_and_saveexec_b32 s1, s0
	s_cbranch_execz .LBB71_104
; %bb.99:
	s_and_b32 vcc_lo, exec_lo, s12
	s_cbranch_vccz .LBB71_101
; %bb.100:
	v_cmp_eq_u32_e32 vcc_lo, 1, v0
	ds_load_b32 v10, v37
	v_cndmask_b32_e32 v3, v2, v3, vcc_lo
	v_cmp_eq_u32_e32 vcc_lo, 2, v0
	s_delay_alu instid0(VALU_DEP_2) | instskip(SKIP_1) | instid1(VALU_DEP_2)
	v_cndmask_b32_e32 v3, v3, v4, vcc_lo
	v_cmp_eq_u32_e32 vcc_lo, 3, v0
	v_cndmask_b32_e32 v3, v3, v5, vcc_lo
	v_cmp_eq_u32_e32 vcc_lo, 4, v0
	s_delay_alu instid0(VALU_DEP_2) | instskip(SKIP_1) | instid1(VALU_DEP_2)
	v_cndmask_b32_e32 v3, v3, v6, vcc_lo
	v_cmp_eq_u32_e32 vcc_lo, 5, v0
	;; [unrolled: 5-line block ×3, first 2 shown]
	v_cndmask_b32_e32 v3, v3, v9, vcc_lo
	s_wait_dscnt 0x0
	s_delay_alu instid0(VALU_DEP_1)
	v_mul_f32_e32 v3, v3, v10
	s_cbranch_execz .LBB71_102
	s_branch .LBB71_103
.LBB71_101:
                                        ; implicit-def: $vgpr3
.LBB71_102:
	ds_load_b32 v3, v37
.LBB71_103:
	v_mov_b32_e32 v10, 0
	ds_load_b32 v10, v10 offset:4
	s_wait_dscnt 0x0
	v_mul_f32_e32 v3, v3, v10
.LBB71_104:
	s_or_b32 exec_lo, exec_lo, s1
	v_cndmask_b32_e64 v12, 0, 1, s12
	s_mov_b32 s1, exec_lo
	ds_store_b32 v37, v4
	s_wait_dscnt 0x0
	s_barrier_signal -1
	s_barrier_wait -1
	v_cmpx_gt_u32_e32 2, v0
	s_cbranch_execz .LBB71_110
; %bb.105:
	s_and_not1_b32 vcc_lo, exec_lo, s12
	s_cbranch_vccnz .LBB71_107
; %bb.106:
	v_cmp_eq_u32_e32 vcc_lo, 1, v0
	v_cndmask_b32_e32 v10, v2, v3, vcc_lo
	v_cmp_eq_u32_e32 vcc_lo, 2, v0
	s_delay_alu instid0(VALU_DEP_2) | instskip(SKIP_4) | instid1(VALU_DEP_2)
	v_cndmask_b32_e32 v4, v10, v4, vcc_lo
	v_cmp_eq_u32_e32 vcc_lo, 3, v0
	ds_load_b32 v10, v37
	v_cndmask_b32_e32 v4, v4, v5, vcc_lo
	v_cmp_eq_u32_e32 vcc_lo, 4, v0
	v_cndmask_b32_e32 v4, v4, v6, vcc_lo
	v_cmp_eq_u32_e32 vcc_lo, 5, v0
	s_delay_alu instid0(VALU_DEP_2) | instskip(SKIP_1) | instid1(VALU_DEP_2)
	v_cndmask_b32_e32 v4, v4, v7, vcc_lo
	v_cmp_eq_u32_e32 vcc_lo, 6, v0
	v_cndmask_b32_e32 v4, v4, v8, vcc_lo
	v_cmp_eq_u32_e32 vcc_lo, 7, v0
	s_delay_alu instid0(VALU_DEP_2) | instskip(SKIP_1) | instid1(VALU_DEP_1)
	v_cndmask_b32_e32 v4, v4, v9, vcc_lo
	s_wait_dscnt 0x0
	v_mul_f32_e32 v4, v4, v10
	s_cbranch_execz .LBB71_108
	s_branch .LBB71_109
.LBB71_107:
                                        ; implicit-def: $vgpr4
.LBB71_108:
	ds_load_b32 v4, v37
.LBB71_109:
	v_mov_b32_e32 v10, 0
	ds_load_2addr_b32 v[10:11], v10 offset0:2 offset1:9
	s_wait_dscnt 0x0
	v_fma_f32 v11, v3, v11, v4
	s_delay_alu instid0(VALU_DEP_1) | instskip(NEXT) | instid1(VALU_DEP_1)
	v_cndmask_b32_e64 v4, v4, v11, s0
	v_mul_f32_e32 v4, v4, v10
.LBB71_110:
	s_or_b32 exec_lo, exec_lo, s1
	s_delay_alu instid0(SALU_CYCLE_1)
	s_mov_b32 s1, exec_lo
	ds_store_b32 v37, v5
	s_wait_dscnt 0x0
	s_barrier_signal -1
	s_barrier_wait -1
	v_cmpx_gt_u32_e32 3, v0
	s_cbranch_execz .LBB71_118
; %bb.111:
	v_cmp_ne_u32_e32 vcc_lo, 1, v12
	s_cbranch_vccnz .LBB71_113
; %bb.112:
	v_cmp_eq_u32_e32 vcc_lo, 1, v0
	ds_load_b32 v11, v37
	v_cndmask_b32_e32 v10, v2, v3, vcc_lo
	v_cmp_eq_u32_e32 vcc_lo, 2, v0
	s_delay_alu instid0(VALU_DEP_2) | instskip(SKIP_1) | instid1(VALU_DEP_2)
	v_cndmask_b32_e32 v10, v10, v4, vcc_lo
	v_cmp_eq_u32_e32 vcc_lo, 3, v0
	v_cndmask_b32_e32 v10, v10, v5, vcc_lo
	v_cmp_eq_u32_e32 vcc_lo, 4, v0
	s_delay_alu instid0(VALU_DEP_2) | instskip(SKIP_1) | instid1(VALU_DEP_2)
	v_cndmask_b32_e32 v10, v10, v6, vcc_lo
	v_cmp_eq_u32_e32 vcc_lo, 5, v0
	;; [unrolled: 5-line block ×3, first 2 shown]
	v_cndmask_b32_e32 v10, v10, v9, vcc_lo
	s_wait_dscnt 0x0
	s_delay_alu instid0(VALU_DEP_1)
	v_mul_f32_e32 v10, v10, v11
	s_cbranch_execz .LBB71_114
	s_branch .LBB71_115
.LBB71_113:
                                        ; implicit-def: $vgpr10
.LBB71_114:
	ds_load_b32 v10, v37
.LBB71_115:
	s_mov_b32 s2, exec_lo
	v_cmpx_ne_u32_e32 2, v0
	s_cbranch_execz .LBB71_117
; %bb.116:
	v_dual_mov_b32 v14, 0 :: v_dual_add_nc_u32 v11, 1, v0
	s_delay_alu instid0(VALU_DEP_1) | instskip(SKIP_3) | instid1(VALU_DEP_2)
	v_cmp_eq_u32_e32 vcc_lo, 1, v11
	ds_load_b32 v14, v14 offset:40
	v_cndmask_b32_e32 v13, v2, v3, vcc_lo
	v_cmp_eq_u32_e32 vcc_lo, 2, v11
	v_cndmask_b32_e32 v13, v13, v4, vcc_lo
	v_cmp_eq_u32_e32 vcc_lo, 3, v11
	s_delay_alu instid0(VALU_DEP_2) | instskip(SKIP_4) | instid1(VALU_DEP_2)
	v_cndmask_b32_e32 v5, v13, v5, vcc_lo
	v_cmp_eq_u32_e32 vcc_lo, 4, v11
	ds_load_b32 v13, v37 offset:4
	v_cndmask_b32_e32 v5, v5, v6, vcc_lo
	v_cmp_eq_u32_e32 vcc_lo, 5, v11
	v_cndmask_b32_e32 v5, v5, v7, vcc_lo
	v_cmp_eq_u32_e32 vcc_lo, 6, v11
	s_delay_alu instid0(VALU_DEP_2) | instskip(SKIP_1) | instid1(VALU_DEP_2)
	v_cndmask_b32_e32 v5, v5, v8, vcc_lo
	v_cmp_eq_u32_e32 vcc_lo, 7, v11
	v_cndmask_b32_e32 v5, v5, v9, vcc_lo
	s_wait_dscnt 0x0
	s_delay_alu instid0(VALU_DEP_1) | instskip(NEXT) | instid1(VALU_DEP_1)
	v_fmac_f32_e32 v10, v5, v13
	v_fma_f32 v5, v4, v14, v10
	s_delay_alu instid0(VALU_DEP_1)
	v_cndmask_b32_e64 v10, v10, v5, s0
.LBB71_117:
	s_or_b32 exec_lo, exec_lo, s2
	v_mov_b32_e32 v5, 0
	ds_load_b32 v5, v5 offset:12
	s_wait_dscnt 0x0
	v_mul_f32_e32 v5, v10, v5
.LBB71_118:
	s_or_b32 exec_lo, exec_lo, s1
	s_delay_alu instid0(SALU_CYCLE_1)
	s_mov_b32 s0, exec_lo
	ds_store_b32 v37, v6
	s_wait_dscnt 0x0
	s_barrier_signal -1
	s_barrier_wait -1
	v_cmpx_gt_u32_e32 4, v0
	s_cbranch_execz .LBB71_128
; %bb.119:
	v_cmp_ne_u32_e32 vcc_lo, 1, v12
	s_cbranch_vccnz .LBB71_121
; %bb.120:
	v_cmp_eq_u32_e32 vcc_lo, 1, v0
	ds_load_b32 v11, v37
	v_cndmask_b32_e32 v10, v2, v3, vcc_lo
	v_cmp_eq_u32_e32 vcc_lo, 2, v0
	s_delay_alu instid0(VALU_DEP_2) | instskip(SKIP_1) | instid1(VALU_DEP_2)
	v_cndmask_b32_e32 v10, v10, v4, vcc_lo
	v_cmp_eq_u32_e32 vcc_lo, 3, v0
	v_cndmask_b32_e32 v10, v10, v5, vcc_lo
	v_cmp_eq_u32_e32 vcc_lo, 4, v0
	s_delay_alu instid0(VALU_DEP_2) | instskip(SKIP_1) | instid1(VALU_DEP_2)
	v_cndmask_b32_e32 v10, v10, v6, vcc_lo
	v_cmp_eq_u32_e32 vcc_lo, 5, v0
	v_cndmask_b32_e32 v10, v10, v7, vcc_lo
	v_cmp_eq_u32_e32 vcc_lo, 6, v0
	s_delay_alu instid0(VALU_DEP_2) | instskip(SKIP_1) | instid1(VALU_DEP_2)
	v_cndmask_b32_e32 v10, v10, v8, vcc_lo
	v_cmp_eq_u32_e32 vcc_lo, 7, v0
	v_cndmask_b32_e32 v10, v10, v9, vcc_lo
	s_wait_dscnt 0x0
	s_delay_alu instid0(VALU_DEP_1)
	v_mul_f32_e32 v13, v10, v11
	s_cbranch_execz .LBB71_122
	s_branch .LBB71_123
.LBB71_121:
                                        ; implicit-def: $vgpr13
.LBB71_122:
	ds_load_b32 v13, v37
.LBB71_123:
	s_mov_b32 s1, exec_lo
	v_cmpx_ne_u32_e32 3, v0
	s_cbranch_execz .LBB71_127
; %bb.124:
	v_mov_b64_e32 v[10:11], v[0:1]
	v_lshl_add_u32 v14, v0, 2, 36
	s_mov_b32 s2, 0
.LBB71_125:                             ; =>This Inner Loop Header: Depth=1
	s_delay_alu instid0(VALU_DEP_2)
	v_add_nc_u64_e32 v[10:11], 1, v[10:11]
	ds_load_b32 v16, v14
	v_add_nc_u32_e32 v14, 4, v14
	v_cmp_eq_u32_e32 vcc_lo, 1, v10
	v_cndmask_b32_e32 v15, v2, v3, vcc_lo
	v_cmp_eq_u32_e32 vcc_lo, 2, v10
	s_delay_alu instid0(VALU_DEP_2) | instskip(SKIP_1) | instid1(VALU_DEP_2)
	v_cndmask_b32_e32 v15, v15, v4, vcc_lo
	v_cmp_eq_u32_e32 vcc_lo, 3, v10
	v_cndmask_b32_e32 v15, v15, v5, vcc_lo
	v_cmp_eq_u32_e32 vcc_lo, 4, v10
	s_delay_alu instid0(VALU_DEP_2) | instskip(SKIP_1) | instid1(VALU_DEP_2)
	v_cndmask_b32_e32 v15, v15, v6, vcc_lo
	;; [unrolled: 5-line block ×3, first 2 shown]
	v_cmp_eq_u32_e32 vcc_lo, 7, v10
	v_cndmask_b32_e32 v15, v15, v9, vcc_lo
	v_cmp_lt_u32_e32 vcc_lo, 2, v10
	s_wait_dscnt 0x0
	s_delay_alu instid0(VALU_DEP_2) | instskip(SKIP_1) | instid1(SALU_CYCLE_1)
	v_fmac_f32_e32 v13, v15, v16
	s_or_b32 s2, vcc_lo, s2
	s_and_not1_b32 exec_lo, exec_lo, s2
	s_cbranch_execnz .LBB71_125
; %bb.126:
	s_or_b32 exec_lo, exec_lo, s2
.LBB71_127:
	s_delay_alu instid0(SALU_CYCLE_1)
	s_or_b32 exec_lo, exec_lo, s1
	v_mov_b32_e32 v6, 0
	ds_load_b32 v6, v6 offset:16
	s_wait_dscnt 0x0
	v_mul_f32_e32 v6, v13, v6
.LBB71_128:
	s_or_b32 exec_lo, exec_lo, s0
	s_delay_alu instid0(SALU_CYCLE_1)
	s_mov_b32 s0, exec_lo
	ds_store_b32 v37, v7
	s_wait_dscnt 0x0
	s_barrier_signal -1
	s_barrier_wait -1
	v_cmpx_gt_u32_e32 5, v0
	s_cbranch_execz .LBB71_138
; %bb.129:
	v_cmp_ne_u32_e32 vcc_lo, 1, v12
	s_cbranch_vccnz .LBB71_131
; %bb.130:
	v_cmp_eq_u32_e32 vcc_lo, 1, v0
	ds_load_b32 v11, v37
	v_cndmask_b32_e32 v10, v2, v3, vcc_lo
	v_cmp_eq_u32_e32 vcc_lo, 2, v0
	s_delay_alu instid0(VALU_DEP_2) | instskip(SKIP_1) | instid1(VALU_DEP_2)
	v_cndmask_b32_e32 v10, v10, v4, vcc_lo
	v_cmp_eq_u32_e32 vcc_lo, 3, v0
	v_cndmask_b32_e32 v10, v10, v5, vcc_lo
	v_cmp_eq_u32_e32 vcc_lo, 4, v0
	s_delay_alu instid0(VALU_DEP_2) | instskip(SKIP_1) | instid1(VALU_DEP_2)
	v_cndmask_b32_e32 v10, v10, v6, vcc_lo
	v_cmp_eq_u32_e32 vcc_lo, 5, v0
	;; [unrolled: 5-line block ×3, first 2 shown]
	v_cndmask_b32_e32 v10, v10, v9, vcc_lo
	s_wait_dscnt 0x0
	s_delay_alu instid0(VALU_DEP_1)
	v_mul_f32_e32 v13, v10, v11
	s_cbranch_execz .LBB71_132
	s_branch .LBB71_133
.LBB71_131:
                                        ; implicit-def: $vgpr13
.LBB71_132:
	ds_load_b32 v13, v37
.LBB71_133:
	s_mov_b32 s1, exec_lo
	v_cmpx_ne_u32_e32 4, v0
	s_cbranch_execz .LBB71_137
; %bb.134:
	v_mov_b64_e32 v[10:11], v[0:1]
	v_lshl_add_u32 v14, v0, 2, 36
	s_mov_b32 s2, 0
.LBB71_135:                             ; =>This Inner Loop Header: Depth=1
	s_delay_alu instid0(VALU_DEP_2)
	v_add_nc_u64_e32 v[10:11], 1, v[10:11]
	ds_load_b32 v16, v14
	v_add_nc_u32_e32 v14, 4, v14
	v_cmp_eq_u32_e32 vcc_lo, 1, v10
	v_cndmask_b32_e32 v15, v2, v3, vcc_lo
	v_cmp_eq_u32_e32 vcc_lo, 2, v10
	s_delay_alu instid0(VALU_DEP_2) | instskip(SKIP_1) | instid1(VALU_DEP_2)
	v_cndmask_b32_e32 v15, v15, v4, vcc_lo
	v_cmp_eq_u32_e32 vcc_lo, 3, v10
	v_cndmask_b32_e32 v15, v15, v5, vcc_lo
	v_cmp_eq_u32_e32 vcc_lo, 4, v10
	s_delay_alu instid0(VALU_DEP_2) | instskip(SKIP_1) | instid1(VALU_DEP_2)
	v_cndmask_b32_e32 v15, v15, v6, vcc_lo
	;; [unrolled: 5-line block ×3, first 2 shown]
	v_cmp_eq_u32_e32 vcc_lo, 7, v10
	v_cndmask_b32_e32 v15, v15, v9, vcc_lo
	v_cmp_lt_u32_e32 vcc_lo, 3, v10
	s_wait_dscnt 0x0
	s_delay_alu instid0(VALU_DEP_2) | instskip(SKIP_1) | instid1(SALU_CYCLE_1)
	v_fmac_f32_e32 v13, v15, v16
	s_or_b32 s2, vcc_lo, s2
	s_and_not1_b32 exec_lo, exec_lo, s2
	s_cbranch_execnz .LBB71_135
; %bb.136:
	s_or_b32 exec_lo, exec_lo, s2
.LBB71_137:
	s_delay_alu instid0(SALU_CYCLE_1)
	s_or_b32 exec_lo, exec_lo, s1
	v_mov_b32_e32 v7, 0
	ds_load_b32 v7, v7 offset:20
	s_wait_dscnt 0x0
	v_mul_f32_e32 v7, v13, v7
.LBB71_138:
	s_or_b32 exec_lo, exec_lo, s0
	v_cmp_gt_u32_e64 s0, 6, v0
	ds_store_b32 v37, v8
	s_wait_dscnt 0x0
	s_barrier_signal -1
	s_barrier_wait -1
	s_and_saveexec_b32 s1, s0
	s_cbranch_execz .LBB71_148
; %bb.139:
	v_cmp_ne_u32_e32 vcc_lo, 1, v12
	s_cbranch_vccnz .LBB71_141
; %bb.140:
	v_cmp_eq_u32_e32 vcc_lo, 1, v0
	ds_load_b32 v11, v37
	v_cndmask_b32_e32 v10, v2, v3, vcc_lo
	v_cmp_eq_u32_e32 vcc_lo, 2, v0
	s_delay_alu instid0(VALU_DEP_2) | instskip(SKIP_1) | instid1(VALU_DEP_2)
	v_cndmask_b32_e32 v10, v10, v4, vcc_lo
	v_cmp_eq_u32_e32 vcc_lo, 3, v0
	v_cndmask_b32_e32 v10, v10, v5, vcc_lo
	v_cmp_eq_u32_e32 vcc_lo, 4, v0
	s_delay_alu instid0(VALU_DEP_2) | instskip(SKIP_1) | instid1(VALU_DEP_2)
	v_cndmask_b32_e32 v10, v10, v6, vcc_lo
	v_cmp_eq_u32_e32 vcc_lo, 5, v0
	;; [unrolled: 5-line block ×3, first 2 shown]
	v_cndmask_b32_e32 v10, v10, v9, vcc_lo
	s_wait_dscnt 0x0
	s_delay_alu instid0(VALU_DEP_1)
	v_mul_f32_e32 v13, v10, v11
	s_cbranch_execz .LBB71_142
	s_branch .LBB71_143
.LBB71_141:
                                        ; implicit-def: $vgpr13
.LBB71_142:
	ds_load_b32 v13, v37
.LBB71_143:
	s_mov_b32 s2, exec_lo
	v_cmpx_ne_u32_e32 5, v0
	s_cbranch_execz .LBB71_147
; %bb.144:
	v_mov_b64_e32 v[10:11], v[0:1]
	v_lshl_add_u32 v14, v0, 2, 36
	s_mov_b32 s3, 0
.LBB71_145:                             ; =>This Inner Loop Header: Depth=1
	s_delay_alu instid0(VALU_DEP_2)
	v_add_nc_u64_e32 v[10:11], 1, v[10:11]
	ds_load_b32 v16, v14
	v_add_nc_u32_e32 v14, 4, v14
	v_cmp_eq_u32_e32 vcc_lo, 1, v10
	v_cndmask_b32_e32 v15, v2, v3, vcc_lo
	v_cmp_eq_u32_e32 vcc_lo, 2, v10
	s_delay_alu instid0(VALU_DEP_2) | instskip(SKIP_1) | instid1(VALU_DEP_2)
	v_cndmask_b32_e32 v15, v15, v4, vcc_lo
	v_cmp_eq_u32_e32 vcc_lo, 3, v10
	v_cndmask_b32_e32 v15, v15, v5, vcc_lo
	v_cmp_eq_u32_e32 vcc_lo, 4, v10
	s_delay_alu instid0(VALU_DEP_2) | instskip(SKIP_1) | instid1(VALU_DEP_2)
	v_cndmask_b32_e32 v15, v15, v6, vcc_lo
	;; [unrolled: 5-line block ×3, first 2 shown]
	v_cmp_eq_u32_e32 vcc_lo, 7, v10
	v_cndmask_b32_e32 v15, v15, v9, vcc_lo
	v_cmp_lt_u32_e32 vcc_lo, 4, v10
	s_wait_dscnt 0x0
	s_delay_alu instid0(VALU_DEP_2) | instskip(SKIP_1) | instid1(SALU_CYCLE_1)
	v_fmac_f32_e32 v13, v15, v16
	s_or_b32 s3, vcc_lo, s3
	s_and_not1_b32 exec_lo, exec_lo, s3
	s_cbranch_execnz .LBB71_145
; %bb.146:
	s_or_b32 exec_lo, exec_lo, s3
.LBB71_147:
	s_delay_alu instid0(SALU_CYCLE_1)
	s_or_b32 exec_lo, exec_lo, s2
	v_mov_b32_e32 v8, 0
	ds_load_b32 v8, v8 offset:24
	s_wait_dscnt 0x0
	v_mul_f32_e32 v8, v13, v8
.LBB71_148:
	s_or_b32 exec_lo, exec_lo, s1
	s_delay_alu instid0(SALU_CYCLE_1)
	s_mov_b32 s1, exec_lo
	ds_store_b32 v37, v9
	s_wait_dscnt 0x0
	s_barrier_signal -1
	s_barrier_wait -1
	v_cmpx_ne_u32_e32 7, v0
	s_cbranch_execz .LBB71_158
; %bb.149:
	v_cmp_ne_u32_e32 vcc_lo, 1, v12
	s_cbranch_vccnz .LBB71_151
; %bb.150:
	v_cmp_eq_u32_e32 vcc_lo, 1, v0
	ds_load_b32 v11, v37
	v_cndmask_b32_e32 v10, v2, v3, vcc_lo
	v_cmp_eq_u32_e32 vcc_lo, 2, v0
	s_delay_alu instid0(VALU_DEP_2) | instskip(SKIP_1) | instid1(VALU_DEP_2)
	v_cndmask_b32_e32 v10, v10, v4, vcc_lo
	v_cmp_eq_u32_e32 vcc_lo, 3, v0
	v_cndmask_b32_e32 v10, v10, v5, vcc_lo
	v_cmp_eq_u32_e32 vcc_lo, 4, v0
	s_delay_alu instid0(VALU_DEP_2) | instskip(SKIP_1) | instid1(VALU_DEP_2)
	v_cndmask_b32_e32 v10, v10, v6, vcc_lo
	v_cmp_eq_u32_e32 vcc_lo, 5, v0
	;; [unrolled: 5-line block ×3, first 2 shown]
	v_cndmask_b32_e32 v10, v10, v9, vcc_lo
	s_wait_dscnt 0x0
	s_delay_alu instid0(VALU_DEP_1)
	v_mul_f32_e32 v10, v10, v11
	s_cbranch_execz .LBB71_152
	s_branch .LBB71_153
.LBB71_151:
                                        ; implicit-def: $vgpr10
.LBB71_152:
	ds_load_b32 v10, v37
.LBB71_153:
	s_and_saveexec_b32 s2, s0
	s_cbranch_execz .LBB71_157
; %bb.154:
	v_lshl_add_u32 v11, v0, 2, 36
	s_mov_b32 s0, 0
.LBB71_155:                             ; =>This Inner Loop Header: Depth=1
	v_add_nc_u64_e32 v[0:1], 1, v[0:1]
	ds_load_b32 v13, v11
	v_add_nc_u32_e32 v11, 4, v11
	v_cmp_eq_u32_e32 vcc_lo, 1, v0
	v_cndmask_b32_e32 v12, v2, v3, vcc_lo
	v_cmp_eq_u32_e32 vcc_lo, 2, v0
	s_delay_alu instid0(VALU_DEP_2) | instskip(SKIP_1) | instid1(VALU_DEP_2)
	v_cndmask_b32_e32 v12, v12, v4, vcc_lo
	v_cmp_eq_u32_e32 vcc_lo, 3, v0
	v_cndmask_b32_e32 v12, v12, v5, vcc_lo
	v_cmp_eq_u32_e32 vcc_lo, 4, v0
	s_delay_alu instid0(VALU_DEP_2) | instskip(SKIP_1) | instid1(VALU_DEP_2)
	v_cndmask_b32_e32 v12, v12, v6, vcc_lo
	;; [unrolled: 5-line block ×3, first 2 shown]
	v_cmp_eq_u32_e32 vcc_lo, 7, v0
	v_cndmask_b32_e32 v12, v12, v9, vcc_lo
	v_cmp_lt_u32_e32 vcc_lo, 5, v0
	s_wait_dscnt 0x0
	s_delay_alu instid0(VALU_DEP_2) | instskip(SKIP_1) | instid1(SALU_CYCLE_1)
	v_fmac_f32_e32 v10, v12, v13
	s_or_b32 s0, vcc_lo, s0
	s_and_not1_b32 exec_lo, exec_lo, s0
	s_cbranch_execnz .LBB71_155
; %bb.156:
	s_or_b32 exec_lo, exec_lo, s0
.LBB71_157:
	s_delay_alu instid0(SALU_CYCLE_1)
	s_or_b32 exec_lo, exec_lo, s2
	v_mov_b32_e32 v0, 0
	ds_load_b32 v0, v0 offset:28
	s_wait_dscnt 0x0
	v_mul_f32_e32 v9, v10, v0
.LBB71_158:
	s_or_b32 exec_lo, exec_lo, s1
	s_delay_alu instid0(VALU_DEP_1)
	v_mov_b64_e32 v[16:17], v[8:9]
	v_mov_b64_e32 v[14:15], v[6:7]
	;; [unrolled: 1-line block ×4, first 2 shown]
.LBB71_159:
	s_wait_xcnt 0x7
	v_lshl_add_u64 v[0:1], v[18:19], 2, s[10:11]
	s_wait_loadcnt_dscnt 0x607
	v_lshl_add_u64 v[2:3], v[20:21], 2, s[10:11]
	s_wait_loadcnt_dscnt 0x405
	;; [unrolled: 2-line block ×4, first 2 shown]
	v_lshl_add_u64 v[8:9], v[30:31], 2, s[10:11]
	v_lshl_add_u64 v[18:19], v[32:33], 2, s[10:11]
	s_clause 0x7
	flat_store_b32 v[22:23], v10
	flat_store_b32 v[26:27], v11
	flat_store_b32 v[0:1], v12
	flat_store_b32 v[2:3], v13
	flat_store_b32 v[4:5], v14
	flat_store_b32 v[6:7], v15
	flat_store_b32 v[8:9], v16
	flat_store_b32 v[18:19], v17
.LBB71_160:
	s_endpgm
	.section	.rodata,"a",@progbits
	.p2align	6, 0x0
	.amdhsa_kernel _ZN9rocsolver6v33100L18trti2_kernel_smallILi8EfPKPfEEv13rocblas_fill_17rocblas_diagonal_T1_iil
		.amdhsa_group_segment_fixed_size 64
		.amdhsa_private_segment_fixed_size 0
		.amdhsa_kernarg_size 32
		.amdhsa_user_sgpr_count 2
		.amdhsa_user_sgpr_dispatch_ptr 0
		.amdhsa_user_sgpr_queue_ptr 0
		.amdhsa_user_sgpr_kernarg_segment_ptr 1
		.amdhsa_user_sgpr_dispatch_id 0
		.amdhsa_user_sgpr_kernarg_preload_length 0
		.amdhsa_user_sgpr_kernarg_preload_offset 0
		.amdhsa_user_sgpr_private_segment_size 0
		.amdhsa_wavefront_size32 1
		.amdhsa_uses_dynamic_stack 0
		.amdhsa_enable_private_segment 0
		.amdhsa_system_sgpr_workgroup_id_x 1
		.amdhsa_system_sgpr_workgroup_id_y 0
		.amdhsa_system_sgpr_workgroup_id_z 0
		.amdhsa_system_sgpr_workgroup_info 0
		.amdhsa_system_vgpr_workitem_id 0
		.amdhsa_next_free_vgpr 49
		.amdhsa_next_free_sgpr 13
		.amdhsa_named_barrier_count 0
		.amdhsa_reserve_vcc 1
		.amdhsa_float_round_mode_32 0
		.amdhsa_float_round_mode_16_64 0
		.amdhsa_float_denorm_mode_32 3
		.amdhsa_float_denorm_mode_16_64 3
		.amdhsa_fp16_overflow 0
		.amdhsa_memory_ordered 1
		.amdhsa_forward_progress 1
		.amdhsa_inst_pref_size 50
		.amdhsa_round_robin_scheduling 0
		.amdhsa_exception_fp_ieee_invalid_op 0
		.amdhsa_exception_fp_denorm_src 0
		.amdhsa_exception_fp_ieee_div_zero 0
		.amdhsa_exception_fp_ieee_overflow 0
		.amdhsa_exception_fp_ieee_underflow 0
		.amdhsa_exception_fp_ieee_inexact 0
		.amdhsa_exception_int_div_zero 0
	.end_amdhsa_kernel
	.section	.text._ZN9rocsolver6v33100L18trti2_kernel_smallILi8EfPKPfEEv13rocblas_fill_17rocblas_diagonal_T1_iil,"axG",@progbits,_ZN9rocsolver6v33100L18trti2_kernel_smallILi8EfPKPfEEv13rocblas_fill_17rocblas_diagonal_T1_iil,comdat
.Lfunc_end71:
	.size	_ZN9rocsolver6v33100L18trti2_kernel_smallILi8EfPKPfEEv13rocblas_fill_17rocblas_diagonal_T1_iil, .Lfunc_end71-_ZN9rocsolver6v33100L18trti2_kernel_smallILi8EfPKPfEEv13rocblas_fill_17rocblas_diagonal_T1_iil
                                        ; -- End function
	.set _ZN9rocsolver6v33100L18trti2_kernel_smallILi8EfPKPfEEv13rocblas_fill_17rocblas_diagonal_T1_iil.num_vgpr, 49
	.set _ZN9rocsolver6v33100L18trti2_kernel_smallILi8EfPKPfEEv13rocblas_fill_17rocblas_diagonal_T1_iil.num_agpr, 0
	.set _ZN9rocsolver6v33100L18trti2_kernel_smallILi8EfPKPfEEv13rocblas_fill_17rocblas_diagonal_T1_iil.numbered_sgpr, 13
	.set _ZN9rocsolver6v33100L18trti2_kernel_smallILi8EfPKPfEEv13rocblas_fill_17rocblas_diagonal_T1_iil.num_named_barrier, 0
	.set _ZN9rocsolver6v33100L18trti2_kernel_smallILi8EfPKPfEEv13rocblas_fill_17rocblas_diagonal_T1_iil.private_seg_size, 0
	.set _ZN9rocsolver6v33100L18trti2_kernel_smallILi8EfPKPfEEv13rocblas_fill_17rocblas_diagonal_T1_iil.uses_vcc, 1
	.set _ZN9rocsolver6v33100L18trti2_kernel_smallILi8EfPKPfEEv13rocblas_fill_17rocblas_diagonal_T1_iil.uses_flat_scratch, 1
	.set _ZN9rocsolver6v33100L18trti2_kernel_smallILi8EfPKPfEEv13rocblas_fill_17rocblas_diagonal_T1_iil.has_dyn_sized_stack, 0
	.set _ZN9rocsolver6v33100L18trti2_kernel_smallILi8EfPKPfEEv13rocblas_fill_17rocblas_diagonal_T1_iil.has_recursion, 0
	.set _ZN9rocsolver6v33100L18trti2_kernel_smallILi8EfPKPfEEv13rocblas_fill_17rocblas_diagonal_T1_iil.has_indirect_call, 0
	.section	.AMDGPU.csdata,"",@progbits
; Kernel info:
; codeLenInByte = 6360
; TotalNumSgprs: 15
; NumVgprs: 49
; ScratchSize: 0
; MemoryBound: 0
; FloatMode: 240
; IeeeMode: 1
; LDSByteSize: 64 bytes/workgroup (compile time only)
; SGPRBlocks: 0
; VGPRBlocks: 3
; NumSGPRsForWavesPerEU: 15
; NumVGPRsForWavesPerEU: 49
; NamedBarCnt: 0
; Occupancy: 16
; WaveLimiterHint : 1
; COMPUTE_PGM_RSRC2:SCRATCH_EN: 0
; COMPUTE_PGM_RSRC2:USER_SGPR: 2
; COMPUTE_PGM_RSRC2:TRAP_HANDLER: 0
; COMPUTE_PGM_RSRC2:TGID_X_EN: 1
; COMPUTE_PGM_RSRC2:TGID_Y_EN: 0
; COMPUTE_PGM_RSRC2:TGID_Z_EN: 0
; COMPUTE_PGM_RSRC2:TIDIG_COMP_CNT: 0
	.section	.text._ZN9rocsolver6v33100L18trti2_kernel_smallILi9EfPKPfEEv13rocblas_fill_17rocblas_diagonal_T1_iil,"axG",@progbits,_ZN9rocsolver6v33100L18trti2_kernel_smallILi9EfPKPfEEv13rocblas_fill_17rocblas_diagonal_T1_iil,comdat
	.globl	_ZN9rocsolver6v33100L18trti2_kernel_smallILi9EfPKPfEEv13rocblas_fill_17rocblas_diagonal_T1_iil ; -- Begin function _ZN9rocsolver6v33100L18trti2_kernel_smallILi9EfPKPfEEv13rocblas_fill_17rocblas_diagonal_T1_iil
	.p2align	8
	.type	_ZN9rocsolver6v33100L18trti2_kernel_smallILi9EfPKPfEEv13rocblas_fill_17rocblas_diagonal_T1_iil,@function
_ZN9rocsolver6v33100L18trti2_kernel_smallILi9EfPKPfEEv13rocblas_fill_17rocblas_diagonal_T1_iil: ; @_ZN9rocsolver6v33100L18trti2_kernel_smallILi9EfPKPfEEv13rocblas_fill_17rocblas_diagonal_T1_iil
; %bb.0:
	s_mov_b32 s2, exec_lo
	v_cmpx_gt_u32_e32 9, v0
	s_cbranch_execz .LBB72_186
; %bb.1:
	s_clause 0x1
	s_load_b64 s[2:3], s[0:1], 0x10
	s_load_b128 s[12:15], s[0:1], 0x0
	s_wait_xcnt 0x0
	s_bfe_u32 s0, ttmp6, 0x4000c
	s_and_b32 s1, ttmp6, 15
	s_add_co_i32 s0, s0, 1
	s_getreg_b32 s4, hwreg(HW_REG_IB_STS2, 6, 4)
	s_mul_i32 s0, ttmp9, s0
	v_mov_b32_e32 v1, 0
	s_add_co_i32 s0, s1, s0
	s_delay_alu instid0(VALU_DEP_1)
	v_mov_b32_e32 v13, v1
	s_wait_kmcnt 0x0
	s_ashr_i32 s1, s2, 31
	s_cmp_eq_u32 s4, 0
	v_add3_u32 v22, s3, s3, v0
	s_cselect_b32 s4, ttmp9, s0
	s_mov_b32 s0, s2
	s_ashr_i32 s5, s4, 31
	s_lshl_b64 s[0:1], s[0:1], 2
	s_lshl_b64 s[4:5], s[4:5], 3
	v_add_nc_u32_e32 v24, s3, v22
	s_add_nc_u64 s[4:5], s[14:15], s[4:5]
	s_load_b64 s[4:5], s[4:5], 0x0
	s_delay_alu instid0(VALU_DEP_1) | instskip(NEXT) | instid1(VALU_DEP_1)
	v_add_nc_u32_e32 v26, s3, v24
	v_dual_lshlrev_b32 v12, 2, v0 :: v_dual_add_nc_u32 v30, s3, v26
	s_delay_alu instid0(VALU_DEP_1) | instskip(NEXT) | instid1(VALU_DEP_1)
	v_add_nc_u32_e32 v34, s3, v30
	v_add_nc_u32_e32 v36, s3, v34
	s_wait_kmcnt 0x0
	s_add_nc_u64 s[10:11], s[4:5], s[0:1]
	s_mov_b32 s0, s3
	v_add_nc_u64_e32 v[28:29], s[10:11], v[12:13]
	s_ashr_i32 s1, s3, 31
	v_dual_mov_b32 v13, -1.0 :: v_dual_add_nc_u32 v38, s3, v36
	s_cmp_lg_u32 s13, 0x84
	s_cselect_b32 s9, -1, 0
	s_delay_alu instid0(VALU_DEP_2)
	v_lshl_add_u64 v[32:33], s[0:1], 2, v[28:29]
	v_cmp_eq_u32_e64 s0, 0, v0
	s_cmp_eq_u32 s13, 0x84
	s_clause 0x8
	flat_load_b32 v2, v0, s[10:11] scale_offset
	flat_load_b32 v3, v[32:33]
	flat_load_b32 v4, v22, s[10:11] scale_offset
	flat_load_b32 v5, v24, s[10:11] scale_offset
	;; [unrolled: 1-line block ×7, first 2 shown]
	s_cbranch_scc1 .LBB72_3
; %bb.2:
	v_cmp_eq_u32_e64 s1, 1, v0
	v_cmp_eq_u32_e64 s2, 2, v0
	;; [unrolled: 1-line block ×5, first 2 shown]
	s_wait_loadcnt_dscnt 0x707
	v_cndmask_b32_e64 v11, v2, v3, s1
	v_cmp_eq_u32_e64 s6, 6, v0
	v_cmp_eq_u32_e64 s7, 7, v0
	v_cmp_eq_u32_e64 s8, 8, v0
	s_wait_loadcnt_dscnt 0x606
	v_cndmask_b32_e64 v11, v11, v4, s2
	s_wait_loadcnt_dscnt 0x505
	s_delay_alu instid0(VALU_DEP_1) | instskip(SKIP_1) | instid1(VALU_DEP_1)
	v_cndmask_b32_e64 v11, v11, v5, s3
	s_wait_loadcnt_dscnt 0x404
	v_cndmask_b32_e64 v11, v11, v6, s4
	s_wait_loadcnt_dscnt 0x303
	s_delay_alu instid0(VALU_DEP_1) | instskip(SKIP_1) | instid1(VALU_DEP_1)
	v_cndmask_b32_e64 v11, v11, v7, s5
	;; [unrolled: 5-line block ×3, first 2 shown]
	s_wait_loadcnt_dscnt 0x0
	v_cndmask_b32_e64 v11, v11, v10, s8
	s_delay_alu instid0(VALU_DEP_1) | instskip(SKIP_1) | instid1(VALU_DEP_2)
	v_div_scale_f32 v13, null, v11, v11, 1.0
	v_div_scale_f32 v16, vcc_lo, 1.0, v11, 1.0
	v_rcp_f32_e32 v14, v13
	v_nop
	s_delay_alu instid0(TRANS32_DEP_1) | instskip(NEXT) | instid1(VALU_DEP_1)
	v_fma_f32 v15, -v13, v14, 1.0
	v_fmac_f32_e32 v14, v15, v14
	s_delay_alu instid0(VALU_DEP_1) | instskip(NEXT) | instid1(VALU_DEP_1)
	v_mul_f32_e32 v15, v16, v14
	v_fma_f32 v17, -v13, v15, v16
	s_delay_alu instid0(VALU_DEP_1) | instskip(NEXT) | instid1(VALU_DEP_1)
	v_fmac_f32_e32 v15, v17, v14
	v_fma_f32 v13, -v13, v15, v16
	s_delay_alu instid0(VALU_DEP_1) | instskip(NEXT) | instid1(VALU_DEP_1)
	v_div_fmas_f32 v13, v13, v14, v15
	v_div_fixup_f32 v11, v13, v11, 1.0
	s_delay_alu instid0(VALU_DEP_1)
	v_dual_cndmask_b32 v10, v10, v11, s8 :: v_dual_cndmask_b32 v9, v9, v11, s7
	v_dual_cndmask_b32 v8, v8, v11, s6 :: v_dual_cndmask_b32 v7, v7, v11, s5
	;; [unrolled: 1-line block ×4, first 2 shown]
	v_cndmask_b32_e64 v2, v2, v11, s0
	v_xor_b32_e32 v13, 0x80000000, v11
.LBB72_3:
	v_dual_ashrrev_i32 v23, 31, v22 :: v_dual_ashrrev_i32 v25, 31, v24
	v_dual_ashrrev_i32 v27, 31, v26 :: v_dual_ashrrev_i32 v37, 31, v36
	v_dual_ashrrev_i32 v31, 31, v30 :: v_dual_add_nc_u32 v11, 48, v12
	v_ashrrev_i32_e32 v35, 31, v34
	v_ashrrev_i32_e32 v39, 31, v38
	s_cmp_eq_u32 s12, 0x79
	ds_store_b32 v12, v13
	s_cbranch_scc1 .LBB72_7
; %bb.4:
	s_wait_loadcnt_dscnt 0x1
	v_dual_mov_b32 v20, v10 :: v_dual_mov_b32 v19, v9
	v_dual_mov_b32 v18, v8 :: v_dual_mov_b32 v17, v7
	;; [unrolled: 1-line block ×4, first 2 shown]
	v_mov_b32_e32 v12, v2
	v_cmp_eq_u32_e64 s1, 8, v0
	ds_store_b32 v11, v9
	s_wait_dscnt 0x0
	s_barrier_signal -1
	s_barrier_wait -1
	s_and_saveexec_b32 s0, s1
	s_cbranch_execz .LBB72_11
; %bb.5:
	s_and_b32 vcc_lo, exec_lo, s9
	s_cbranch_vccz .LBB72_8
; %bb.6:
	v_cmp_eq_u32_e32 vcc_lo, 1, v0
	ds_load_b32 v13, v11
	v_cndmask_b32_e32 v12, v2, v3, vcc_lo
	v_cmp_eq_u32_e32 vcc_lo, 2, v0
	s_delay_alu instid0(VALU_DEP_2) | instskip(SKIP_1) | instid1(VALU_DEP_2)
	v_cndmask_b32_e32 v12, v12, v4, vcc_lo
	v_cmp_eq_u32_e32 vcc_lo, 3, v0
	v_cndmask_b32_e32 v12, v12, v5, vcc_lo
	v_cmp_eq_u32_e32 vcc_lo, 4, v0
	s_delay_alu instid0(VALU_DEP_2) | instskip(SKIP_1) | instid1(VALU_DEP_2)
	v_cndmask_b32_e32 v12, v12, v6, vcc_lo
	v_cmp_eq_u32_e32 vcc_lo, 5, v0
	;; [unrolled: 5-line block ×3, first 2 shown]
	v_cndmask_b32_e32 v12, v12, v9, vcc_lo
	v_cmp_eq_u32_e32 vcc_lo, 8, v0
	s_delay_alu instid0(VALU_DEP_2) | instskip(SKIP_1) | instid1(VALU_DEP_1)
	v_cndmask_b32_e32 v12, v12, v10, vcc_lo
	s_wait_dscnt 0x0
	v_mul_f32_e32 v12, v12, v13
	s_cbranch_execz .LBB72_9
	s_branch .LBB72_10
.LBB72_7:
                                        ; implicit-def: $vgpr12_vgpr13_vgpr14_vgpr15_vgpr16_vgpr17_vgpr18_vgpr19_vgpr20
	s_cbranch_execnz .LBB72_114
	s_branch .LBB72_185
.LBB72_8:
                                        ; implicit-def: $vgpr12
.LBB72_9:
	ds_load_b32 v12, v11
.LBB72_10:
	v_mov_b32_e32 v13, 0
	ds_load_b32 v13, v13 offset:28
	s_wait_dscnt 0x0
	v_dual_mul_f32 v21, v12, v13 :: v_dual_mov_b32 v20, v10
	v_dual_mov_b32 v19, v9 :: v_dual_mov_b32 v18, v8
	v_dual_mov_b32 v17, v7 :: v_dual_mov_b32 v16, v6
	;; [unrolled: 1-line block ×4, first 2 shown]
	v_mov_b32_e32 v19, v21
.LBB72_11:
	s_or_b32 exec_lo, exec_lo, s0
	v_cmp_lt_u32_e64 s0, 6, v0
	ds_store_b32 v11, v18
	s_wait_dscnt 0x0
	s_barrier_signal -1
	s_barrier_wait -1
	s_and_saveexec_b32 s2, s0
	s_cbranch_execz .LBB72_17
; %bb.12:
	s_and_not1_b32 vcc_lo, exec_lo, s9
	s_cbranch_vccnz .LBB72_14
; %bb.13:
	v_cmp_eq_u32_e32 vcc_lo, 1, v0
	ds_load_b32 v40, v11
	v_cndmask_b32_e32 v21, v12, v13, vcc_lo
	v_cmp_eq_u32_e32 vcc_lo, 2, v0
	s_delay_alu instid0(VALU_DEP_2) | instskip(SKIP_1) | instid1(VALU_DEP_2)
	v_cndmask_b32_e32 v21, v21, v14, vcc_lo
	v_cmp_eq_u32_e32 vcc_lo, 3, v0
	v_cndmask_b32_e32 v21, v21, v15, vcc_lo
	v_cmp_eq_u32_e32 vcc_lo, 4, v0
	s_delay_alu instid0(VALU_DEP_2) | instskip(SKIP_1) | instid1(VALU_DEP_2)
	v_cndmask_b32_e32 v21, v21, v16, vcc_lo
	v_cmp_eq_u32_e32 vcc_lo, 5, v0
	;; [unrolled: 5-line block ×3, first 2 shown]
	v_cndmask_b32_e32 v18, v18, v19, vcc_lo
	v_cmp_eq_u32_e32 vcc_lo, 8, v0
	s_delay_alu instid0(VALU_DEP_2) | instskip(SKIP_1) | instid1(VALU_DEP_1)
	v_cndmask_b32_e32 v18, v18, v20, vcc_lo
	s_wait_dscnt 0x0
	v_mul_f32_e32 v18, v18, v40
	s_cbranch_execz .LBB72_15
	s_branch .LBB72_16
.LBB72_14:
                                        ; implicit-def: $vgpr18
.LBB72_15:
	ds_load_b32 v18, v11
.LBB72_16:
	v_mov_b32_e32 v21, 0
	ds_load_2addr_b32 v[40:41], v21 offset0:6 offset1:19
	s_wait_dscnt 0x0
	v_fma_f32 v21, v19, v41, v18
	s_delay_alu instid0(VALU_DEP_1) | instskip(NEXT) | instid1(VALU_DEP_1)
	v_cndmask_b32_e64 v18, v18, v21, s1
	v_mul_f32_e32 v18, v18, v40
.LBB72_17:
	s_or_b32 exec_lo, exec_lo, s2
	v_cmp_lt_u32_e64 s1, 5, v0
	ds_store_b32 v11, v17
	s_wait_dscnt 0x0
	s_barrier_signal -1
	s_barrier_wait -1
	s_and_saveexec_b32 s4, s1
	s_cbranch_execz .LBB72_33
; %bb.18:
	s_and_not1_b32 vcc_lo, exec_lo, s9
	s_cbranch_vccnz .LBB72_20
; %bb.19:
	v_cmp_eq_u32_e32 vcc_lo, 1, v0
	ds_load_b32 v40, v11
	v_cndmask_b32_e32 v21, v12, v13, vcc_lo
	v_cmp_eq_u32_e32 vcc_lo, 2, v0
	s_delay_alu instid0(VALU_DEP_2) | instskip(SKIP_1) | instid1(VALU_DEP_2)
	v_cndmask_b32_e32 v21, v21, v14, vcc_lo
	v_cmp_eq_u32_e32 vcc_lo, 3, v0
	v_cndmask_b32_e32 v21, v21, v15, vcc_lo
	v_cmp_eq_u32_e32 vcc_lo, 4, v0
	s_delay_alu instid0(VALU_DEP_2) | instskip(SKIP_1) | instid1(VALU_DEP_2)
	v_cndmask_b32_e32 v21, v21, v16, vcc_lo
	v_cmp_eq_u32_e32 vcc_lo, 5, v0
	;; [unrolled: 5-line block ×3, first 2 shown]
	v_cndmask_b32_e32 v21, v21, v19, vcc_lo
	v_cmp_eq_u32_e32 vcc_lo, 8, v0
	s_delay_alu instid0(VALU_DEP_2) | instskip(SKIP_1) | instid1(VALU_DEP_1)
	v_cndmask_b32_e32 v21, v21, v20, vcc_lo
	s_wait_dscnt 0x0
	v_mul_f32_e32 v21, v21, v40
	s_cbranch_execz .LBB72_21
	s_branch .LBB72_22
.LBB72_20:
                                        ; implicit-def: $vgpr21
.LBB72_21:
	ds_load_b32 v21, v11
.LBB72_22:
	s_and_saveexec_b32 s5, s0
	s_cbranch_execz .LBB72_32
; %bb.23:
	v_dual_add_nc_u32 v42, -7, v0 :: v_dual_add_nc_u32 v41, -6, v0
	v_mov_b32_e32 v40, 6
	s_mov_b32 s0, exec_lo
	s_delay_alu instid0(VALU_DEP_2)
	v_cmpx_lt_u32_e32 6, v42
	s_cbranch_execz .LBB72_27
; %bb.24:
	v_and_b32_e32 v40, -8, v41
	s_mov_b32 s6, 0
	s_mov_b64 s[2:3], 13
	s_movk_i32 s7, 0x48
	s_delay_alu instid0(VALU_DEP_1)
	v_sub_nc_u32_e32 v42, 0, v40
.LBB72_25:                              ; =>This Inner Loop Header: Depth=1
	s_add_co_i32 m0, s2, -7
	v_movrels_b32_e32 v43, v12
	v_mov_b32_e32 v40, s7
	s_add_co_i32 m0, s2, -6
	s_add_co_i32 s7, s7, 32
	v_movrels_b32_e32 v52, v12
	s_add_co_i32 m0, s2, -5
	ds_load_2addr_b64 v[44:47], v40 offset1:1
	ds_load_2addr_b64 v[48:51], v40 offset0:2 offset1:3
	v_movrels_b32_e32 v40, v12
	s_add_co_i32 m0, s2, -4
	s_wait_dscnt 0x1
	v_fmac_f32_e32 v21, v43, v44
	v_movrels_b32_e32 v43, v12
	s_add_co_i32 m0, s2, -3
	s_delay_alu instid0(VALU_DEP_2) | instskip(NEXT) | instid1(VALU_DEP_1)
	v_fmac_f32_e32 v21, v52, v45
	v_fmac_f32_e32 v21, v40, v46
	v_movrels_b32_e32 v40, v12
	s_add_co_i32 m0, s2, -2
	s_delay_alu instid0(VALU_DEP_2) | instskip(SKIP_3) | instid1(VALU_DEP_2)
	v_fmac_f32_e32 v21, v43, v47
	v_movrels_b32_e32 v43, v12
	s_add_co_i32 m0, s2, -1
	s_wait_dscnt 0x0
	v_fmac_f32_e32 v21, v40, v48
	v_movrels_b32_e32 v40, v12
	s_mov_b32 m0, s2
	s_add_nc_u64 s[2:3], s[2:3], 8
	v_movrels_b32_e32 v44, v12
	v_dual_fmac_f32 v21, v43, v49 :: v_dual_add_nc_u32 v43, s2, v42
	s_add_co_i32 s8, s2, -7
	s_delay_alu instid0(VALU_DEP_1) | instskip(NEXT) | instid1(VALU_DEP_2)
	v_fmac_f32_e32 v21, v40, v50
	v_cmp_eq_u32_e32 vcc_lo, 13, v43
	s_delay_alu instid0(VALU_DEP_2) | instskip(SKIP_1) | instid1(SALU_CYCLE_1)
	v_dual_mov_b32 v40, s8 :: v_dual_fmac_f32 v21, v44, v51
	s_or_b32 s6, vcc_lo, s6
	s_and_not1_b32 exec_lo, exec_lo, s6
	s_cbranch_execnz .LBB72_25
; %bb.26:
	s_or_b32 exec_lo, exec_lo, s6
.LBB72_27:
	s_delay_alu instid0(SALU_CYCLE_1) | instskip(SKIP_3) | instid1(VALU_DEP_1)
	s_or_b32 exec_lo, exec_lo, s0
	v_and_b32_e32 v42, 7, v41
	s_mov_b32 s2, 0
	s_mov_b32 s0, exec_lo
	v_cmpx_ne_u32_e32 0, v42
	s_cbranch_execz .LBB72_31
; %bb.28:
	v_lshl_add_u32 v43, v40, 2, 48
	v_mov_b32_e32 v41, 0
.LBB72_29:                              ; =>This Inner Loop Header: Depth=1
	v_cmp_eq_u32_e32 vcc_lo, 1, v40
	ds_load_b32 v45, v43
	v_dual_add_nc_u32 v42, -1, v42 :: v_dual_add_nc_u32 v43, 4, v43
	v_cndmask_b32_e32 v44, v12, v13, vcc_lo
	v_cmp_eq_u32_e32 vcc_lo, 2, v40
	s_delay_alu instid0(VALU_DEP_2) | instskip(SKIP_1) | instid1(VALU_DEP_2)
	v_cndmask_b32_e32 v44, v44, v14, vcc_lo
	v_cmp_eq_u32_e32 vcc_lo, 3, v40
	v_cndmask_b32_e32 v44, v44, v15, vcc_lo
	v_cmp_eq_u32_e32 vcc_lo, 4, v40
	s_delay_alu instid0(VALU_DEP_2) | instskip(SKIP_1) | instid1(VALU_DEP_2)
	v_cndmask_b32_e32 v44, v44, v16, vcc_lo
	v_cmp_eq_u32_e32 vcc_lo, 5, v40
	;; [unrolled: 5-line block ×3, first 2 shown]
	v_cndmask_b32_e32 v44, v44, v19, vcc_lo
	v_cmp_eq_u32_e32 vcc_lo, 8, v40
	v_add_nc_u64_e32 v[40:41], 1, v[40:41]
	s_delay_alu instid0(VALU_DEP_3) | instskip(SKIP_2) | instid1(VALU_DEP_2)
	v_cndmask_b32_e32 v44, v44, v20, vcc_lo
	v_cmp_eq_u32_e32 vcc_lo, 0, v42
	s_wait_dscnt 0x0
	v_fmac_f32_e32 v21, v44, v45
	s_or_b32 s2, vcc_lo, s2
	s_delay_alu instid0(SALU_CYCLE_1)
	s_and_not1_b32 exec_lo, exec_lo, s2
	s_cbranch_execnz .LBB72_29
; %bb.30:
	s_or_b32 exec_lo, exec_lo, s2
.LBB72_31:
	s_delay_alu instid0(SALU_CYCLE_1)
	s_or_b32 exec_lo, exec_lo, s0
.LBB72_32:
	s_delay_alu instid0(SALU_CYCLE_1)
	s_or_b32 exec_lo, exec_lo, s5
	v_mov_b32_e32 v17, 0
	ds_load_b32 v17, v17 offset:20
	s_wait_dscnt 0x0
	v_mul_f32_e32 v17, v21, v17
.LBB72_33:
	s_or_b32 exec_lo, exec_lo, s4
	v_cmp_lt_u32_e64 s0, 4, v0
	ds_store_b32 v11, v16
	s_wait_dscnt 0x0
	s_barrier_signal -1
	s_barrier_wait -1
	s_and_saveexec_b32 s4, s0
	s_cbranch_execz .LBB72_49
; %bb.34:
	s_and_not1_b32 vcc_lo, exec_lo, s9
	s_cbranch_vccnz .LBB72_36
; %bb.35:
	v_cmp_eq_u32_e32 vcc_lo, 1, v0
	ds_load_b32 v40, v11
	v_cndmask_b32_e32 v21, v12, v13, vcc_lo
	v_cmp_eq_u32_e32 vcc_lo, 2, v0
	s_delay_alu instid0(VALU_DEP_2) | instskip(SKIP_1) | instid1(VALU_DEP_2)
	v_cndmask_b32_e32 v21, v21, v14, vcc_lo
	v_cmp_eq_u32_e32 vcc_lo, 3, v0
	v_cndmask_b32_e32 v21, v21, v15, vcc_lo
	v_cmp_eq_u32_e32 vcc_lo, 4, v0
	s_delay_alu instid0(VALU_DEP_2) | instskip(SKIP_1) | instid1(VALU_DEP_2)
	v_cndmask_b32_e32 v21, v21, v16, vcc_lo
	v_cmp_eq_u32_e32 vcc_lo, 5, v0
	;; [unrolled: 5-line block ×3, first 2 shown]
	v_cndmask_b32_e32 v21, v21, v19, vcc_lo
	v_cmp_eq_u32_e32 vcc_lo, 8, v0
	s_delay_alu instid0(VALU_DEP_2) | instskip(SKIP_1) | instid1(VALU_DEP_1)
	v_cndmask_b32_e32 v21, v21, v20, vcc_lo
	s_wait_dscnt 0x0
	v_mul_f32_e32 v21, v21, v40
	s_cbranch_execz .LBB72_37
	s_branch .LBB72_38
.LBB72_36:
                                        ; implicit-def: $vgpr21
.LBB72_37:
	ds_load_b32 v21, v11
.LBB72_38:
	s_and_saveexec_b32 s5, s1
	s_cbranch_execz .LBB72_48
; %bb.39:
	v_dual_add_nc_u32 v40, -6, v0 :: v_dual_add_nc_u32 v41, -5, v0
	s_delay_alu instid0(VALU_DEP_1)
	v_cmp_lt_u32_e32 vcc_lo, 6, v40
	v_mov_b32_e32 v40, 5
	s_and_saveexec_b32 s1, vcc_lo
	s_cbranch_execz .LBB72_43
; %bb.40:
	v_and_b32_e32 v40, -8, v41
	s_mov_b32 s6, 0
	s_mov_b64 s[2:3], 12
	s_movk_i32 s7, 0x44
	s_delay_alu instid0(VALU_DEP_1)
	v_sub_nc_u32_e32 v42, 0, v40
.LBB72_41:                              ; =>This Inner Loop Header: Depth=1
	s_add_co_i32 m0, s2, -7
	v_movrels_b32_e32 v43, v12
	v_mov_b32_e32 v40, s7
	s_add_co_i32 m0, s2, -6
	s_add_co_i32 s7, s7, 32
	v_movrels_b32_e32 v52, v12
	ds_load_2addr_b32 v[44:45], v40 offset1:1
	ds_load_2addr_b32 v[46:47], v40 offset0:2 offset1:3
	s_add_co_i32 m0, s2, -5
	s_wait_dscnt 0x1
	v_fmac_f32_e32 v21, v43, v44
	ds_load_2addr_b32 v[48:49], v40 offset0:4 offset1:5
	ds_load_2addr_b32 v[50:51], v40 offset0:6 offset1:7
	v_movrels_b32_e32 v40, v12
	s_add_co_i32 m0, s2, -4
	v_fmac_f32_e32 v21, v52, v45
	v_movrels_b32_e32 v43, v12
	s_add_co_i32 m0, s2, -3
	s_wait_dscnt 0x2
	s_delay_alu instid0(VALU_DEP_2) | instskip(SKIP_2) | instid1(VALU_DEP_2)
	v_fmac_f32_e32 v21, v40, v46
	v_movrels_b32_e32 v40, v12
	s_add_co_i32 m0, s2, -2
	v_fmac_f32_e32 v21, v43, v47
	v_movrels_b32_e32 v43, v12
	s_add_co_i32 m0, s2, -1
	s_wait_dscnt 0x1
	s_delay_alu instid0(VALU_DEP_2)
	v_fmac_f32_e32 v21, v40, v48
	v_movrels_b32_e32 v40, v12
	s_mov_b32 m0, s2
	s_add_nc_u64 s[2:3], s[2:3], 8
	v_movrels_b32_e32 v44, v12
	v_dual_fmac_f32 v21, v43, v49 :: v_dual_add_nc_u32 v43, s2, v42
	s_add_co_i32 s8, s2, -7
	s_wait_dscnt 0x0
	s_delay_alu instid0(VALU_DEP_1) | instskip(NEXT) | instid1(VALU_DEP_2)
	v_fmac_f32_e32 v21, v40, v50
	v_cmp_eq_u32_e32 vcc_lo, 12, v43
	s_delay_alu instid0(VALU_DEP_2) | instskip(SKIP_1) | instid1(SALU_CYCLE_1)
	v_dual_mov_b32 v40, s8 :: v_dual_fmac_f32 v21, v44, v51
	s_or_b32 s6, vcc_lo, s6
	s_and_not1_b32 exec_lo, exec_lo, s6
	s_cbranch_execnz .LBB72_41
; %bb.42:
	s_or_b32 exec_lo, exec_lo, s6
.LBB72_43:
	s_delay_alu instid0(SALU_CYCLE_1) | instskip(SKIP_3) | instid1(VALU_DEP_1)
	s_or_b32 exec_lo, exec_lo, s1
	v_and_b32_e32 v42, 7, v41
	s_mov_b32 s2, 0
	s_mov_b32 s1, exec_lo
	v_cmpx_ne_u32_e32 0, v42
	s_cbranch_execz .LBB72_47
; %bb.44:
	v_lshl_add_u32 v43, v40, 2, 48
	v_mov_b32_e32 v41, 0
.LBB72_45:                              ; =>This Inner Loop Header: Depth=1
	v_cmp_eq_u32_e32 vcc_lo, 1, v40
	ds_load_b32 v45, v43
	v_dual_add_nc_u32 v42, -1, v42 :: v_dual_add_nc_u32 v43, 4, v43
	v_cndmask_b32_e32 v44, v12, v13, vcc_lo
	v_cmp_eq_u32_e32 vcc_lo, 2, v40
	s_delay_alu instid0(VALU_DEP_2) | instskip(SKIP_1) | instid1(VALU_DEP_2)
	v_cndmask_b32_e32 v44, v44, v14, vcc_lo
	v_cmp_eq_u32_e32 vcc_lo, 3, v40
	v_cndmask_b32_e32 v44, v44, v15, vcc_lo
	v_cmp_eq_u32_e32 vcc_lo, 4, v40
	s_delay_alu instid0(VALU_DEP_2) | instskip(SKIP_1) | instid1(VALU_DEP_2)
	v_cndmask_b32_e32 v44, v44, v16, vcc_lo
	v_cmp_eq_u32_e32 vcc_lo, 5, v40
	;; [unrolled: 5-line block ×3, first 2 shown]
	v_cndmask_b32_e32 v44, v44, v19, vcc_lo
	v_cmp_eq_u32_e32 vcc_lo, 8, v40
	v_add_nc_u64_e32 v[40:41], 1, v[40:41]
	s_delay_alu instid0(VALU_DEP_3) | instskip(SKIP_2) | instid1(VALU_DEP_2)
	v_cndmask_b32_e32 v44, v44, v20, vcc_lo
	v_cmp_eq_u32_e32 vcc_lo, 0, v42
	s_wait_dscnt 0x0
	v_fmac_f32_e32 v21, v44, v45
	s_or_b32 s2, vcc_lo, s2
	s_delay_alu instid0(SALU_CYCLE_1)
	s_and_not1_b32 exec_lo, exec_lo, s2
	s_cbranch_execnz .LBB72_45
; %bb.46:
	s_or_b32 exec_lo, exec_lo, s2
.LBB72_47:
	s_delay_alu instid0(SALU_CYCLE_1)
	s_or_b32 exec_lo, exec_lo, s1
.LBB72_48:
	s_delay_alu instid0(SALU_CYCLE_1)
	s_or_b32 exec_lo, exec_lo, s5
	v_mov_b32_e32 v16, 0
	ds_load_b32 v16, v16 offset:16
	s_wait_dscnt 0x0
	v_mul_f32_e32 v16, v21, v16
.LBB72_49:
	s_or_b32 exec_lo, exec_lo, s4
	v_cmp_lt_u32_e64 s1, 3, v0
	ds_store_b32 v11, v15
	s_wait_dscnt 0x0
	s_barrier_signal -1
	s_barrier_wait -1
	s_and_saveexec_b32 s4, s1
	s_cbranch_execz .LBB72_65
; %bb.50:
	s_and_not1_b32 vcc_lo, exec_lo, s9
	s_cbranch_vccnz .LBB72_52
; %bb.51:
	v_cmp_eq_u32_e32 vcc_lo, 1, v0
	ds_load_b32 v40, v11
	v_cndmask_b32_e32 v21, v12, v13, vcc_lo
	v_cmp_eq_u32_e32 vcc_lo, 2, v0
	s_delay_alu instid0(VALU_DEP_2) | instskip(SKIP_1) | instid1(VALU_DEP_2)
	v_cndmask_b32_e32 v21, v21, v14, vcc_lo
	v_cmp_eq_u32_e32 vcc_lo, 3, v0
	v_cndmask_b32_e32 v21, v21, v15, vcc_lo
	v_cmp_eq_u32_e32 vcc_lo, 4, v0
	s_delay_alu instid0(VALU_DEP_2) | instskip(SKIP_1) | instid1(VALU_DEP_2)
	v_cndmask_b32_e32 v21, v21, v16, vcc_lo
	v_cmp_eq_u32_e32 vcc_lo, 5, v0
	;; [unrolled: 5-line block ×3, first 2 shown]
	v_cndmask_b32_e32 v21, v21, v19, vcc_lo
	v_cmp_eq_u32_e32 vcc_lo, 8, v0
	s_delay_alu instid0(VALU_DEP_2) | instskip(SKIP_1) | instid1(VALU_DEP_1)
	v_cndmask_b32_e32 v21, v21, v20, vcc_lo
	s_wait_dscnt 0x0
	v_mul_f32_e32 v21, v21, v40
	s_cbranch_execz .LBB72_53
	s_branch .LBB72_54
.LBB72_52:
                                        ; implicit-def: $vgpr21
.LBB72_53:
	ds_load_b32 v21, v11
.LBB72_54:
	s_and_saveexec_b32 s5, s0
	s_cbranch_execz .LBB72_64
; %bb.55:
	v_dual_add_nc_u32 v40, -5, v0 :: v_dual_add_nc_u32 v41, -4, v0
	s_delay_alu instid0(VALU_DEP_1)
	v_cmp_lt_u32_e32 vcc_lo, 6, v40
	v_mov_b32_e32 v40, 4
	s_and_saveexec_b32 s0, vcc_lo
	s_cbranch_execz .LBB72_59
; %bb.56:
	v_and_b32_e32 v40, -8, v41
	s_mov_b32 s6, 0
	s_mov_b64 s[2:3], 5
	s_mov_b32 s7, 64
	s_delay_alu instid0(VALU_DEP_1)
	v_sub_nc_u32_e32 v42, 0, v40
.LBB72_57:                              ; =>This Inner Loop Header: Depth=1
	s_add_co_i32 m0, s2, -1
	v_movrels_b32_e32 v43, v12
	v_mov_b32_e32 v40, s7
	s_mov_b32 m0, s2
	s_add_co_i32 s7, s7, 32
	v_movrels_b32_e32 v52, v12
	s_add_co_i32 m0, s2, 1
	ds_load_b128 v[44:47], v40
	ds_load_b128 v[48:51], v40 offset:16
	v_movrels_b32_e32 v40, v12
	s_add_co_i32 m0, s2, 2
	s_wait_dscnt 0x1
	v_fmac_f32_e32 v21, v43, v44
	v_movrels_b32_e32 v43, v12
	s_add_co_i32 m0, s2, 3
	s_delay_alu instid0(VALU_DEP_2) | instskip(NEXT) | instid1(VALU_DEP_1)
	v_fmac_f32_e32 v21, v52, v45
	v_fmac_f32_e32 v21, v40, v46
	v_movrels_b32_e32 v40, v12
	s_add_co_i32 m0, s2, 4
	s_delay_alu instid0(VALU_DEP_2) | instskip(SKIP_3) | instid1(VALU_DEP_2)
	v_fmac_f32_e32 v21, v43, v47
	v_movrels_b32_e32 v43, v12
	s_add_co_i32 m0, s2, 5
	s_wait_dscnt 0x0
	v_fmac_f32_e32 v21, v40, v48
	v_movrels_b32_e32 v40, v12
	s_add_co_i32 m0, s2, 6
	s_add_nc_u64 s[2:3], s[2:3], 8
	v_movrels_b32_e32 v44, v12
	v_dual_fmac_f32 v21, v43, v49 :: v_dual_add_nc_u32 v43, s2, v42
	s_add_co_i32 s8, s2, -1
	s_delay_alu instid0(VALU_DEP_1) | instskip(NEXT) | instid1(VALU_DEP_2)
	v_fmac_f32_e32 v21, v40, v50
	v_cmp_eq_u32_e32 vcc_lo, 5, v43
	s_delay_alu instid0(VALU_DEP_2) | instskip(SKIP_1) | instid1(SALU_CYCLE_1)
	v_dual_mov_b32 v40, s8 :: v_dual_fmac_f32 v21, v44, v51
	s_or_b32 s6, vcc_lo, s6
	s_and_not1_b32 exec_lo, exec_lo, s6
	s_cbranch_execnz .LBB72_57
; %bb.58:
	s_or_b32 exec_lo, exec_lo, s6
.LBB72_59:
	s_delay_alu instid0(SALU_CYCLE_1) | instskip(SKIP_3) | instid1(VALU_DEP_1)
	s_or_b32 exec_lo, exec_lo, s0
	v_and_b32_e32 v42, 7, v41
	s_mov_b32 s2, 0
	s_mov_b32 s0, exec_lo
	v_cmpx_ne_u32_e32 0, v42
	s_cbranch_execz .LBB72_63
; %bb.60:
	v_lshl_add_u32 v43, v40, 2, 48
	v_mov_b32_e32 v41, 0
.LBB72_61:                              ; =>This Inner Loop Header: Depth=1
	v_cmp_eq_u32_e32 vcc_lo, 1, v40
	ds_load_b32 v45, v43
	v_dual_add_nc_u32 v42, -1, v42 :: v_dual_add_nc_u32 v43, 4, v43
	v_cndmask_b32_e32 v44, v12, v13, vcc_lo
	v_cmp_eq_u32_e32 vcc_lo, 2, v40
	s_delay_alu instid0(VALU_DEP_2) | instskip(SKIP_1) | instid1(VALU_DEP_2)
	v_cndmask_b32_e32 v44, v44, v14, vcc_lo
	v_cmp_eq_u32_e32 vcc_lo, 3, v40
	v_cndmask_b32_e32 v44, v44, v15, vcc_lo
	v_cmp_eq_u32_e32 vcc_lo, 4, v40
	s_delay_alu instid0(VALU_DEP_2) | instskip(SKIP_1) | instid1(VALU_DEP_2)
	v_cndmask_b32_e32 v44, v44, v16, vcc_lo
	v_cmp_eq_u32_e32 vcc_lo, 5, v40
	;; [unrolled: 5-line block ×3, first 2 shown]
	v_cndmask_b32_e32 v44, v44, v19, vcc_lo
	v_cmp_eq_u32_e32 vcc_lo, 8, v40
	v_add_nc_u64_e32 v[40:41], 1, v[40:41]
	s_delay_alu instid0(VALU_DEP_3) | instskip(SKIP_2) | instid1(VALU_DEP_2)
	v_cndmask_b32_e32 v44, v44, v20, vcc_lo
	v_cmp_eq_u32_e32 vcc_lo, 0, v42
	s_wait_dscnt 0x0
	v_fmac_f32_e32 v21, v44, v45
	s_or_b32 s2, vcc_lo, s2
	s_delay_alu instid0(SALU_CYCLE_1)
	s_and_not1_b32 exec_lo, exec_lo, s2
	s_cbranch_execnz .LBB72_61
; %bb.62:
	s_or_b32 exec_lo, exec_lo, s2
.LBB72_63:
	s_delay_alu instid0(SALU_CYCLE_1)
	s_or_b32 exec_lo, exec_lo, s0
.LBB72_64:
	s_delay_alu instid0(SALU_CYCLE_1)
	s_or_b32 exec_lo, exec_lo, s5
	v_mov_b32_e32 v15, 0
	ds_load_b32 v15, v15 offset:12
	s_wait_dscnt 0x0
	v_mul_f32_e32 v15, v21, v15
.LBB72_65:
	s_or_b32 exec_lo, exec_lo, s4
	v_cmp_lt_u32_e64 s0, 2, v0
	ds_store_b32 v11, v14
	s_wait_dscnt 0x0
	s_barrier_signal -1
	s_barrier_wait -1
	s_and_saveexec_b32 s4, s0
	s_cbranch_execz .LBB72_81
; %bb.66:
	s_and_not1_b32 vcc_lo, exec_lo, s9
	s_cbranch_vccnz .LBB72_68
; %bb.67:
	v_cmp_eq_u32_e32 vcc_lo, 1, v0
	ds_load_b32 v40, v11
	v_cndmask_b32_e32 v21, v12, v13, vcc_lo
	v_cmp_eq_u32_e32 vcc_lo, 2, v0
	s_delay_alu instid0(VALU_DEP_2) | instskip(SKIP_1) | instid1(VALU_DEP_2)
	v_cndmask_b32_e32 v21, v21, v14, vcc_lo
	v_cmp_eq_u32_e32 vcc_lo, 3, v0
	v_cndmask_b32_e32 v21, v21, v15, vcc_lo
	v_cmp_eq_u32_e32 vcc_lo, 4, v0
	s_delay_alu instid0(VALU_DEP_2) | instskip(SKIP_1) | instid1(VALU_DEP_2)
	v_cndmask_b32_e32 v21, v21, v16, vcc_lo
	v_cmp_eq_u32_e32 vcc_lo, 5, v0
	;; [unrolled: 5-line block ×3, first 2 shown]
	v_cndmask_b32_e32 v21, v21, v19, vcc_lo
	v_cmp_eq_u32_e32 vcc_lo, 8, v0
	s_delay_alu instid0(VALU_DEP_2) | instskip(SKIP_1) | instid1(VALU_DEP_1)
	v_cndmask_b32_e32 v21, v21, v20, vcc_lo
	s_wait_dscnt 0x0
	v_mul_f32_e32 v21, v21, v40
	s_cbranch_execz .LBB72_69
	s_branch .LBB72_70
.LBB72_68:
                                        ; implicit-def: $vgpr21
.LBB72_69:
	ds_load_b32 v21, v11
.LBB72_70:
	s_and_saveexec_b32 s5, s1
	s_cbranch_execz .LBB72_80
; %bb.71:
	v_dual_add_nc_u32 v40, -4, v0 :: v_dual_add_nc_u32 v41, -3, v0
	s_delay_alu instid0(VALU_DEP_1)
	v_cmp_lt_u32_e32 vcc_lo, 6, v40
	v_mov_b32_e32 v40, 3
	s_and_saveexec_b32 s1, vcc_lo
	s_cbranch_execz .LBB72_75
; %bb.72:
	v_and_b32_e32 v40, -8, v41
	s_mov_b32 s6, 0
	s_mov_b64 s[2:3], 10
	s_mov_b32 s7, 60
	s_delay_alu instid0(VALU_DEP_1)
	v_sub_nc_u32_e32 v42, 0, v40
.LBB72_73:                              ; =>This Inner Loop Header: Depth=1
	s_add_co_i32 m0, s2, -7
	v_movrels_b32_e32 v43, v12
	v_mov_b32_e32 v40, s7
	s_add_co_i32 m0, s2, -6
	s_add_co_i32 s7, s7, 32
	v_movrels_b32_e32 v52, v12
	ds_load_2addr_b32 v[44:45], v40 offset1:1
	ds_load_2addr_b32 v[46:47], v40 offset0:2 offset1:3
	s_add_co_i32 m0, s2, -5
	s_wait_dscnt 0x1
	v_fmac_f32_e32 v21, v43, v44
	ds_load_2addr_b32 v[48:49], v40 offset0:4 offset1:5
	ds_load_2addr_b32 v[50:51], v40 offset0:6 offset1:7
	v_movrels_b32_e32 v40, v12
	s_add_co_i32 m0, s2, -4
	v_fmac_f32_e32 v21, v52, v45
	v_movrels_b32_e32 v43, v12
	s_add_co_i32 m0, s2, -3
	s_wait_dscnt 0x2
	s_delay_alu instid0(VALU_DEP_2) | instskip(SKIP_2) | instid1(VALU_DEP_2)
	v_fmac_f32_e32 v21, v40, v46
	v_movrels_b32_e32 v40, v12
	s_add_co_i32 m0, s2, -2
	v_fmac_f32_e32 v21, v43, v47
	v_movrels_b32_e32 v43, v12
	s_add_co_i32 m0, s2, -1
	s_wait_dscnt 0x1
	s_delay_alu instid0(VALU_DEP_2)
	v_fmac_f32_e32 v21, v40, v48
	v_movrels_b32_e32 v40, v12
	s_mov_b32 m0, s2
	s_add_nc_u64 s[2:3], s[2:3], 8
	v_movrels_b32_e32 v44, v12
	v_dual_fmac_f32 v21, v43, v49 :: v_dual_add_nc_u32 v43, s2, v42
	s_add_co_i32 s8, s2, -7
	s_wait_dscnt 0x0
	s_delay_alu instid0(VALU_DEP_1) | instskip(NEXT) | instid1(VALU_DEP_2)
	v_fmac_f32_e32 v21, v40, v50
	v_cmp_eq_u32_e32 vcc_lo, 10, v43
	s_delay_alu instid0(VALU_DEP_2) | instskip(SKIP_1) | instid1(SALU_CYCLE_1)
	v_dual_mov_b32 v40, s8 :: v_dual_fmac_f32 v21, v44, v51
	s_or_b32 s6, vcc_lo, s6
	s_and_not1_b32 exec_lo, exec_lo, s6
	s_cbranch_execnz .LBB72_73
; %bb.74:
	s_or_b32 exec_lo, exec_lo, s6
.LBB72_75:
	s_delay_alu instid0(SALU_CYCLE_1) | instskip(SKIP_3) | instid1(VALU_DEP_1)
	s_or_b32 exec_lo, exec_lo, s1
	v_and_b32_e32 v42, 7, v41
	s_mov_b32 s2, 0
	s_mov_b32 s1, exec_lo
	v_cmpx_ne_u32_e32 0, v42
	s_cbranch_execz .LBB72_79
; %bb.76:
	v_lshl_add_u32 v43, v40, 2, 48
	v_mov_b32_e32 v41, 0
.LBB72_77:                              ; =>This Inner Loop Header: Depth=1
	v_cmp_eq_u32_e32 vcc_lo, 1, v40
	ds_load_b32 v45, v43
	v_dual_add_nc_u32 v42, -1, v42 :: v_dual_add_nc_u32 v43, 4, v43
	v_cndmask_b32_e32 v44, v12, v13, vcc_lo
	v_cmp_eq_u32_e32 vcc_lo, 2, v40
	s_delay_alu instid0(VALU_DEP_2) | instskip(SKIP_1) | instid1(VALU_DEP_2)
	v_cndmask_b32_e32 v44, v44, v14, vcc_lo
	v_cmp_eq_u32_e32 vcc_lo, 3, v40
	v_cndmask_b32_e32 v44, v44, v15, vcc_lo
	v_cmp_eq_u32_e32 vcc_lo, 4, v40
	s_delay_alu instid0(VALU_DEP_2) | instskip(SKIP_1) | instid1(VALU_DEP_2)
	v_cndmask_b32_e32 v44, v44, v16, vcc_lo
	v_cmp_eq_u32_e32 vcc_lo, 5, v40
	v_cndmask_b32_e32 v44, v44, v17, vcc_lo
	v_cmp_eq_u32_e32 vcc_lo, 6, v40
	s_delay_alu instid0(VALU_DEP_2) | instskip(SKIP_1) | instid1(VALU_DEP_2)
	v_cndmask_b32_e32 v44, v44, v18, vcc_lo
	v_cmp_eq_u32_e32 vcc_lo, 7, v40
	v_cndmask_b32_e32 v44, v44, v19, vcc_lo
	v_cmp_eq_u32_e32 vcc_lo, 8, v40
	v_add_nc_u64_e32 v[40:41], 1, v[40:41]
	s_delay_alu instid0(VALU_DEP_3) | instskip(SKIP_2) | instid1(VALU_DEP_2)
	v_cndmask_b32_e32 v44, v44, v20, vcc_lo
	v_cmp_eq_u32_e32 vcc_lo, 0, v42
	s_wait_dscnt 0x0
	v_fmac_f32_e32 v21, v44, v45
	s_or_b32 s2, vcc_lo, s2
	s_delay_alu instid0(SALU_CYCLE_1)
	s_and_not1_b32 exec_lo, exec_lo, s2
	s_cbranch_execnz .LBB72_77
; %bb.78:
	s_or_b32 exec_lo, exec_lo, s2
.LBB72_79:
	s_delay_alu instid0(SALU_CYCLE_1)
	s_or_b32 exec_lo, exec_lo, s1
.LBB72_80:
	s_delay_alu instid0(SALU_CYCLE_1)
	s_or_b32 exec_lo, exec_lo, s5
	v_mov_b32_e32 v14, 0
	ds_load_b32 v14, v14 offset:8
	s_wait_dscnt 0x0
	v_mul_f32_e32 v14, v21, v14
.LBB72_81:
	s_or_b32 exec_lo, exec_lo, s4
	v_cmp_lt_u32_e64 s1, 1, v0
	ds_store_b32 v11, v13
	s_wait_dscnt 0x0
	s_barrier_signal -1
	s_barrier_wait -1
	s_and_saveexec_b32 s4, s1
	s_cbranch_execz .LBB72_97
; %bb.82:
	s_and_not1_b32 vcc_lo, exec_lo, s9
	s_cbranch_vccnz .LBB72_84
; %bb.83:
	v_cmp_eq_u32_e32 vcc_lo, 1, v0
	ds_load_b32 v40, v11
	v_cndmask_b32_e32 v21, v12, v13, vcc_lo
	v_cmp_eq_u32_e32 vcc_lo, 2, v0
	s_delay_alu instid0(VALU_DEP_2) | instskip(SKIP_1) | instid1(VALU_DEP_2)
	v_cndmask_b32_e32 v21, v21, v14, vcc_lo
	v_cmp_eq_u32_e32 vcc_lo, 3, v0
	v_cndmask_b32_e32 v21, v21, v15, vcc_lo
	v_cmp_eq_u32_e32 vcc_lo, 4, v0
	s_delay_alu instid0(VALU_DEP_2) | instskip(SKIP_1) | instid1(VALU_DEP_2)
	v_cndmask_b32_e32 v21, v21, v16, vcc_lo
	v_cmp_eq_u32_e32 vcc_lo, 5, v0
	;; [unrolled: 5-line block ×3, first 2 shown]
	v_cndmask_b32_e32 v21, v21, v19, vcc_lo
	v_cmp_eq_u32_e32 vcc_lo, 8, v0
	s_delay_alu instid0(VALU_DEP_2) | instskip(SKIP_1) | instid1(VALU_DEP_1)
	v_cndmask_b32_e32 v21, v21, v20, vcc_lo
	s_wait_dscnt 0x0
	v_mul_f32_e32 v21, v21, v40
	s_cbranch_execz .LBB72_85
	s_branch .LBB72_86
.LBB72_84:
                                        ; implicit-def: $vgpr21
.LBB72_85:
	ds_load_b32 v21, v11
.LBB72_86:
	s_and_saveexec_b32 s5, s0
	s_cbranch_execz .LBB72_96
; %bb.87:
	v_dual_add_nc_u32 v40, -3, v0 :: v_dual_add_nc_u32 v41, -2, v0
	s_delay_alu instid0(VALU_DEP_1)
	v_cmp_lt_u32_e32 vcc_lo, 6, v40
	v_mov_b32_e32 v40, 2
	s_and_saveexec_b32 s0, vcc_lo
	s_cbranch_execz .LBB72_91
; %bb.88:
	v_and_b32_e32 v40, -8, v41
	s_mov_b32 s6, 0
	s_mov_b64 s[2:3], 9
	s_mov_b32 s7, 56
	s_delay_alu instid0(VALU_DEP_1)
	v_sub_nc_u32_e32 v42, 0, v40
.LBB72_89:                              ; =>This Inner Loop Header: Depth=1
	s_add_co_i32 m0, s2, -7
	v_movrels_b32_e32 v43, v12
	v_mov_b32_e32 v40, s7
	s_add_co_i32 m0, s2, -6
	s_add_co_i32 s7, s7, 32
	v_movrels_b32_e32 v52, v12
	s_add_co_i32 m0, s2, -5
	ds_load_2addr_b64 v[44:47], v40 offset1:1
	ds_load_2addr_b64 v[48:51], v40 offset0:2 offset1:3
	v_movrels_b32_e32 v40, v12
	s_add_co_i32 m0, s2, -4
	s_wait_dscnt 0x1
	v_fmac_f32_e32 v21, v43, v44
	v_movrels_b32_e32 v43, v12
	s_add_co_i32 m0, s2, -3
	s_delay_alu instid0(VALU_DEP_2) | instskip(NEXT) | instid1(VALU_DEP_1)
	v_fmac_f32_e32 v21, v52, v45
	v_fmac_f32_e32 v21, v40, v46
	v_movrels_b32_e32 v40, v12
	s_add_co_i32 m0, s2, -2
	s_delay_alu instid0(VALU_DEP_2) | instskip(SKIP_3) | instid1(VALU_DEP_2)
	v_fmac_f32_e32 v21, v43, v47
	v_movrels_b32_e32 v43, v12
	s_add_co_i32 m0, s2, -1
	s_wait_dscnt 0x0
	v_fmac_f32_e32 v21, v40, v48
	v_movrels_b32_e32 v40, v12
	s_mov_b32 m0, s2
	s_add_nc_u64 s[2:3], s[2:3], 8
	v_movrels_b32_e32 v44, v12
	v_dual_fmac_f32 v21, v43, v49 :: v_dual_add_nc_u32 v43, s2, v42
	s_add_co_i32 s8, s2, -7
	s_delay_alu instid0(VALU_DEP_1) | instskip(NEXT) | instid1(VALU_DEP_2)
	v_fmac_f32_e32 v21, v40, v50
	v_cmp_eq_u32_e32 vcc_lo, 9, v43
	s_delay_alu instid0(VALU_DEP_2) | instskip(SKIP_1) | instid1(SALU_CYCLE_1)
	v_dual_mov_b32 v40, s8 :: v_dual_fmac_f32 v21, v44, v51
	s_or_b32 s6, vcc_lo, s6
	s_and_not1_b32 exec_lo, exec_lo, s6
	s_cbranch_execnz .LBB72_89
; %bb.90:
	s_or_b32 exec_lo, exec_lo, s6
.LBB72_91:
	s_delay_alu instid0(SALU_CYCLE_1) | instskip(SKIP_3) | instid1(VALU_DEP_1)
	s_or_b32 exec_lo, exec_lo, s0
	v_and_b32_e32 v42, 7, v41
	s_mov_b32 s2, 0
	s_mov_b32 s0, exec_lo
	v_cmpx_ne_u32_e32 0, v42
	s_cbranch_execz .LBB72_95
; %bb.92:
	v_lshl_add_u32 v43, v40, 2, 48
	v_mov_b32_e32 v41, 0
.LBB72_93:                              ; =>This Inner Loop Header: Depth=1
	v_cmp_eq_u32_e32 vcc_lo, 1, v40
	ds_load_b32 v45, v43
	v_dual_add_nc_u32 v42, -1, v42 :: v_dual_add_nc_u32 v43, 4, v43
	v_cndmask_b32_e32 v44, v12, v13, vcc_lo
	v_cmp_eq_u32_e32 vcc_lo, 2, v40
	s_delay_alu instid0(VALU_DEP_2) | instskip(SKIP_1) | instid1(VALU_DEP_2)
	v_cndmask_b32_e32 v44, v44, v14, vcc_lo
	v_cmp_eq_u32_e32 vcc_lo, 3, v40
	v_cndmask_b32_e32 v44, v44, v15, vcc_lo
	v_cmp_eq_u32_e32 vcc_lo, 4, v40
	s_delay_alu instid0(VALU_DEP_2) | instskip(SKIP_1) | instid1(VALU_DEP_2)
	v_cndmask_b32_e32 v44, v44, v16, vcc_lo
	v_cmp_eq_u32_e32 vcc_lo, 5, v40
	;; [unrolled: 5-line block ×3, first 2 shown]
	v_cndmask_b32_e32 v44, v44, v19, vcc_lo
	v_cmp_eq_u32_e32 vcc_lo, 8, v40
	v_add_nc_u64_e32 v[40:41], 1, v[40:41]
	s_delay_alu instid0(VALU_DEP_3) | instskip(SKIP_2) | instid1(VALU_DEP_2)
	v_cndmask_b32_e32 v44, v44, v20, vcc_lo
	v_cmp_eq_u32_e32 vcc_lo, 0, v42
	s_wait_dscnt 0x0
	v_fmac_f32_e32 v21, v44, v45
	s_or_b32 s2, vcc_lo, s2
	s_delay_alu instid0(SALU_CYCLE_1)
	s_and_not1_b32 exec_lo, exec_lo, s2
	s_cbranch_execnz .LBB72_93
; %bb.94:
	s_or_b32 exec_lo, exec_lo, s2
.LBB72_95:
	s_delay_alu instid0(SALU_CYCLE_1)
	s_or_b32 exec_lo, exec_lo, s0
.LBB72_96:
	s_delay_alu instid0(SALU_CYCLE_1)
	s_or_b32 exec_lo, exec_lo, s5
	v_mov_b32_e32 v13, 0
	ds_load_b32 v13, v13 offset:4
	s_wait_dscnt 0x0
	v_mul_f32_e32 v13, v21, v13
.LBB72_97:
	s_or_b32 exec_lo, exec_lo, s4
	s_mov_b32 s2, 0
	s_mov_b32 s3, exec_lo
	ds_store_b32 v11, v12
	s_wait_dscnt 0x0
	s_barrier_signal -1
	s_barrier_wait -1
	v_cmpx_ne_u32_e32 0, v0
	s_cbranch_execz .LBB72_113
; %bb.98:
	s_and_not1_b32 vcc_lo, exec_lo, s9
	s_cbranch_vccnz .LBB72_100
; %bb.99:
	v_cmp_eq_u32_e32 vcc_lo, 1, v0
	ds_load_b32 v40, v11
	v_cndmask_b32_e32 v21, v12, v13, vcc_lo
	v_cmp_eq_u32_e32 vcc_lo, 2, v0
	s_delay_alu instid0(VALU_DEP_2) | instskip(SKIP_1) | instid1(VALU_DEP_2)
	v_cndmask_b32_e32 v21, v21, v14, vcc_lo
	v_cmp_eq_u32_e32 vcc_lo, 3, v0
	v_cndmask_b32_e32 v21, v21, v15, vcc_lo
	v_cmp_eq_u32_e32 vcc_lo, 4, v0
	s_delay_alu instid0(VALU_DEP_2) | instskip(SKIP_1) | instid1(VALU_DEP_2)
	v_cndmask_b32_e32 v21, v21, v16, vcc_lo
	v_cmp_eq_u32_e32 vcc_lo, 5, v0
	;; [unrolled: 5-line block ×3, first 2 shown]
	v_cndmask_b32_e32 v21, v21, v19, vcc_lo
	v_cmp_eq_u32_e32 vcc_lo, 8, v0
	s_delay_alu instid0(VALU_DEP_2) | instskip(SKIP_1) | instid1(VALU_DEP_1)
	v_cndmask_b32_e32 v21, v21, v20, vcc_lo
	s_wait_dscnt 0x0
	v_mul_f32_e32 v21, v21, v40
	s_cbranch_execz .LBB72_101
	s_branch .LBB72_102
.LBB72_100:
                                        ; implicit-def: $vgpr21
.LBB72_101:
	ds_load_b32 v21, v11
.LBB72_102:
	s_and_saveexec_b32 s4, s1
	s_cbranch_execz .LBB72_112
; %bb.103:
	v_dual_add_nc_u32 v40, -2, v0 :: v_dual_add_nc_u32 v41, -1, v0
	s_delay_alu instid0(VALU_DEP_1)
	v_cmp_lt_u32_e32 vcc_lo, 6, v40
	v_mov_b32_e32 v40, 1
	s_and_saveexec_b32 s5, vcc_lo
	s_cbranch_execz .LBB72_107
; %bb.104:
	v_and_b32_e32 v40, -8, v41
	s_mov_b32 s6, 0
	s_mov_b64 s[0:1], 8
	s_mov_b32 s7, 52
	s_delay_alu instid0(VALU_DEP_1)
	v_sub_nc_u32_e32 v42, 0, v40
.LBB72_105:                             ; =>This Inner Loop Header: Depth=1
	s_add_co_i32 m0, s0, -7
	v_movrels_b32_e32 v43, v12
	v_mov_b32_e32 v40, s7
	s_add_co_i32 m0, s0, -6
	s_add_co_i32 s7, s7, 32
	v_movrels_b32_e32 v52, v12
	ds_load_2addr_b32 v[44:45], v40 offset1:1
	ds_load_2addr_b32 v[46:47], v40 offset0:2 offset1:3
	s_add_co_i32 m0, s0, -5
	s_wait_dscnt 0x1
	v_fmac_f32_e32 v21, v43, v44
	ds_load_2addr_b32 v[48:49], v40 offset0:4 offset1:5
	ds_load_2addr_b32 v[50:51], v40 offset0:6 offset1:7
	v_movrels_b32_e32 v40, v12
	s_add_co_i32 m0, s0, -4
	v_fmac_f32_e32 v21, v52, v45
	v_movrels_b32_e32 v43, v12
	s_add_co_i32 m0, s0, -3
	s_wait_dscnt 0x2
	s_delay_alu instid0(VALU_DEP_2) | instskip(SKIP_2) | instid1(VALU_DEP_2)
	v_fmac_f32_e32 v21, v40, v46
	v_movrels_b32_e32 v40, v12
	s_add_co_i32 m0, s0, -2
	v_fmac_f32_e32 v21, v43, v47
	v_movrels_b32_e32 v43, v12
	s_add_co_i32 m0, s0, -1
	s_wait_dscnt 0x1
	s_delay_alu instid0(VALU_DEP_2)
	v_fmac_f32_e32 v21, v40, v48
	v_movrels_b32_e32 v40, v12
	s_mov_b32 m0, s0
	s_add_nc_u64 s[0:1], s[0:1], 8
	v_movrels_b32_e32 v44, v12
	v_dual_fmac_f32 v21, v43, v49 :: v_dual_add_nc_u32 v43, s0, v42
	s_add_co_i32 s8, s0, -7
	s_wait_dscnt 0x0
	s_delay_alu instid0(VALU_DEP_1) | instskip(NEXT) | instid1(VALU_DEP_2)
	v_fmac_f32_e32 v21, v40, v50
	v_cmp_eq_u32_e32 vcc_lo, 8, v43
	s_delay_alu instid0(VALU_DEP_2) | instskip(SKIP_1) | instid1(SALU_CYCLE_1)
	v_dual_mov_b32 v40, s8 :: v_dual_fmac_f32 v21, v44, v51
	s_or_b32 s6, vcc_lo, s6
	s_and_not1_b32 exec_lo, exec_lo, s6
	s_cbranch_execnz .LBB72_105
; %bb.106:
	s_or_b32 exec_lo, exec_lo, s6
.LBB72_107:
	s_delay_alu instid0(SALU_CYCLE_1) | instskip(SKIP_3) | instid1(VALU_DEP_1)
	s_or_b32 exec_lo, exec_lo, s5
	v_and_b32_e32 v42, 7, v41
	s_mov_b32 s1, 0
	s_mov_b32 s0, exec_lo
	v_cmpx_ne_u32_e32 0, v42
	s_cbranch_execz .LBB72_111
; %bb.108:
	v_lshl_add_u32 v43, v40, 2, 48
	v_mov_b32_e32 v41, 0
.LBB72_109:                             ; =>This Inner Loop Header: Depth=1
	v_cmp_eq_u32_e32 vcc_lo, 1, v40
	ds_load_b32 v45, v43
	v_dual_add_nc_u32 v42, -1, v42 :: v_dual_add_nc_u32 v43, 4, v43
	v_cndmask_b32_e32 v44, v12, v13, vcc_lo
	v_cmp_eq_u32_e32 vcc_lo, 2, v40
	s_delay_alu instid0(VALU_DEP_2) | instskip(SKIP_1) | instid1(VALU_DEP_2)
	v_cndmask_b32_e32 v44, v44, v14, vcc_lo
	v_cmp_eq_u32_e32 vcc_lo, 3, v40
	v_cndmask_b32_e32 v44, v44, v15, vcc_lo
	v_cmp_eq_u32_e32 vcc_lo, 4, v40
	s_delay_alu instid0(VALU_DEP_2) | instskip(SKIP_1) | instid1(VALU_DEP_2)
	v_cndmask_b32_e32 v44, v44, v16, vcc_lo
	v_cmp_eq_u32_e32 vcc_lo, 5, v40
	;; [unrolled: 5-line block ×3, first 2 shown]
	v_cndmask_b32_e32 v44, v44, v19, vcc_lo
	v_cmp_eq_u32_e32 vcc_lo, 8, v40
	v_add_nc_u64_e32 v[40:41], 1, v[40:41]
	s_delay_alu instid0(VALU_DEP_3) | instskip(SKIP_2) | instid1(VALU_DEP_2)
	v_cndmask_b32_e32 v44, v44, v20, vcc_lo
	v_cmp_eq_u32_e32 vcc_lo, 0, v42
	s_wait_dscnt 0x0
	v_fmac_f32_e32 v21, v44, v45
	s_or_b32 s1, vcc_lo, s1
	s_delay_alu instid0(SALU_CYCLE_1)
	s_and_not1_b32 exec_lo, exec_lo, s1
	s_cbranch_execnz .LBB72_109
; %bb.110:
	s_or_b32 exec_lo, exec_lo, s1
.LBB72_111:
	s_delay_alu instid0(SALU_CYCLE_1)
	s_or_b32 exec_lo, exec_lo, s0
.LBB72_112:
	s_delay_alu instid0(SALU_CYCLE_1)
	s_or_b32 exec_lo, exec_lo, s4
	v_mov_b32_e32 v12, 0
	ds_load_b32 v12, v12
	s_wait_dscnt 0x0
	v_mul_f32_e32 v12, v21, v12
.LBB72_113:
	s_or_b32 exec_lo, exec_lo, s3
	s_delay_alu instid0(SALU_CYCLE_1)
	s_and_b32 vcc_lo, exec_lo, s2
	s_cbranch_vccz .LBB72_185
.LBB72_114:
	v_cmp_eq_u32_e64 s0, 0, v0
	s_wait_loadcnt_dscnt 0x708
	ds_store_b32 v11, v3
	s_wait_loadcnt_dscnt 0x0
	s_barrier_signal -1
	s_barrier_wait -1
	s_and_saveexec_b32 s1, s0
	s_cbranch_execz .LBB72_120
; %bb.115:
	s_and_b32 vcc_lo, exec_lo, s9
	s_cbranch_vccz .LBB72_117
; %bb.116:
	v_cmp_eq_u32_e32 vcc_lo, 1, v0
	ds_load_b32 v12, v11
	v_cndmask_b32_e32 v3, v2, v3, vcc_lo
	v_cmp_eq_u32_e32 vcc_lo, 2, v0
	s_delay_alu instid0(VALU_DEP_2) | instskip(SKIP_1) | instid1(VALU_DEP_2)
	v_cndmask_b32_e32 v3, v3, v4, vcc_lo
	v_cmp_eq_u32_e32 vcc_lo, 3, v0
	v_cndmask_b32_e32 v3, v3, v5, vcc_lo
	v_cmp_eq_u32_e32 vcc_lo, 4, v0
	s_delay_alu instid0(VALU_DEP_2) | instskip(SKIP_1) | instid1(VALU_DEP_2)
	v_cndmask_b32_e32 v3, v3, v6, vcc_lo
	v_cmp_eq_u32_e32 vcc_lo, 5, v0
	;; [unrolled: 5-line block ×3, first 2 shown]
	v_cndmask_b32_e32 v3, v3, v9, vcc_lo
	v_cmp_eq_u32_e32 vcc_lo, 8, v0
	s_delay_alu instid0(VALU_DEP_2) | instskip(SKIP_1) | instid1(VALU_DEP_1)
	v_cndmask_b32_e32 v3, v3, v10, vcc_lo
	s_wait_dscnt 0x0
	v_mul_f32_e32 v3, v3, v12
	s_cbranch_execz .LBB72_118
	s_branch .LBB72_119
.LBB72_117:
                                        ; implicit-def: $vgpr3
.LBB72_118:
	ds_load_b32 v3, v11
.LBB72_119:
	v_mov_b32_e32 v12, 0
	ds_load_b32 v12, v12 offset:4
	s_wait_dscnt 0x0
	v_mul_f32_e32 v3, v3, v12
.LBB72_120:
	s_or_b32 exec_lo, exec_lo, s1
	v_cndmask_b32_e64 v14, 0, 1, s9
	s_mov_b32 s1, exec_lo
	ds_store_b32 v11, v4
	s_wait_dscnt 0x0
	s_barrier_signal -1
	s_barrier_wait -1
	v_cmpx_gt_u32_e32 2, v0
	s_cbranch_execz .LBB72_126
; %bb.121:
	s_and_not1_b32 vcc_lo, exec_lo, s9
	s_cbranch_vccnz .LBB72_123
; %bb.122:
	v_cmp_eq_u32_e32 vcc_lo, 1, v0
	v_cndmask_b32_e32 v12, v2, v3, vcc_lo
	v_cmp_eq_u32_e32 vcc_lo, 2, v0
	s_delay_alu instid0(VALU_DEP_2) | instskip(SKIP_4) | instid1(VALU_DEP_2)
	v_cndmask_b32_e32 v4, v12, v4, vcc_lo
	v_cmp_eq_u32_e32 vcc_lo, 3, v0
	ds_load_b32 v12, v11
	v_cndmask_b32_e32 v4, v4, v5, vcc_lo
	v_cmp_eq_u32_e32 vcc_lo, 4, v0
	v_cndmask_b32_e32 v4, v4, v6, vcc_lo
	v_cmp_eq_u32_e32 vcc_lo, 5, v0
	s_delay_alu instid0(VALU_DEP_2) | instskip(SKIP_1) | instid1(VALU_DEP_2)
	v_cndmask_b32_e32 v4, v4, v7, vcc_lo
	v_cmp_eq_u32_e32 vcc_lo, 6, v0
	v_cndmask_b32_e32 v4, v4, v8, vcc_lo
	v_cmp_eq_u32_e32 vcc_lo, 7, v0
	s_delay_alu instid0(VALU_DEP_2) | instskip(SKIP_1) | instid1(VALU_DEP_2)
	v_cndmask_b32_e32 v4, v4, v9, vcc_lo
	v_cmp_eq_u32_e32 vcc_lo, 8, v0
	v_cndmask_b32_e32 v4, v4, v10, vcc_lo
	s_wait_dscnt 0x0
	s_delay_alu instid0(VALU_DEP_1)
	v_mul_f32_e32 v4, v4, v12
	s_cbranch_execz .LBB72_124
	s_branch .LBB72_125
.LBB72_123:
                                        ; implicit-def: $vgpr4
.LBB72_124:
	ds_load_b32 v4, v11
.LBB72_125:
	v_mov_b32_e32 v12, 0
	ds_load_2addr_b32 v[12:13], v12 offset0:2 offset1:13
	s_wait_dscnt 0x0
	v_fma_f32 v13, v3, v13, v4
	s_delay_alu instid0(VALU_DEP_1) | instskip(NEXT) | instid1(VALU_DEP_1)
	v_cndmask_b32_e64 v4, v4, v13, s0
	v_mul_f32_e32 v4, v4, v12
.LBB72_126:
	s_or_b32 exec_lo, exec_lo, s1
	s_delay_alu instid0(SALU_CYCLE_1)
	s_mov_b32 s1, exec_lo
	ds_store_b32 v11, v5
	s_wait_dscnt 0x0
	s_barrier_signal -1
	s_barrier_wait -1
	v_cmpx_gt_u32_e32 3, v0
	s_cbranch_execz .LBB72_134
; %bb.127:
	v_cmp_ne_u32_e32 vcc_lo, 1, v14
	s_cbranch_vccnz .LBB72_129
; %bb.128:
	v_cmp_eq_u32_e32 vcc_lo, 1, v0
	ds_load_b32 v13, v11
	v_cndmask_b32_e32 v12, v2, v3, vcc_lo
	v_cmp_eq_u32_e32 vcc_lo, 2, v0
	s_delay_alu instid0(VALU_DEP_2) | instskip(SKIP_1) | instid1(VALU_DEP_2)
	v_cndmask_b32_e32 v12, v12, v4, vcc_lo
	v_cmp_eq_u32_e32 vcc_lo, 3, v0
	v_cndmask_b32_e32 v12, v12, v5, vcc_lo
	v_cmp_eq_u32_e32 vcc_lo, 4, v0
	s_delay_alu instid0(VALU_DEP_2) | instskip(SKIP_1) | instid1(VALU_DEP_2)
	v_cndmask_b32_e32 v12, v12, v6, vcc_lo
	v_cmp_eq_u32_e32 vcc_lo, 5, v0
	;; [unrolled: 5-line block ×3, first 2 shown]
	v_cndmask_b32_e32 v12, v12, v9, vcc_lo
	v_cmp_eq_u32_e32 vcc_lo, 8, v0
	s_delay_alu instid0(VALU_DEP_2) | instskip(SKIP_1) | instid1(VALU_DEP_1)
	v_cndmask_b32_e32 v12, v12, v10, vcc_lo
	s_wait_dscnt 0x0
	v_mul_f32_e32 v12, v12, v13
	s_cbranch_execz .LBB72_130
	s_branch .LBB72_131
.LBB72_129:
                                        ; implicit-def: $vgpr12
.LBB72_130:
	ds_load_b32 v12, v11
.LBB72_131:
	s_mov_b32 s2, exec_lo
	v_cmpx_ne_u32_e32 2, v0
	s_cbranch_execz .LBB72_133
; %bb.132:
	v_dual_mov_b32 v16, 0 :: v_dual_add_nc_u32 v13, 1, v0
	s_delay_alu instid0(VALU_DEP_1) | instskip(SKIP_3) | instid1(VALU_DEP_2)
	v_cmp_eq_u32_e32 vcc_lo, 1, v13
	ds_load_b32 v16, v16 offset:56
	v_cndmask_b32_e32 v15, v2, v3, vcc_lo
	v_cmp_eq_u32_e32 vcc_lo, 2, v13
	v_cndmask_b32_e32 v15, v15, v4, vcc_lo
	v_cmp_eq_u32_e32 vcc_lo, 3, v13
	s_delay_alu instid0(VALU_DEP_2) | instskip(SKIP_4) | instid1(VALU_DEP_2)
	v_cndmask_b32_e32 v5, v15, v5, vcc_lo
	v_cmp_eq_u32_e32 vcc_lo, 4, v13
	ds_load_b32 v15, v11 offset:4
	v_cndmask_b32_e32 v5, v5, v6, vcc_lo
	v_cmp_eq_u32_e32 vcc_lo, 5, v13
	v_cndmask_b32_e32 v5, v5, v7, vcc_lo
	v_cmp_eq_u32_e32 vcc_lo, 6, v13
	s_delay_alu instid0(VALU_DEP_2) | instskip(SKIP_1) | instid1(VALU_DEP_2)
	v_cndmask_b32_e32 v5, v5, v8, vcc_lo
	v_cmp_eq_u32_e32 vcc_lo, 7, v13
	v_cndmask_b32_e32 v5, v5, v9, vcc_lo
	v_cmp_eq_u32_e32 vcc_lo, 8, v13
	s_delay_alu instid0(VALU_DEP_2) | instskip(SKIP_1) | instid1(VALU_DEP_1)
	v_cndmask_b32_e32 v5, v5, v10, vcc_lo
	s_wait_dscnt 0x0
	v_fmac_f32_e32 v12, v5, v15
	s_delay_alu instid0(VALU_DEP_1) | instskip(NEXT) | instid1(VALU_DEP_1)
	v_fma_f32 v5, v4, v16, v12
	v_cndmask_b32_e64 v12, v12, v5, s0
.LBB72_133:
	s_or_b32 exec_lo, exec_lo, s2
	v_mov_b32_e32 v5, 0
	ds_load_b32 v5, v5 offset:12
	s_wait_dscnt 0x0
	v_mul_f32_e32 v5, v12, v5
.LBB72_134:
	s_or_b32 exec_lo, exec_lo, s1
	s_delay_alu instid0(SALU_CYCLE_1)
	s_mov_b32 s0, exec_lo
	ds_store_b32 v11, v6
	s_wait_dscnt 0x0
	s_barrier_signal -1
	s_barrier_wait -1
	v_cmpx_gt_u32_e32 4, v0
	s_cbranch_execz .LBB72_144
; %bb.135:
	v_cmp_ne_u32_e32 vcc_lo, 1, v14
	s_cbranch_vccnz .LBB72_137
; %bb.136:
	v_cmp_eq_u32_e32 vcc_lo, 1, v0
	ds_load_b32 v13, v11
	v_cndmask_b32_e32 v12, v2, v3, vcc_lo
	v_cmp_eq_u32_e32 vcc_lo, 2, v0
	s_delay_alu instid0(VALU_DEP_2) | instskip(SKIP_1) | instid1(VALU_DEP_2)
	v_cndmask_b32_e32 v12, v12, v4, vcc_lo
	v_cmp_eq_u32_e32 vcc_lo, 3, v0
	v_cndmask_b32_e32 v12, v12, v5, vcc_lo
	v_cmp_eq_u32_e32 vcc_lo, 4, v0
	s_delay_alu instid0(VALU_DEP_2) | instskip(SKIP_1) | instid1(VALU_DEP_2)
	v_cndmask_b32_e32 v12, v12, v6, vcc_lo
	v_cmp_eq_u32_e32 vcc_lo, 5, v0
	;; [unrolled: 5-line block ×3, first 2 shown]
	v_cndmask_b32_e32 v12, v12, v9, vcc_lo
	v_cmp_eq_u32_e32 vcc_lo, 8, v0
	s_delay_alu instid0(VALU_DEP_2) | instskip(SKIP_1) | instid1(VALU_DEP_1)
	v_cndmask_b32_e32 v12, v12, v10, vcc_lo
	s_wait_dscnt 0x0
	v_mul_f32_e32 v15, v12, v13
	s_cbranch_execz .LBB72_138
	s_branch .LBB72_139
.LBB72_137:
                                        ; implicit-def: $vgpr15
.LBB72_138:
	ds_load_b32 v15, v11
.LBB72_139:
	s_mov_b32 s1, exec_lo
	v_cmpx_ne_u32_e32 3, v0
	s_cbranch_execz .LBB72_143
; %bb.140:
	v_mov_b64_e32 v[12:13], v[0:1]
	v_lshl_add_u32 v16, v0, 2, 52
	s_mov_b32 s2, 0
.LBB72_141:                             ; =>This Inner Loop Header: Depth=1
	s_delay_alu instid0(VALU_DEP_2)
	v_add_nc_u64_e32 v[12:13], 1, v[12:13]
	ds_load_b32 v18, v16
	v_add_nc_u32_e32 v16, 4, v16
	v_cmp_eq_u32_e32 vcc_lo, 1, v12
	v_cndmask_b32_e32 v17, v2, v3, vcc_lo
	v_cmp_eq_u32_e32 vcc_lo, 2, v12
	s_delay_alu instid0(VALU_DEP_2) | instskip(SKIP_1) | instid1(VALU_DEP_2)
	v_cndmask_b32_e32 v17, v17, v4, vcc_lo
	v_cmp_eq_u32_e32 vcc_lo, 3, v12
	v_cndmask_b32_e32 v17, v17, v5, vcc_lo
	v_cmp_eq_u32_e32 vcc_lo, 4, v12
	s_delay_alu instid0(VALU_DEP_2) | instskip(SKIP_1) | instid1(VALU_DEP_2)
	v_cndmask_b32_e32 v17, v17, v6, vcc_lo
	v_cmp_eq_u32_e32 vcc_lo, 5, v12
	v_cndmask_b32_e32 v17, v17, v7, vcc_lo
	v_cmp_eq_u32_e32 vcc_lo, 6, v12
	s_delay_alu instid0(VALU_DEP_2) | instskip(SKIP_1) | instid1(VALU_DEP_2)
	v_cndmask_b32_e32 v17, v17, v8, vcc_lo
	v_cmp_eq_u32_e32 vcc_lo, 7, v12
	v_cndmask_b32_e32 v17, v17, v9, vcc_lo
	v_cmp_eq_u32_e32 vcc_lo, 8, v12
	s_delay_alu instid0(VALU_DEP_2) | instskip(SKIP_2) | instid1(VALU_DEP_2)
	v_cndmask_b32_e32 v17, v17, v10, vcc_lo
	v_cmp_lt_u32_e32 vcc_lo, 2, v12
	s_wait_dscnt 0x0
	v_fmac_f32_e32 v15, v17, v18
	s_or_b32 s2, vcc_lo, s2
	s_delay_alu instid0(SALU_CYCLE_1)
	s_and_not1_b32 exec_lo, exec_lo, s2
	s_cbranch_execnz .LBB72_141
; %bb.142:
	s_or_b32 exec_lo, exec_lo, s2
.LBB72_143:
	s_delay_alu instid0(SALU_CYCLE_1)
	s_or_b32 exec_lo, exec_lo, s1
	v_mov_b32_e32 v6, 0
	ds_load_b32 v6, v6 offset:16
	s_wait_dscnt 0x0
	v_mul_f32_e32 v6, v15, v6
.LBB72_144:
	s_or_b32 exec_lo, exec_lo, s0
	s_delay_alu instid0(SALU_CYCLE_1)
	s_mov_b32 s0, exec_lo
	ds_store_b32 v11, v7
	s_wait_dscnt 0x0
	s_barrier_signal -1
	s_barrier_wait -1
	v_cmpx_gt_u32_e32 5, v0
	s_cbranch_execz .LBB72_154
; %bb.145:
	v_cmp_ne_u32_e32 vcc_lo, 1, v14
	s_cbranch_vccnz .LBB72_147
; %bb.146:
	v_cmp_eq_u32_e32 vcc_lo, 1, v0
	ds_load_b32 v13, v11
	v_cndmask_b32_e32 v12, v2, v3, vcc_lo
	v_cmp_eq_u32_e32 vcc_lo, 2, v0
	s_delay_alu instid0(VALU_DEP_2) | instskip(SKIP_1) | instid1(VALU_DEP_2)
	v_cndmask_b32_e32 v12, v12, v4, vcc_lo
	v_cmp_eq_u32_e32 vcc_lo, 3, v0
	v_cndmask_b32_e32 v12, v12, v5, vcc_lo
	v_cmp_eq_u32_e32 vcc_lo, 4, v0
	s_delay_alu instid0(VALU_DEP_2) | instskip(SKIP_1) | instid1(VALU_DEP_2)
	v_cndmask_b32_e32 v12, v12, v6, vcc_lo
	v_cmp_eq_u32_e32 vcc_lo, 5, v0
	;; [unrolled: 5-line block ×3, first 2 shown]
	v_cndmask_b32_e32 v12, v12, v9, vcc_lo
	v_cmp_eq_u32_e32 vcc_lo, 8, v0
	s_delay_alu instid0(VALU_DEP_2) | instskip(SKIP_1) | instid1(VALU_DEP_1)
	v_cndmask_b32_e32 v12, v12, v10, vcc_lo
	s_wait_dscnt 0x0
	v_mul_f32_e32 v15, v12, v13
	s_cbranch_execz .LBB72_148
	s_branch .LBB72_149
.LBB72_147:
                                        ; implicit-def: $vgpr15
.LBB72_148:
	ds_load_b32 v15, v11
.LBB72_149:
	s_mov_b32 s1, exec_lo
	v_cmpx_ne_u32_e32 4, v0
	s_cbranch_execz .LBB72_153
; %bb.150:
	v_mov_b64_e32 v[12:13], v[0:1]
	v_lshl_add_u32 v16, v0, 2, 52
	s_mov_b32 s2, 0
.LBB72_151:                             ; =>This Inner Loop Header: Depth=1
	s_delay_alu instid0(VALU_DEP_2)
	v_add_nc_u64_e32 v[12:13], 1, v[12:13]
	ds_load_b32 v18, v16
	v_add_nc_u32_e32 v16, 4, v16
	v_cmp_eq_u32_e32 vcc_lo, 1, v12
	v_cndmask_b32_e32 v17, v2, v3, vcc_lo
	v_cmp_eq_u32_e32 vcc_lo, 2, v12
	s_delay_alu instid0(VALU_DEP_2) | instskip(SKIP_1) | instid1(VALU_DEP_2)
	v_cndmask_b32_e32 v17, v17, v4, vcc_lo
	v_cmp_eq_u32_e32 vcc_lo, 3, v12
	v_cndmask_b32_e32 v17, v17, v5, vcc_lo
	v_cmp_eq_u32_e32 vcc_lo, 4, v12
	s_delay_alu instid0(VALU_DEP_2) | instskip(SKIP_1) | instid1(VALU_DEP_2)
	v_cndmask_b32_e32 v17, v17, v6, vcc_lo
	;; [unrolled: 5-line block ×3, first 2 shown]
	v_cmp_eq_u32_e32 vcc_lo, 7, v12
	v_cndmask_b32_e32 v17, v17, v9, vcc_lo
	v_cmp_eq_u32_e32 vcc_lo, 8, v12
	s_delay_alu instid0(VALU_DEP_2) | instskip(SKIP_2) | instid1(VALU_DEP_2)
	v_cndmask_b32_e32 v17, v17, v10, vcc_lo
	v_cmp_lt_u32_e32 vcc_lo, 3, v12
	s_wait_dscnt 0x0
	v_fmac_f32_e32 v15, v17, v18
	s_or_b32 s2, vcc_lo, s2
	s_delay_alu instid0(SALU_CYCLE_1)
	s_and_not1_b32 exec_lo, exec_lo, s2
	s_cbranch_execnz .LBB72_151
; %bb.152:
	s_or_b32 exec_lo, exec_lo, s2
.LBB72_153:
	s_delay_alu instid0(SALU_CYCLE_1)
	s_or_b32 exec_lo, exec_lo, s1
	v_mov_b32_e32 v7, 0
	ds_load_b32 v7, v7 offset:20
	s_wait_dscnt 0x0
	v_mul_f32_e32 v7, v15, v7
.LBB72_154:
	s_or_b32 exec_lo, exec_lo, s0
	s_delay_alu instid0(SALU_CYCLE_1)
	s_mov_b32 s0, exec_lo
	ds_store_b32 v11, v8
	s_wait_dscnt 0x0
	s_barrier_signal -1
	s_barrier_wait -1
	v_cmpx_gt_u32_e32 6, v0
	s_cbranch_execz .LBB72_164
; %bb.155:
	v_cmp_ne_u32_e32 vcc_lo, 1, v14
	s_cbranch_vccnz .LBB72_157
; %bb.156:
	v_cmp_eq_u32_e32 vcc_lo, 1, v0
	ds_load_b32 v13, v11
	v_cndmask_b32_e32 v12, v2, v3, vcc_lo
	v_cmp_eq_u32_e32 vcc_lo, 2, v0
	s_delay_alu instid0(VALU_DEP_2) | instskip(SKIP_1) | instid1(VALU_DEP_2)
	v_cndmask_b32_e32 v12, v12, v4, vcc_lo
	v_cmp_eq_u32_e32 vcc_lo, 3, v0
	v_cndmask_b32_e32 v12, v12, v5, vcc_lo
	v_cmp_eq_u32_e32 vcc_lo, 4, v0
	s_delay_alu instid0(VALU_DEP_2) | instskip(SKIP_1) | instid1(VALU_DEP_2)
	v_cndmask_b32_e32 v12, v12, v6, vcc_lo
	v_cmp_eq_u32_e32 vcc_lo, 5, v0
	;; [unrolled: 5-line block ×3, first 2 shown]
	v_cndmask_b32_e32 v12, v12, v9, vcc_lo
	v_cmp_eq_u32_e32 vcc_lo, 8, v0
	s_delay_alu instid0(VALU_DEP_2) | instskip(SKIP_1) | instid1(VALU_DEP_1)
	v_cndmask_b32_e32 v12, v12, v10, vcc_lo
	s_wait_dscnt 0x0
	v_mul_f32_e32 v15, v12, v13
	s_cbranch_execz .LBB72_158
	s_branch .LBB72_159
.LBB72_157:
                                        ; implicit-def: $vgpr15
.LBB72_158:
	ds_load_b32 v15, v11
.LBB72_159:
	s_mov_b32 s1, exec_lo
	v_cmpx_ne_u32_e32 5, v0
	s_cbranch_execz .LBB72_163
; %bb.160:
	v_mov_b64_e32 v[12:13], v[0:1]
	v_lshl_add_u32 v16, v0, 2, 52
	s_mov_b32 s2, 0
.LBB72_161:                             ; =>This Inner Loop Header: Depth=1
	s_delay_alu instid0(VALU_DEP_2)
	v_add_nc_u64_e32 v[12:13], 1, v[12:13]
	ds_load_b32 v18, v16
	v_add_nc_u32_e32 v16, 4, v16
	v_cmp_eq_u32_e32 vcc_lo, 1, v12
	v_cndmask_b32_e32 v17, v2, v3, vcc_lo
	v_cmp_eq_u32_e32 vcc_lo, 2, v12
	s_delay_alu instid0(VALU_DEP_2) | instskip(SKIP_1) | instid1(VALU_DEP_2)
	v_cndmask_b32_e32 v17, v17, v4, vcc_lo
	v_cmp_eq_u32_e32 vcc_lo, 3, v12
	v_cndmask_b32_e32 v17, v17, v5, vcc_lo
	v_cmp_eq_u32_e32 vcc_lo, 4, v12
	s_delay_alu instid0(VALU_DEP_2) | instskip(SKIP_1) | instid1(VALU_DEP_2)
	v_cndmask_b32_e32 v17, v17, v6, vcc_lo
	;; [unrolled: 5-line block ×3, first 2 shown]
	v_cmp_eq_u32_e32 vcc_lo, 7, v12
	v_cndmask_b32_e32 v17, v17, v9, vcc_lo
	v_cmp_eq_u32_e32 vcc_lo, 8, v12
	s_delay_alu instid0(VALU_DEP_2) | instskip(SKIP_2) | instid1(VALU_DEP_2)
	v_cndmask_b32_e32 v17, v17, v10, vcc_lo
	v_cmp_lt_u32_e32 vcc_lo, 4, v12
	s_wait_dscnt 0x0
	v_fmac_f32_e32 v15, v17, v18
	s_or_b32 s2, vcc_lo, s2
	s_delay_alu instid0(SALU_CYCLE_1)
	s_and_not1_b32 exec_lo, exec_lo, s2
	s_cbranch_execnz .LBB72_161
; %bb.162:
	s_or_b32 exec_lo, exec_lo, s2
.LBB72_163:
	s_delay_alu instid0(SALU_CYCLE_1)
	s_or_b32 exec_lo, exec_lo, s1
	v_mov_b32_e32 v8, 0
	ds_load_b32 v8, v8 offset:24
	s_wait_dscnt 0x0
	v_mul_f32_e32 v8, v15, v8
.LBB72_164:
	s_or_b32 exec_lo, exec_lo, s0
	v_cmp_gt_u32_e64 s0, 7, v0
	ds_store_b32 v11, v9
	s_wait_dscnt 0x0
	s_barrier_signal -1
	s_barrier_wait -1
	s_and_saveexec_b32 s1, s0
	s_cbranch_execz .LBB72_174
; %bb.165:
	v_cmp_ne_u32_e32 vcc_lo, 1, v14
	s_cbranch_vccnz .LBB72_167
; %bb.166:
	v_cmp_eq_u32_e32 vcc_lo, 1, v0
	ds_load_b32 v13, v11
	v_cndmask_b32_e32 v12, v2, v3, vcc_lo
	v_cmp_eq_u32_e32 vcc_lo, 2, v0
	s_delay_alu instid0(VALU_DEP_2) | instskip(SKIP_1) | instid1(VALU_DEP_2)
	v_cndmask_b32_e32 v12, v12, v4, vcc_lo
	v_cmp_eq_u32_e32 vcc_lo, 3, v0
	v_cndmask_b32_e32 v12, v12, v5, vcc_lo
	v_cmp_eq_u32_e32 vcc_lo, 4, v0
	s_delay_alu instid0(VALU_DEP_2) | instskip(SKIP_1) | instid1(VALU_DEP_2)
	v_cndmask_b32_e32 v12, v12, v6, vcc_lo
	v_cmp_eq_u32_e32 vcc_lo, 5, v0
	v_cndmask_b32_e32 v12, v12, v7, vcc_lo
	v_cmp_eq_u32_e32 vcc_lo, 6, v0
	s_delay_alu instid0(VALU_DEP_2) | instskip(SKIP_1) | instid1(VALU_DEP_2)
	v_cndmask_b32_e32 v12, v12, v8, vcc_lo
	v_cmp_eq_u32_e32 vcc_lo, 7, v0
	v_cndmask_b32_e32 v12, v12, v9, vcc_lo
	v_cmp_eq_u32_e32 vcc_lo, 8, v0
	s_delay_alu instid0(VALU_DEP_2) | instskip(SKIP_1) | instid1(VALU_DEP_1)
	v_cndmask_b32_e32 v12, v12, v10, vcc_lo
	s_wait_dscnt 0x0
	v_mul_f32_e32 v15, v12, v13
	s_cbranch_execz .LBB72_168
	s_branch .LBB72_169
.LBB72_167:
                                        ; implicit-def: $vgpr15
.LBB72_168:
	ds_load_b32 v15, v11
.LBB72_169:
	s_mov_b32 s2, exec_lo
	v_cmpx_ne_u32_e32 6, v0
	s_cbranch_execz .LBB72_173
; %bb.170:
	v_mov_b64_e32 v[12:13], v[0:1]
	v_lshl_add_u32 v16, v0, 2, 52
	s_mov_b32 s3, 0
.LBB72_171:                             ; =>This Inner Loop Header: Depth=1
	s_delay_alu instid0(VALU_DEP_2)
	v_add_nc_u64_e32 v[12:13], 1, v[12:13]
	ds_load_b32 v18, v16
	v_add_nc_u32_e32 v16, 4, v16
	v_cmp_eq_u32_e32 vcc_lo, 1, v12
	v_cndmask_b32_e32 v17, v2, v3, vcc_lo
	v_cmp_eq_u32_e32 vcc_lo, 2, v12
	s_delay_alu instid0(VALU_DEP_2) | instskip(SKIP_1) | instid1(VALU_DEP_2)
	v_cndmask_b32_e32 v17, v17, v4, vcc_lo
	v_cmp_eq_u32_e32 vcc_lo, 3, v12
	v_cndmask_b32_e32 v17, v17, v5, vcc_lo
	v_cmp_eq_u32_e32 vcc_lo, 4, v12
	s_delay_alu instid0(VALU_DEP_2) | instskip(SKIP_1) | instid1(VALU_DEP_2)
	v_cndmask_b32_e32 v17, v17, v6, vcc_lo
	;; [unrolled: 5-line block ×3, first 2 shown]
	v_cmp_eq_u32_e32 vcc_lo, 7, v12
	v_cndmask_b32_e32 v17, v17, v9, vcc_lo
	v_cmp_eq_u32_e32 vcc_lo, 8, v12
	s_delay_alu instid0(VALU_DEP_2) | instskip(SKIP_2) | instid1(VALU_DEP_2)
	v_cndmask_b32_e32 v17, v17, v10, vcc_lo
	v_cmp_lt_u32_e32 vcc_lo, 5, v12
	s_wait_dscnt 0x0
	v_fmac_f32_e32 v15, v17, v18
	s_or_b32 s3, vcc_lo, s3
	s_delay_alu instid0(SALU_CYCLE_1)
	s_and_not1_b32 exec_lo, exec_lo, s3
	s_cbranch_execnz .LBB72_171
; %bb.172:
	s_or_b32 exec_lo, exec_lo, s3
.LBB72_173:
	s_delay_alu instid0(SALU_CYCLE_1)
	s_or_b32 exec_lo, exec_lo, s2
	v_mov_b32_e32 v9, 0
	ds_load_b32 v9, v9 offset:28
	s_wait_dscnt 0x0
	v_mul_f32_e32 v9, v15, v9
.LBB72_174:
	s_or_b32 exec_lo, exec_lo, s1
	s_delay_alu instid0(SALU_CYCLE_1)
	s_mov_b32 s1, exec_lo
	ds_store_b32 v11, v10
	s_wait_dscnt 0x0
	s_barrier_signal -1
	s_barrier_wait -1
	v_cmpx_ne_u32_e32 8, v0
	s_cbranch_execz .LBB72_184
; %bb.175:
	v_cmp_ne_u32_e32 vcc_lo, 1, v14
	s_cbranch_vccnz .LBB72_177
; %bb.176:
	v_cmp_eq_u32_e32 vcc_lo, 1, v0
	ds_load_b32 v13, v11
	v_cndmask_b32_e32 v12, v2, v3, vcc_lo
	v_cmp_eq_u32_e32 vcc_lo, 2, v0
	s_delay_alu instid0(VALU_DEP_2) | instskip(SKIP_1) | instid1(VALU_DEP_2)
	v_cndmask_b32_e32 v12, v12, v4, vcc_lo
	v_cmp_eq_u32_e32 vcc_lo, 3, v0
	v_cndmask_b32_e32 v12, v12, v5, vcc_lo
	v_cmp_eq_u32_e32 vcc_lo, 4, v0
	s_delay_alu instid0(VALU_DEP_2) | instskip(SKIP_1) | instid1(VALU_DEP_2)
	v_cndmask_b32_e32 v12, v12, v6, vcc_lo
	v_cmp_eq_u32_e32 vcc_lo, 5, v0
	;; [unrolled: 5-line block ×3, first 2 shown]
	v_cndmask_b32_e32 v12, v12, v9, vcc_lo
	v_cmp_eq_u32_e32 vcc_lo, 8, v0
	s_delay_alu instid0(VALU_DEP_2) | instskip(SKIP_1) | instid1(VALU_DEP_1)
	v_cndmask_b32_e32 v12, v12, v10, vcc_lo
	s_wait_dscnt 0x0
	v_mul_f32_e32 v12, v12, v13
	s_cbranch_execz .LBB72_178
	s_branch .LBB72_179
.LBB72_177:
                                        ; implicit-def: $vgpr12
.LBB72_178:
	ds_load_b32 v12, v11
.LBB72_179:
	s_and_saveexec_b32 s2, s0
	s_cbranch_execz .LBB72_183
; %bb.180:
	v_lshl_add_u32 v11, v0, 2, 52
	s_mov_b32 s0, 0
.LBB72_181:                             ; =>This Inner Loop Header: Depth=1
	v_add_nc_u64_e32 v[0:1], 1, v[0:1]
	ds_load_b32 v14, v11
	v_add_nc_u32_e32 v11, 4, v11
	v_cmp_eq_u32_e32 vcc_lo, 1, v0
	v_cndmask_b32_e32 v13, v2, v3, vcc_lo
	v_cmp_eq_u32_e32 vcc_lo, 2, v0
	s_delay_alu instid0(VALU_DEP_2) | instskip(SKIP_1) | instid1(VALU_DEP_2)
	v_cndmask_b32_e32 v13, v13, v4, vcc_lo
	v_cmp_eq_u32_e32 vcc_lo, 3, v0
	v_cndmask_b32_e32 v13, v13, v5, vcc_lo
	v_cmp_eq_u32_e32 vcc_lo, 4, v0
	s_delay_alu instid0(VALU_DEP_2) | instskip(SKIP_1) | instid1(VALU_DEP_2)
	v_cndmask_b32_e32 v13, v13, v6, vcc_lo
	;; [unrolled: 5-line block ×3, first 2 shown]
	v_cmp_eq_u32_e32 vcc_lo, 7, v0
	v_cndmask_b32_e32 v13, v13, v9, vcc_lo
	v_cmp_eq_u32_e32 vcc_lo, 8, v0
	s_delay_alu instid0(VALU_DEP_2) | instskip(SKIP_2) | instid1(VALU_DEP_2)
	v_cndmask_b32_e32 v13, v13, v10, vcc_lo
	v_cmp_lt_u32_e32 vcc_lo, 6, v0
	s_wait_dscnt 0x0
	v_fmac_f32_e32 v12, v13, v14
	s_or_b32 s0, vcc_lo, s0
	s_delay_alu instid0(SALU_CYCLE_1)
	s_and_not1_b32 exec_lo, exec_lo, s0
	s_cbranch_execnz .LBB72_181
; %bb.182:
	s_or_b32 exec_lo, exec_lo, s0
.LBB72_183:
	s_delay_alu instid0(SALU_CYCLE_1)
	s_or_b32 exec_lo, exec_lo, s2
	v_mov_b32_e32 v0, 0
	ds_load_b32 v0, v0 offset:32
	s_wait_dscnt 0x0
	v_mul_f32_e32 v10, v12, v0
.LBB72_184:
	s_or_b32 exec_lo, exec_lo, s1
	s_delay_alu instid0(VALU_DEP_1)
	v_dual_mov_b32 v20, v10 :: v_dual_mov_b32 v19, v9
	v_dual_mov_b32 v18, v8 :: v_dual_mov_b32 v17, v7
	;; [unrolled: 1-line block ×4, first 2 shown]
	v_mov_b32_e32 v12, v2
.LBB72_185:
	s_wait_xcnt 0x8
	v_lshl_add_u64 v[0:1], v[22:23], 2, s[10:11]
	s_wait_loadcnt_dscnt 0x708
	v_lshl_add_u64 v[2:3], v[24:25], 2, s[10:11]
	s_wait_loadcnt_dscnt 0x506
	;; [unrolled: 2-line block ×5, first 2 shown]
	v_lshl_add_u64 v[10:11], v[36:37], 2, s[10:11]
	v_lshl_add_u64 v[22:23], v[38:39], 2, s[10:11]
	s_clause 0x8
	flat_store_b32 v[28:29], v12
	flat_store_b32 v[32:33], v13
	;; [unrolled: 1-line block ×9, first 2 shown]
.LBB72_186:
	s_endpgm
	.section	.rodata,"a",@progbits
	.p2align	6, 0x0
	.amdhsa_kernel _ZN9rocsolver6v33100L18trti2_kernel_smallILi9EfPKPfEEv13rocblas_fill_17rocblas_diagonal_T1_iil
		.amdhsa_group_segment_fixed_size 84
		.amdhsa_private_segment_fixed_size 0
		.amdhsa_kernarg_size 32
		.amdhsa_user_sgpr_count 2
		.amdhsa_user_sgpr_dispatch_ptr 0
		.amdhsa_user_sgpr_queue_ptr 0
		.amdhsa_user_sgpr_kernarg_segment_ptr 1
		.amdhsa_user_sgpr_dispatch_id 0
		.amdhsa_user_sgpr_kernarg_preload_length 0
		.amdhsa_user_sgpr_kernarg_preload_offset 0
		.amdhsa_user_sgpr_private_segment_size 0
		.amdhsa_wavefront_size32 1
		.amdhsa_uses_dynamic_stack 0
		.amdhsa_enable_private_segment 0
		.amdhsa_system_sgpr_workgroup_id_x 1
		.amdhsa_system_sgpr_workgroup_id_y 0
		.amdhsa_system_sgpr_workgroup_id_z 0
		.amdhsa_system_sgpr_workgroup_info 0
		.amdhsa_system_vgpr_workitem_id 0
		.amdhsa_next_free_vgpr 53
		.amdhsa_next_free_sgpr 16
		.amdhsa_named_barrier_count 0
		.amdhsa_reserve_vcc 1
		.amdhsa_float_round_mode_32 0
		.amdhsa_float_round_mode_16_64 0
		.amdhsa_float_denorm_mode_32 3
		.amdhsa_float_denorm_mode_16_64 3
		.amdhsa_fp16_overflow 0
		.amdhsa_memory_ordered 1
		.amdhsa_forward_progress 1
		.amdhsa_inst_pref_size 61
		.amdhsa_round_robin_scheduling 0
		.amdhsa_exception_fp_ieee_invalid_op 0
		.amdhsa_exception_fp_denorm_src 0
		.amdhsa_exception_fp_ieee_div_zero 0
		.amdhsa_exception_fp_ieee_overflow 0
		.amdhsa_exception_fp_ieee_underflow 0
		.amdhsa_exception_fp_ieee_inexact 0
		.amdhsa_exception_int_div_zero 0
	.end_amdhsa_kernel
	.section	.text._ZN9rocsolver6v33100L18trti2_kernel_smallILi9EfPKPfEEv13rocblas_fill_17rocblas_diagonal_T1_iil,"axG",@progbits,_ZN9rocsolver6v33100L18trti2_kernel_smallILi9EfPKPfEEv13rocblas_fill_17rocblas_diagonal_T1_iil,comdat
.Lfunc_end72:
	.size	_ZN9rocsolver6v33100L18trti2_kernel_smallILi9EfPKPfEEv13rocblas_fill_17rocblas_diagonal_T1_iil, .Lfunc_end72-_ZN9rocsolver6v33100L18trti2_kernel_smallILi9EfPKPfEEv13rocblas_fill_17rocblas_diagonal_T1_iil
                                        ; -- End function
	.set _ZN9rocsolver6v33100L18trti2_kernel_smallILi9EfPKPfEEv13rocblas_fill_17rocblas_diagonal_T1_iil.num_vgpr, 53
	.set _ZN9rocsolver6v33100L18trti2_kernel_smallILi9EfPKPfEEv13rocblas_fill_17rocblas_diagonal_T1_iil.num_agpr, 0
	.set _ZN9rocsolver6v33100L18trti2_kernel_smallILi9EfPKPfEEv13rocblas_fill_17rocblas_diagonal_T1_iil.numbered_sgpr, 16
	.set _ZN9rocsolver6v33100L18trti2_kernel_smallILi9EfPKPfEEv13rocblas_fill_17rocblas_diagonal_T1_iil.num_named_barrier, 0
	.set _ZN9rocsolver6v33100L18trti2_kernel_smallILi9EfPKPfEEv13rocblas_fill_17rocblas_diagonal_T1_iil.private_seg_size, 0
	.set _ZN9rocsolver6v33100L18trti2_kernel_smallILi9EfPKPfEEv13rocblas_fill_17rocblas_diagonal_T1_iil.uses_vcc, 1
	.set _ZN9rocsolver6v33100L18trti2_kernel_smallILi9EfPKPfEEv13rocblas_fill_17rocblas_diagonal_T1_iil.uses_flat_scratch, 1
	.set _ZN9rocsolver6v33100L18trti2_kernel_smallILi9EfPKPfEEv13rocblas_fill_17rocblas_diagonal_T1_iil.has_dyn_sized_stack, 0
	.set _ZN9rocsolver6v33100L18trti2_kernel_smallILi9EfPKPfEEv13rocblas_fill_17rocblas_diagonal_T1_iil.has_recursion, 0
	.set _ZN9rocsolver6v33100L18trti2_kernel_smallILi9EfPKPfEEv13rocblas_fill_17rocblas_diagonal_T1_iil.has_indirect_call, 0
	.section	.AMDGPU.csdata,"",@progbits
; Kernel info:
; codeLenInByte = 7700
; TotalNumSgprs: 18
; NumVgprs: 53
; ScratchSize: 0
; MemoryBound: 0
; FloatMode: 240
; IeeeMode: 1
; LDSByteSize: 84 bytes/workgroup (compile time only)
; SGPRBlocks: 0
; VGPRBlocks: 3
; NumSGPRsForWavesPerEU: 18
; NumVGPRsForWavesPerEU: 53
; NamedBarCnt: 0
; Occupancy: 16
; WaveLimiterHint : 1
; COMPUTE_PGM_RSRC2:SCRATCH_EN: 0
; COMPUTE_PGM_RSRC2:USER_SGPR: 2
; COMPUTE_PGM_RSRC2:TRAP_HANDLER: 0
; COMPUTE_PGM_RSRC2:TGID_X_EN: 1
; COMPUTE_PGM_RSRC2:TGID_Y_EN: 0
; COMPUTE_PGM_RSRC2:TGID_Z_EN: 0
; COMPUTE_PGM_RSRC2:TIDIG_COMP_CNT: 0
	.section	.text._ZN9rocsolver6v33100L18trti2_kernel_smallILi10EfPKPfEEv13rocblas_fill_17rocblas_diagonal_T1_iil,"axG",@progbits,_ZN9rocsolver6v33100L18trti2_kernel_smallILi10EfPKPfEEv13rocblas_fill_17rocblas_diagonal_T1_iil,comdat
	.globl	_ZN9rocsolver6v33100L18trti2_kernel_smallILi10EfPKPfEEv13rocblas_fill_17rocblas_diagonal_T1_iil ; -- Begin function _ZN9rocsolver6v33100L18trti2_kernel_smallILi10EfPKPfEEv13rocblas_fill_17rocblas_diagonal_T1_iil
	.p2align	8
	.type	_ZN9rocsolver6v33100L18trti2_kernel_smallILi10EfPKPfEEv13rocblas_fill_17rocblas_diagonal_T1_iil,@function
_ZN9rocsolver6v33100L18trti2_kernel_smallILi10EfPKPfEEv13rocblas_fill_17rocblas_diagonal_T1_iil: ; @_ZN9rocsolver6v33100L18trti2_kernel_smallILi10EfPKPfEEv13rocblas_fill_17rocblas_diagonal_T1_iil
; %bb.0:
	s_mov_b32 s2, exec_lo
	v_cmpx_gt_u32_e32 10, v0
	s_cbranch_execz .LBB73_224
; %bb.1:
	s_clause 0x1
	s_load_b64 s[2:3], s[0:1], 0x10
	s_load_b128 s[12:15], s[0:1], 0x0
	s_wait_xcnt 0x0
	s_bfe_u32 s0, ttmp6, 0x4000c
	s_and_b32 s1, ttmp6, 15
	s_add_co_i32 s0, s0, 1
	s_getreg_b32 s4, hwreg(HW_REG_IB_STS2, 6, 4)
	s_mul_i32 s0, ttmp9, s0
	v_mov_b32_e32 v1, 0
	s_add_co_i32 s0, s1, s0
	s_delay_alu instid0(VALU_DEP_1)
	v_dual_mov_b32 v13, v1 :: v_dual_lshlrev_b32 v12, 2, v0
	s_wait_kmcnt 0x0
	s_ashr_i32 s1, s2, 31
	s_cmp_eq_u32 s4, 0
	v_add3_u32 v22, s3, s3, v0
	s_cselect_b32 s4, ttmp9, s0
	s_mov_b32 s0, s2
	s_ashr_i32 s5, s4, 31
	s_lshl_b64 s[0:1], s[0:1], 2
	s_lshl_b64 s[4:5], s[4:5], 3
	v_add_nc_u32_e32 v24, s3, v22
	s_add_nc_u64 s[4:5], s[14:15], s[4:5]
	s_load_b64 s[4:5], s[4:5], 0x0
	s_delay_alu instid0(VALU_DEP_1) | instskip(NEXT) | instid1(VALU_DEP_1)
	v_add_nc_u32_e32 v26, s3, v24
	v_add_nc_u32_e32 v28, s3, v26
	s_delay_alu instid0(VALU_DEP_1) | instskip(NEXT) | instid1(VALU_DEP_1)
	v_add_nc_u32_e32 v32, s3, v28
	v_add_nc_u32_e32 v36, s3, v32
	s_wait_kmcnt 0x0
	s_add_nc_u64 s[10:11], s[4:5], s[0:1]
	s_mov_b32 s0, s3
	v_add_nc_u64_e32 v[30:31], s[10:11], v[12:13]
	s_ashr_i32 s1, s3, 31
	v_dual_mov_b32 v13, -1.0 :: v_dual_add_nc_u32 v38, s3, v36
	s_cmp_lg_u32 s13, 0x84
	s_cselect_b32 s14, -1, 0
	s_delay_alu instid0(VALU_DEP_2) | instskip(NEXT) | instid1(VALU_DEP_2)
	v_lshl_add_u64 v[34:35], s[0:1], 2, v[30:31]
	v_add_nc_u32_e32 v40, s3, v38
	v_cmp_eq_u32_e64 s0, 0, v0
	s_cmp_eq_u32 s13, 0x84
	s_clause 0x9
	flat_load_b32 v3, v[34:35]
	flat_load_b32 v4, v22, s[10:11] scale_offset
	flat_load_b32 v5, v24, s[10:11] scale_offset
	;; [unrolled: 1-line block ×9, first 2 shown]
	s_cbranch_scc1 .LBB73_3
; %bb.2:
	v_cmp_eq_u32_e64 s1, 1, v0
	v_cmp_eq_u32_e64 s2, 2, v0
	;; [unrolled: 1-line block ×5, first 2 shown]
	s_wait_loadcnt_dscnt 0x101
	v_cndmask_b32_e64 v13, v2, v3, s1
	v_cmp_eq_u32_e64 s6, 6, v0
	v_cmp_eq_u32_e64 s7, 7, v0
	;; [unrolled: 1-line block ×4, first 2 shown]
	v_cndmask_b32_e64 v13, v13, v4, s2
	s_delay_alu instid0(VALU_DEP_1) | instskip(NEXT) | instid1(VALU_DEP_1)
	v_cndmask_b32_e64 v13, v13, v5, s3
	v_cndmask_b32_e64 v13, v13, v6, s4
	s_delay_alu instid0(VALU_DEP_1) | instskip(NEXT) | instid1(VALU_DEP_1)
	v_cndmask_b32_e64 v13, v13, v7, s5
	;; [unrolled: 3-line block ×3, first 2 shown]
	v_cndmask_b32_e64 v13, v13, v10, s8
	s_wait_loadcnt_dscnt 0x0
	s_delay_alu instid0(VALU_DEP_1) | instskip(NEXT) | instid1(VALU_DEP_1)
	v_cndmask_b32_e64 v13, v13, v11, s9
	v_div_scale_f32 v14, null, v13, v13, 1.0
	v_div_scale_f32 v17, vcc_lo, 1.0, v13, 1.0
	s_delay_alu instid0(VALU_DEP_2) | instskip(SKIP_1) | instid1(TRANS32_DEP_1)
	v_rcp_f32_e32 v15, v14
	v_nop
	v_fma_f32 v16, -v14, v15, 1.0
	s_delay_alu instid0(VALU_DEP_1) | instskip(NEXT) | instid1(VALU_DEP_1)
	v_fmac_f32_e32 v15, v16, v15
	v_mul_f32_e32 v16, v17, v15
	s_delay_alu instid0(VALU_DEP_1) | instskip(NEXT) | instid1(VALU_DEP_1)
	v_fma_f32 v18, -v14, v16, v17
	v_fmac_f32_e32 v16, v18, v15
	s_delay_alu instid0(VALU_DEP_1) | instskip(NEXT) | instid1(VALU_DEP_1)
	v_fma_f32 v14, -v14, v16, v17
	v_div_fmas_f32 v14, v14, v15, v16
	s_delay_alu instid0(VALU_DEP_1) | instskip(NEXT) | instid1(VALU_DEP_1)
	v_div_fixup_f32 v13, v14, v13, 1.0
	v_dual_cndmask_b32 v11, v11, v13, s9 :: v_dual_cndmask_b32 v10, v10, v13, s8
	v_dual_cndmask_b32 v9, v9, v13, s7 :: v_dual_cndmask_b32 v8, v8, v13, s6
	;; [unrolled: 1-line block ×5, first 2 shown]
	v_xor_b32_e32 v13, 0x80000000, v13
.LBB73_3:
	v_dual_ashrrev_i32 v23, 31, v22 :: v_dual_ashrrev_i32 v25, 31, v24
	v_dual_ashrrev_i32 v27, 31, v26 :: v_dual_ashrrev_i32 v29, 31, v28
	;; [unrolled: 1-line block ×3, first 2 shown]
	v_ashrrev_i32_e32 v37, 31, v36
	v_ashrrev_i32_e32 v41, 31, v40
	v_add_nc_u32_e32 v45, 48, v12
	s_cmp_eq_u32 s12, 0x79
	ds_store_b32 v12, v13
	s_cbranch_scc1 .LBB73_7
; %bb.4:
	s_wait_loadcnt_dscnt 0x1
	v_mov_b64_e32 v[20:21], v[10:11]
	v_mov_b64_e32 v[18:19], v[8:9]
	;; [unrolled: 1-line block ×5, first 2 shown]
	v_cmp_eq_u32_e64 s0, 9, v0
	ds_store_b32 v45, v10
	s_wait_dscnt 0x0
	s_barrier_signal -1
	s_barrier_wait -1
	s_and_saveexec_b32 s1, s0
	s_cbranch_execz .LBB73_11
; %bb.5:
	s_and_b32 vcc_lo, exec_lo, s14
	s_cbranch_vccz .LBB73_8
; %bb.6:
	v_cmp_eq_u32_e32 vcc_lo, 1, v0
	ds_load_b32 v13, v45
	v_cndmask_b32_e32 v12, v2, v3, vcc_lo
	v_cmp_eq_u32_e32 vcc_lo, 2, v0
	s_delay_alu instid0(VALU_DEP_2) | instskip(SKIP_1) | instid1(VALU_DEP_2)
	v_cndmask_b32_e32 v12, v12, v4, vcc_lo
	v_cmp_eq_u32_e32 vcc_lo, 3, v0
	v_cndmask_b32_e32 v12, v12, v5, vcc_lo
	v_cmp_eq_u32_e32 vcc_lo, 4, v0
	s_delay_alu instid0(VALU_DEP_2) | instskip(SKIP_1) | instid1(VALU_DEP_2)
	v_cndmask_b32_e32 v12, v12, v6, vcc_lo
	v_cmp_eq_u32_e32 vcc_lo, 5, v0
	;; [unrolled: 5-line block ×4, first 2 shown]
	v_cndmask_b32_e32 v12, v12, v11, vcc_lo
	s_wait_dscnt 0x0
	s_delay_alu instid0(VALU_DEP_1)
	v_mul_f32_e32 v12, v12, v13
	s_cbranch_execz .LBB73_9
	s_branch .LBB73_10
.LBB73_7:
                                        ; implicit-def: $vgpr12_vgpr13_vgpr14_vgpr15_vgpr16_vgpr17_vgpr18_vgpr19_vgpr20_vgpr21
	s_cbranch_execnz .LBB73_130
	s_branch .LBB73_223
.LBB73_8:
                                        ; implicit-def: $vgpr12
.LBB73_9:
	ds_load_b32 v12, v45
.LBB73_10:
	v_mov_b32_e32 v13, 0
	ds_load_b32 v13, v13 offset:32
	s_wait_dscnt 0x0
	v_mul_f32_e32 v42, v12, v13
	v_mov_b64_e32 v[20:21], v[10:11]
	v_mov_b64_e32 v[18:19], v[8:9]
	;; [unrolled: 1-line block ×5, first 2 shown]
	v_mov_b32_e32 v20, v42
.LBB73_11:
	s_or_b32 exec_lo, exec_lo, s1
	v_cmp_lt_u32_e64 s1, 7, v0
	ds_store_b32 v45, v19
	s_wait_dscnt 0x0
	s_barrier_signal -1
	s_barrier_wait -1
	s_and_saveexec_b32 s2, s1
	s_cbranch_execz .LBB73_17
; %bb.12:
	s_and_not1_b32 vcc_lo, exec_lo, s14
	s_cbranch_vccnz .LBB73_14
; %bb.13:
	v_cmp_eq_u32_e32 vcc_lo, 1, v0
	ds_load_b32 v43, v45
	v_cndmask_b32_e32 v42, v12, v13, vcc_lo
	v_cmp_eq_u32_e32 vcc_lo, 2, v0
	s_delay_alu instid0(VALU_DEP_2) | instskip(SKIP_1) | instid1(VALU_DEP_2)
	v_cndmask_b32_e32 v42, v42, v14, vcc_lo
	v_cmp_eq_u32_e32 vcc_lo, 3, v0
	v_cndmask_b32_e32 v42, v42, v15, vcc_lo
	v_cmp_eq_u32_e32 vcc_lo, 4, v0
	s_delay_alu instid0(VALU_DEP_2) | instskip(SKIP_1) | instid1(VALU_DEP_2)
	v_cndmask_b32_e32 v42, v42, v16, vcc_lo
	v_cmp_eq_u32_e32 vcc_lo, 5, v0
	;; [unrolled: 5-line block ×4, first 2 shown]
	v_cndmask_b32_e32 v19, v19, v21, vcc_lo
	s_wait_dscnt 0x0
	s_delay_alu instid0(VALU_DEP_1)
	v_mul_f32_e32 v19, v19, v43
	s_cbranch_execz .LBB73_15
	s_branch .LBB73_16
.LBB73_14:
                                        ; implicit-def: $vgpr19
.LBB73_15:
	ds_load_b32 v19, v45
.LBB73_16:
	v_mov_b32_e32 v42, 0
	ds_load_2addr_b32 v[42:43], v42 offset0:7 offset1:20
	s_wait_dscnt 0x0
	v_fma_f32 v43, v20, v43, v19
	s_delay_alu instid0(VALU_DEP_1) | instskip(NEXT) | instid1(VALU_DEP_1)
	v_cndmask_b32_e64 v19, v19, v43, s0
	v_mul_f32_e32 v19, v19, v42
.LBB73_17:
	s_or_b32 exec_lo, exec_lo, s2
	v_cmp_lt_u32_e64 s0, 6, v0
	ds_store_b32 v45, v18
	s_wait_dscnt 0x0
	s_barrier_signal -1
	s_barrier_wait -1
	s_and_saveexec_b32 s4, s0
	s_cbranch_execz .LBB73_33
; %bb.18:
	s_and_not1_b32 vcc_lo, exec_lo, s14
	s_cbranch_vccnz .LBB73_20
; %bb.19:
	v_cmp_eq_u32_e32 vcc_lo, 1, v0
	ds_load_b32 v43, v45
	v_cndmask_b32_e32 v42, v12, v13, vcc_lo
	v_cmp_eq_u32_e32 vcc_lo, 2, v0
	s_delay_alu instid0(VALU_DEP_2) | instskip(SKIP_1) | instid1(VALU_DEP_2)
	v_cndmask_b32_e32 v42, v42, v14, vcc_lo
	v_cmp_eq_u32_e32 vcc_lo, 3, v0
	v_cndmask_b32_e32 v42, v42, v15, vcc_lo
	v_cmp_eq_u32_e32 vcc_lo, 4, v0
	s_delay_alu instid0(VALU_DEP_2) | instskip(SKIP_1) | instid1(VALU_DEP_2)
	v_cndmask_b32_e32 v42, v42, v16, vcc_lo
	v_cmp_eq_u32_e32 vcc_lo, 5, v0
	;; [unrolled: 5-line block ×4, first 2 shown]
	v_cndmask_b32_e32 v42, v42, v21, vcc_lo
	s_wait_dscnt 0x0
	s_delay_alu instid0(VALU_DEP_1)
	v_mul_f32_e32 v46, v42, v43
	s_cbranch_execz .LBB73_21
	s_branch .LBB73_22
.LBB73_20:
                                        ; implicit-def: $vgpr46
.LBB73_21:
	ds_load_b32 v46, v45
.LBB73_22:
	s_and_saveexec_b32 s5, s1
	s_cbranch_execz .LBB73_32
; %bb.23:
	v_dual_add_nc_u32 v42, -8, v0 :: v_dual_add_nc_u32 v43, -7, v0
	s_delay_alu instid0(VALU_DEP_1)
	v_cmp_lt_u32_e32 vcc_lo, 6, v42
	v_mov_b32_e32 v42, 7
	s_and_saveexec_b32 s1, vcc_lo
	s_cbranch_execz .LBB73_27
; %bb.24:
	v_and_b32_e32 v42, -8, v43
	s_mov_b32 s6, 0
	s_mov_b64 s[2:3], 14
	s_movk_i32 s7, 0x4c
	s_delay_alu instid0(VALU_DEP_1)
	v_sub_nc_u32_e32 v44, 0, v42
.LBB73_25:                              ; =>This Inner Loop Header: Depth=1
	s_add_co_i32 m0, s2, -7
	v_movrels_b32_e32 v47, v12
	v_mov_b32_e32 v42, s7
	s_add_co_i32 m0, s2, -6
	s_add_co_i32 s7, s7, 32
	v_movrels_b32_e32 v56, v12
	ds_load_2addr_b32 v[48:49], v42 offset1:1
	ds_load_2addr_b32 v[50:51], v42 offset0:2 offset1:3
	s_add_co_i32 m0, s2, -5
	s_wait_dscnt 0x1
	v_fmac_f32_e32 v46, v47, v48
	ds_load_2addr_b32 v[52:53], v42 offset0:4 offset1:5
	ds_load_2addr_b32 v[54:55], v42 offset0:6 offset1:7
	v_movrels_b32_e32 v42, v12
	s_add_co_i32 m0, s2, -4
	v_fmac_f32_e32 v46, v56, v49
	v_movrels_b32_e32 v47, v12
	s_add_co_i32 m0, s2, -3
	s_wait_dscnt 0x2
	s_delay_alu instid0(VALU_DEP_2) | instskip(SKIP_2) | instid1(VALU_DEP_2)
	v_fmac_f32_e32 v46, v42, v50
	v_movrels_b32_e32 v42, v12
	s_add_co_i32 m0, s2, -2
	v_fmac_f32_e32 v46, v47, v51
	v_movrels_b32_e32 v47, v12
	s_add_co_i32 m0, s2, -1
	s_wait_dscnt 0x1
	s_delay_alu instid0(VALU_DEP_2)
	v_fmac_f32_e32 v46, v42, v52
	v_movrels_b32_e32 v42, v12
	s_mov_b32 m0, s2
	s_add_nc_u64 s[2:3], s[2:3], 8
	v_movrels_b32_e32 v48, v12
	v_dual_fmac_f32 v46, v47, v53 :: v_dual_add_nc_u32 v47, s2, v44
	s_add_co_i32 s8, s2, -7
	s_wait_dscnt 0x0
	s_delay_alu instid0(VALU_DEP_1) | instskip(NEXT) | instid1(VALU_DEP_2)
	v_fmac_f32_e32 v46, v42, v54
	v_cmp_eq_u32_e32 vcc_lo, 14, v47
	s_delay_alu instid0(VALU_DEP_2) | instskip(SKIP_1) | instid1(SALU_CYCLE_1)
	v_dual_mov_b32 v42, s8 :: v_dual_fmac_f32 v46, v48, v55
	s_or_b32 s6, vcc_lo, s6
	s_and_not1_b32 exec_lo, exec_lo, s6
	s_cbranch_execnz .LBB73_25
; %bb.26:
	s_or_b32 exec_lo, exec_lo, s6
.LBB73_27:
	s_delay_alu instid0(SALU_CYCLE_1) | instskip(SKIP_3) | instid1(VALU_DEP_1)
	s_or_b32 exec_lo, exec_lo, s1
	v_and_b32_e32 v44, 7, v43
	s_mov_b32 s2, 0
	s_mov_b32 s1, exec_lo
	v_cmpx_ne_u32_e32 0, v44
	s_cbranch_execz .LBB73_31
; %bb.28:
	v_lshl_add_u32 v47, v42, 2, 48
	v_mov_b32_e32 v43, 0
.LBB73_29:                              ; =>This Inner Loop Header: Depth=1
	v_cmp_eq_u32_e32 vcc_lo, 1, v42
	ds_load_b32 v49, v47
	v_dual_add_nc_u32 v44, -1, v44 :: v_dual_add_nc_u32 v47, 4, v47
	v_cndmask_b32_e32 v48, v12, v13, vcc_lo
	v_cmp_eq_u32_e32 vcc_lo, 2, v42
	s_delay_alu instid0(VALU_DEP_2) | instskip(SKIP_1) | instid1(VALU_DEP_2)
	v_cndmask_b32_e32 v48, v48, v14, vcc_lo
	v_cmp_eq_u32_e32 vcc_lo, 3, v42
	v_cndmask_b32_e32 v48, v48, v15, vcc_lo
	v_cmp_eq_u32_e32 vcc_lo, 4, v42
	s_delay_alu instid0(VALU_DEP_2) | instskip(SKIP_1) | instid1(VALU_DEP_2)
	v_cndmask_b32_e32 v48, v48, v16, vcc_lo
	v_cmp_eq_u32_e32 vcc_lo, 5, v42
	;; [unrolled: 5-line block ×3, first 2 shown]
	v_cndmask_b32_e32 v48, v48, v19, vcc_lo
	v_cmp_eq_u32_e32 vcc_lo, 8, v42
	s_delay_alu instid0(VALU_DEP_2) | instskip(SKIP_2) | instid1(VALU_DEP_3)
	v_cndmask_b32_e32 v48, v48, v20, vcc_lo
	v_cmp_eq_u32_e32 vcc_lo, 9, v42
	v_add_nc_u64_e32 v[42:43], 1, v[42:43]
	v_cndmask_b32_e32 v48, v48, v21, vcc_lo
	v_cmp_eq_u32_e32 vcc_lo, 0, v44
	s_wait_dscnt 0x0
	s_delay_alu instid0(VALU_DEP_2) | instskip(SKIP_1) | instid1(SALU_CYCLE_1)
	v_fmac_f32_e32 v46, v48, v49
	s_or_b32 s2, vcc_lo, s2
	s_and_not1_b32 exec_lo, exec_lo, s2
	s_cbranch_execnz .LBB73_29
; %bb.30:
	s_or_b32 exec_lo, exec_lo, s2
.LBB73_31:
	s_delay_alu instid0(SALU_CYCLE_1)
	s_or_b32 exec_lo, exec_lo, s1
.LBB73_32:
	s_delay_alu instid0(SALU_CYCLE_1)
	s_or_b32 exec_lo, exec_lo, s5
	v_mov_b32_e32 v18, 0
	ds_load_b32 v18, v18 offset:24
	s_wait_dscnt 0x0
	v_mul_f32_e32 v18, v46, v18
.LBB73_33:
	s_or_b32 exec_lo, exec_lo, s4
	v_cmp_lt_u32_e64 s1, 5, v0
	ds_store_b32 v45, v17
	s_wait_dscnt 0x0
	s_barrier_signal -1
	s_barrier_wait -1
	s_and_saveexec_b32 s4, s1
	s_cbranch_execz .LBB73_49
; %bb.34:
	s_and_not1_b32 vcc_lo, exec_lo, s14
	s_cbranch_vccnz .LBB73_36
; %bb.35:
	v_cmp_eq_u32_e32 vcc_lo, 1, v0
	ds_load_b32 v43, v45
	v_cndmask_b32_e32 v42, v12, v13, vcc_lo
	v_cmp_eq_u32_e32 vcc_lo, 2, v0
	s_delay_alu instid0(VALU_DEP_2) | instskip(SKIP_1) | instid1(VALU_DEP_2)
	v_cndmask_b32_e32 v42, v42, v14, vcc_lo
	v_cmp_eq_u32_e32 vcc_lo, 3, v0
	v_cndmask_b32_e32 v42, v42, v15, vcc_lo
	v_cmp_eq_u32_e32 vcc_lo, 4, v0
	s_delay_alu instid0(VALU_DEP_2) | instskip(SKIP_1) | instid1(VALU_DEP_2)
	v_cndmask_b32_e32 v42, v42, v16, vcc_lo
	v_cmp_eq_u32_e32 vcc_lo, 5, v0
	v_cndmask_b32_e32 v42, v42, v17, vcc_lo
	v_cmp_eq_u32_e32 vcc_lo, 6, v0
	s_delay_alu instid0(VALU_DEP_2) | instskip(SKIP_1) | instid1(VALU_DEP_2)
	v_cndmask_b32_e32 v42, v42, v18, vcc_lo
	v_cmp_eq_u32_e32 vcc_lo, 7, v0
	v_cndmask_b32_e32 v42, v42, v19, vcc_lo
	v_cmp_eq_u32_e32 vcc_lo, 8, v0
	s_delay_alu instid0(VALU_DEP_2) | instskip(SKIP_1) | instid1(VALU_DEP_2)
	v_cndmask_b32_e32 v42, v42, v20, vcc_lo
	v_cmp_eq_u32_e32 vcc_lo, 9, v0
	v_cndmask_b32_e32 v42, v42, v21, vcc_lo
	s_wait_dscnt 0x0
	s_delay_alu instid0(VALU_DEP_1)
	v_mul_f32_e32 v46, v42, v43
	s_cbranch_execz .LBB73_37
	s_branch .LBB73_38
.LBB73_36:
                                        ; implicit-def: $vgpr46
.LBB73_37:
	ds_load_b32 v46, v45
.LBB73_38:
	s_and_saveexec_b32 s5, s0
	s_cbranch_execz .LBB73_48
; %bb.39:
	v_dual_add_nc_u32 v44, -7, v0 :: v_dual_add_nc_u32 v43, -6, v0
	v_mov_b32_e32 v42, 6
	s_mov_b32 s0, exec_lo
	s_delay_alu instid0(VALU_DEP_2)
	v_cmpx_lt_u32_e32 6, v44
	s_cbranch_execz .LBB73_43
; %bb.40:
	v_and_b32_e32 v42, -8, v43
	s_mov_b32 s6, 0
	s_mov_b64 s[2:3], 13
	s_movk_i32 s7, 0x48
	s_delay_alu instid0(VALU_DEP_1)
	v_sub_nc_u32_e32 v44, 0, v42
.LBB73_41:                              ; =>This Inner Loop Header: Depth=1
	s_add_co_i32 m0, s2, -7
	v_movrels_b32_e32 v47, v12
	v_mov_b32_e32 v42, s7
	s_add_co_i32 m0, s2, -6
	s_add_co_i32 s7, s7, 32
	v_movrels_b32_e32 v56, v12
	s_add_co_i32 m0, s2, -5
	ds_load_2addr_b64 v[48:51], v42 offset1:1
	ds_load_2addr_b64 v[52:55], v42 offset0:2 offset1:3
	v_movrels_b32_e32 v42, v12
	s_add_co_i32 m0, s2, -4
	s_wait_dscnt 0x1
	v_fmac_f32_e32 v46, v47, v48
	v_movrels_b32_e32 v47, v12
	s_add_co_i32 m0, s2, -3
	s_delay_alu instid0(VALU_DEP_2) | instskip(NEXT) | instid1(VALU_DEP_1)
	v_fmac_f32_e32 v46, v56, v49
	v_fmac_f32_e32 v46, v42, v50
	v_movrels_b32_e32 v42, v12
	s_add_co_i32 m0, s2, -2
	s_delay_alu instid0(VALU_DEP_2) | instskip(SKIP_3) | instid1(VALU_DEP_2)
	v_fmac_f32_e32 v46, v47, v51
	v_movrels_b32_e32 v47, v12
	s_add_co_i32 m0, s2, -1
	s_wait_dscnt 0x0
	v_fmac_f32_e32 v46, v42, v52
	v_movrels_b32_e32 v42, v12
	s_mov_b32 m0, s2
	s_add_nc_u64 s[2:3], s[2:3], 8
	v_movrels_b32_e32 v48, v12
	v_dual_fmac_f32 v46, v47, v53 :: v_dual_add_nc_u32 v47, s2, v44
	s_add_co_i32 s8, s2, -7
	s_delay_alu instid0(VALU_DEP_1) | instskip(NEXT) | instid1(VALU_DEP_2)
	v_fmac_f32_e32 v46, v42, v54
	v_cmp_eq_u32_e32 vcc_lo, 13, v47
	s_delay_alu instid0(VALU_DEP_2) | instskip(SKIP_1) | instid1(SALU_CYCLE_1)
	v_dual_mov_b32 v42, s8 :: v_dual_fmac_f32 v46, v48, v55
	s_or_b32 s6, vcc_lo, s6
	s_and_not1_b32 exec_lo, exec_lo, s6
	s_cbranch_execnz .LBB73_41
; %bb.42:
	s_or_b32 exec_lo, exec_lo, s6
.LBB73_43:
	s_delay_alu instid0(SALU_CYCLE_1) | instskip(SKIP_3) | instid1(VALU_DEP_1)
	s_or_b32 exec_lo, exec_lo, s0
	v_and_b32_e32 v44, 7, v43
	s_mov_b32 s2, 0
	s_mov_b32 s0, exec_lo
	v_cmpx_ne_u32_e32 0, v44
	s_cbranch_execz .LBB73_47
; %bb.44:
	v_lshl_add_u32 v47, v42, 2, 48
	v_mov_b32_e32 v43, 0
.LBB73_45:                              ; =>This Inner Loop Header: Depth=1
	v_cmp_eq_u32_e32 vcc_lo, 1, v42
	ds_load_b32 v49, v47
	v_dual_add_nc_u32 v44, -1, v44 :: v_dual_add_nc_u32 v47, 4, v47
	v_cndmask_b32_e32 v48, v12, v13, vcc_lo
	v_cmp_eq_u32_e32 vcc_lo, 2, v42
	s_delay_alu instid0(VALU_DEP_2) | instskip(SKIP_1) | instid1(VALU_DEP_2)
	v_cndmask_b32_e32 v48, v48, v14, vcc_lo
	v_cmp_eq_u32_e32 vcc_lo, 3, v42
	v_cndmask_b32_e32 v48, v48, v15, vcc_lo
	v_cmp_eq_u32_e32 vcc_lo, 4, v42
	s_delay_alu instid0(VALU_DEP_2) | instskip(SKIP_1) | instid1(VALU_DEP_2)
	v_cndmask_b32_e32 v48, v48, v16, vcc_lo
	v_cmp_eq_u32_e32 vcc_lo, 5, v42
	;; [unrolled: 5-line block ×3, first 2 shown]
	v_cndmask_b32_e32 v48, v48, v19, vcc_lo
	v_cmp_eq_u32_e32 vcc_lo, 8, v42
	s_delay_alu instid0(VALU_DEP_2) | instskip(SKIP_2) | instid1(VALU_DEP_3)
	v_cndmask_b32_e32 v48, v48, v20, vcc_lo
	v_cmp_eq_u32_e32 vcc_lo, 9, v42
	v_add_nc_u64_e32 v[42:43], 1, v[42:43]
	v_cndmask_b32_e32 v48, v48, v21, vcc_lo
	v_cmp_eq_u32_e32 vcc_lo, 0, v44
	s_wait_dscnt 0x0
	s_delay_alu instid0(VALU_DEP_2) | instskip(SKIP_1) | instid1(SALU_CYCLE_1)
	v_fmac_f32_e32 v46, v48, v49
	s_or_b32 s2, vcc_lo, s2
	s_and_not1_b32 exec_lo, exec_lo, s2
	s_cbranch_execnz .LBB73_45
; %bb.46:
	s_or_b32 exec_lo, exec_lo, s2
.LBB73_47:
	s_delay_alu instid0(SALU_CYCLE_1)
	s_or_b32 exec_lo, exec_lo, s0
.LBB73_48:
	s_delay_alu instid0(SALU_CYCLE_1)
	s_or_b32 exec_lo, exec_lo, s5
	v_mov_b32_e32 v17, 0
	ds_load_b32 v17, v17 offset:20
	s_wait_dscnt 0x0
	v_mul_f32_e32 v17, v46, v17
.LBB73_49:
	s_or_b32 exec_lo, exec_lo, s4
	v_cmp_lt_u32_e64 s0, 4, v0
	ds_store_b32 v45, v16
	s_wait_dscnt 0x0
	s_barrier_signal -1
	s_barrier_wait -1
	s_and_saveexec_b32 s4, s0
	s_cbranch_execz .LBB73_65
; %bb.50:
	s_and_not1_b32 vcc_lo, exec_lo, s14
	s_cbranch_vccnz .LBB73_52
; %bb.51:
	v_cmp_eq_u32_e32 vcc_lo, 1, v0
	ds_load_b32 v43, v45
	v_cndmask_b32_e32 v42, v12, v13, vcc_lo
	v_cmp_eq_u32_e32 vcc_lo, 2, v0
	s_delay_alu instid0(VALU_DEP_2) | instskip(SKIP_1) | instid1(VALU_DEP_2)
	v_cndmask_b32_e32 v42, v42, v14, vcc_lo
	v_cmp_eq_u32_e32 vcc_lo, 3, v0
	v_cndmask_b32_e32 v42, v42, v15, vcc_lo
	v_cmp_eq_u32_e32 vcc_lo, 4, v0
	s_delay_alu instid0(VALU_DEP_2) | instskip(SKIP_1) | instid1(VALU_DEP_2)
	v_cndmask_b32_e32 v42, v42, v16, vcc_lo
	v_cmp_eq_u32_e32 vcc_lo, 5, v0
	;; [unrolled: 5-line block ×4, first 2 shown]
	v_cndmask_b32_e32 v42, v42, v21, vcc_lo
	s_wait_dscnt 0x0
	s_delay_alu instid0(VALU_DEP_1)
	v_mul_f32_e32 v46, v42, v43
	s_cbranch_execz .LBB73_53
	s_branch .LBB73_54
.LBB73_52:
                                        ; implicit-def: $vgpr46
.LBB73_53:
	ds_load_b32 v46, v45
.LBB73_54:
	s_and_saveexec_b32 s5, s1
	s_cbranch_execz .LBB73_64
; %bb.55:
	v_dual_add_nc_u32 v42, -6, v0 :: v_dual_add_nc_u32 v43, -5, v0
	s_delay_alu instid0(VALU_DEP_1)
	v_cmp_lt_u32_e32 vcc_lo, 6, v42
	v_mov_b32_e32 v42, 5
	s_and_saveexec_b32 s1, vcc_lo
	s_cbranch_execz .LBB73_59
; %bb.56:
	v_and_b32_e32 v42, -8, v43
	s_mov_b32 s6, 0
	s_mov_b64 s[2:3], 12
	s_movk_i32 s7, 0x44
	s_delay_alu instid0(VALU_DEP_1)
	v_sub_nc_u32_e32 v44, 0, v42
.LBB73_57:                              ; =>This Inner Loop Header: Depth=1
	s_add_co_i32 m0, s2, -7
	v_movrels_b32_e32 v47, v12
	v_mov_b32_e32 v42, s7
	s_add_co_i32 m0, s2, -6
	s_add_co_i32 s7, s7, 32
	v_movrels_b32_e32 v56, v12
	ds_load_2addr_b32 v[48:49], v42 offset1:1
	ds_load_2addr_b32 v[50:51], v42 offset0:2 offset1:3
	s_add_co_i32 m0, s2, -5
	s_wait_dscnt 0x1
	v_fmac_f32_e32 v46, v47, v48
	ds_load_2addr_b32 v[52:53], v42 offset0:4 offset1:5
	ds_load_2addr_b32 v[54:55], v42 offset0:6 offset1:7
	v_movrels_b32_e32 v42, v12
	s_add_co_i32 m0, s2, -4
	v_fmac_f32_e32 v46, v56, v49
	v_movrels_b32_e32 v47, v12
	s_add_co_i32 m0, s2, -3
	s_wait_dscnt 0x2
	s_delay_alu instid0(VALU_DEP_2) | instskip(SKIP_2) | instid1(VALU_DEP_2)
	v_fmac_f32_e32 v46, v42, v50
	v_movrels_b32_e32 v42, v12
	s_add_co_i32 m0, s2, -2
	v_fmac_f32_e32 v46, v47, v51
	v_movrels_b32_e32 v47, v12
	s_add_co_i32 m0, s2, -1
	s_wait_dscnt 0x1
	s_delay_alu instid0(VALU_DEP_2)
	v_fmac_f32_e32 v46, v42, v52
	v_movrels_b32_e32 v42, v12
	s_mov_b32 m0, s2
	s_add_nc_u64 s[2:3], s[2:3], 8
	v_movrels_b32_e32 v48, v12
	v_dual_fmac_f32 v46, v47, v53 :: v_dual_add_nc_u32 v47, s2, v44
	s_add_co_i32 s8, s2, -7
	s_wait_dscnt 0x0
	s_delay_alu instid0(VALU_DEP_1) | instskip(NEXT) | instid1(VALU_DEP_2)
	v_fmac_f32_e32 v46, v42, v54
	v_cmp_eq_u32_e32 vcc_lo, 12, v47
	s_delay_alu instid0(VALU_DEP_2) | instskip(SKIP_1) | instid1(SALU_CYCLE_1)
	v_dual_mov_b32 v42, s8 :: v_dual_fmac_f32 v46, v48, v55
	s_or_b32 s6, vcc_lo, s6
	s_and_not1_b32 exec_lo, exec_lo, s6
	s_cbranch_execnz .LBB73_57
; %bb.58:
	s_or_b32 exec_lo, exec_lo, s6
.LBB73_59:
	s_delay_alu instid0(SALU_CYCLE_1) | instskip(SKIP_3) | instid1(VALU_DEP_1)
	s_or_b32 exec_lo, exec_lo, s1
	v_and_b32_e32 v44, 7, v43
	s_mov_b32 s2, 0
	s_mov_b32 s1, exec_lo
	v_cmpx_ne_u32_e32 0, v44
	s_cbranch_execz .LBB73_63
; %bb.60:
	v_lshl_add_u32 v47, v42, 2, 48
	v_mov_b32_e32 v43, 0
.LBB73_61:                              ; =>This Inner Loop Header: Depth=1
	v_cmp_eq_u32_e32 vcc_lo, 1, v42
	ds_load_b32 v49, v47
	v_dual_add_nc_u32 v44, -1, v44 :: v_dual_add_nc_u32 v47, 4, v47
	v_cndmask_b32_e32 v48, v12, v13, vcc_lo
	v_cmp_eq_u32_e32 vcc_lo, 2, v42
	s_delay_alu instid0(VALU_DEP_2) | instskip(SKIP_1) | instid1(VALU_DEP_2)
	v_cndmask_b32_e32 v48, v48, v14, vcc_lo
	v_cmp_eq_u32_e32 vcc_lo, 3, v42
	v_cndmask_b32_e32 v48, v48, v15, vcc_lo
	v_cmp_eq_u32_e32 vcc_lo, 4, v42
	s_delay_alu instid0(VALU_DEP_2) | instskip(SKIP_1) | instid1(VALU_DEP_2)
	v_cndmask_b32_e32 v48, v48, v16, vcc_lo
	v_cmp_eq_u32_e32 vcc_lo, 5, v42
	;; [unrolled: 5-line block ×3, first 2 shown]
	v_cndmask_b32_e32 v48, v48, v19, vcc_lo
	v_cmp_eq_u32_e32 vcc_lo, 8, v42
	s_delay_alu instid0(VALU_DEP_2) | instskip(SKIP_2) | instid1(VALU_DEP_3)
	v_cndmask_b32_e32 v48, v48, v20, vcc_lo
	v_cmp_eq_u32_e32 vcc_lo, 9, v42
	v_add_nc_u64_e32 v[42:43], 1, v[42:43]
	v_cndmask_b32_e32 v48, v48, v21, vcc_lo
	v_cmp_eq_u32_e32 vcc_lo, 0, v44
	s_wait_dscnt 0x0
	s_delay_alu instid0(VALU_DEP_2) | instskip(SKIP_1) | instid1(SALU_CYCLE_1)
	v_fmac_f32_e32 v46, v48, v49
	s_or_b32 s2, vcc_lo, s2
	s_and_not1_b32 exec_lo, exec_lo, s2
	s_cbranch_execnz .LBB73_61
; %bb.62:
	s_or_b32 exec_lo, exec_lo, s2
.LBB73_63:
	s_delay_alu instid0(SALU_CYCLE_1)
	s_or_b32 exec_lo, exec_lo, s1
.LBB73_64:
	s_delay_alu instid0(SALU_CYCLE_1)
	s_or_b32 exec_lo, exec_lo, s5
	v_mov_b32_e32 v16, 0
	ds_load_b32 v16, v16 offset:16
	s_wait_dscnt 0x0
	v_mul_f32_e32 v16, v46, v16
.LBB73_65:
	s_or_b32 exec_lo, exec_lo, s4
	v_cmp_lt_u32_e64 s1, 3, v0
	ds_store_b32 v45, v15
	s_wait_dscnt 0x0
	s_barrier_signal -1
	s_barrier_wait -1
	s_and_saveexec_b32 s4, s1
	s_cbranch_execz .LBB73_81
; %bb.66:
	s_and_not1_b32 vcc_lo, exec_lo, s14
	s_cbranch_vccnz .LBB73_68
; %bb.67:
	v_cmp_eq_u32_e32 vcc_lo, 1, v0
	ds_load_b32 v43, v45
	v_cndmask_b32_e32 v42, v12, v13, vcc_lo
	v_cmp_eq_u32_e32 vcc_lo, 2, v0
	s_delay_alu instid0(VALU_DEP_2) | instskip(SKIP_1) | instid1(VALU_DEP_2)
	v_cndmask_b32_e32 v42, v42, v14, vcc_lo
	v_cmp_eq_u32_e32 vcc_lo, 3, v0
	v_cndmask_b32_e32 v42, v42, v15, vcc_lo
	v_cmp_eq_u32_e32 vcc_lo, 4, v0
	s_delay_alu instid0(VALU_DEP_2) | instskip(SKIP_1) | instid1(VALU_DEP_2)
	v_cndmask_b32_e32 v42, v42, v16, vcc_lo
	v_cmp_eq_u32_e32 vcc_lo, 5, v0
	;; [unrolled: 5-line block ×4, first 2 shown]
	v_cndmask_b32_e32 v42, v42, v21, vcc_lo
	s_wait_dscnt 0x0
	s_delay_alu instid0(VALU_DEP_1)
	v_mul_f32_e32 v46, v42, v43
	s_cbranch_execz .LBB73_69
	s_branch .LBB73_70
.LBB73_68:
                                        ; implicit-def: $vgpr46
.LBB73_69:
	ds_load_b32 v46, v45
.LBB73_70:
	s_and_saveexec_b32 s5, s0
	s_cbranch_execz .LBB73_80
; %bb.71:
	v_dual_add_nc_u32 v42, -5, v0 :: v_dual_add_nc_u32 v43, -4, v0
	s_delay_alu instid0(VALU_DEP_1)
	v_cmp_lt_u32_e32 vcc_lo, 6, v42
	v_mov_b32_e32 v42, 4
	s_and_saveexec_b32 s0, vcc_lo
	s_cbranch_execz .LBB73_75
; %bb.72:
	v_and_b32_e32 v42, -8, v43
	s_mov_b32 s6, 0
	s_mov_b64 s[2:3], 5
	s_mov_b32 s7, 64
	s_delay_alu instid0(VALU_DEP_1)
	v_sub_nc_u32_e32 v44, 0, v42
.LBB73_73:                              ; =>This Inner Loop Header: Depth=1
	s_add_co_i32 m0, s2, -1
	v_movrels_b32_e32 v47, v12
	v_mov_b32_e32 v42, s7
	s_mov_b32 m0, s2
	s_add_co_i32 s7, s7, 32
	v_movrels_b32_e32 v56, v12
	s_add_co_i32 m0, s2, 1
	ds_load_b128 v[48:51], v42
	ds_load_b128 v[52:55], v42 offset:16
	v_movrels_b32_e32 v42, v12
	s_add_co_i32 m0, s2, 2
	s_wait_dscnt 0x1
	v_fmac_f32_e32 v46, v47, v48
	v_movrels_b32_e32 v47, v12
	s_add_co_i32 m0, s2, 3
	s_delay_alu instid0(VALU_DEP_2) | instskip(NEXT) | instid1(VALU_DEP_1)
	v_fmac_f32_e32 v46, v56, v49
	v_fmac_f32_e32 v46, v42, v50
	v_movrels_b32_e32 v42, v12
	s_add_co_i32 m0, s2, 4
	s_delay_alu instid0(VALU_DEP_2) | instskip(SKIP_3) | instid1(VALU_DEP_2)
	v_fmac_f32_e32 v46, v47, v51
	v_movrels_b32_e32 v47, v12
	s_add_co_i32 m0, s2, 5
	s_wait_dscnt 0x0
	v_fmac_f32_e32 v46, v42, v52
	v_movrels_b32_e32 v42, v12
	s_add_co_i32 m0, s2, 6
	s_add_nc_u64 s[2:3], s[2:3], 8
	v_movrels_b32_e32 v48, v12
	v_dual_fmac_f32 v46, v47, v53 :: v_dual_add_nc_u32 v47, s2, v44
	s_add_co_i32 s8, s2, -1
	s_delay_alu instid0(VALU_DEP_1) | instskip(NEXT) | instid1(VALU_DEP_2)
	v_fmac_f32_e32 v46, v42, v54
	v_cmp_eq_u32_e32 vcc_lo, 5, v47
	s_delay_alu instid0(VALU_DEP_2) | instskip(SKIP_1) | instid1(SALU_CYCLE_1)
	v_dual_mov_b32 v42, s8 :: v_dual_fmac_f32 v46, v48, v55
	s_or_b32 s6, vcc_lo, s6
	s_and_not1_b32 exec_lo, exec_lo, s6
	s_cbranch_execnz .LBB73_73
; %bb.74:
	s_or_b32 exec_lo, exec_lo, s6
.LBB73_75:
	s_delay_alu instid0(SALU_CYCLE_1) | instskip(SKIP_3) | instid1(VALU_DEP_1)
	s_or_b32 exec_lo, exec_lo, s0
	v_and_b32_e32 v44, 7, v43
	s_mov_b32 s2, 0
	s_mov_b32 s0, exec_lo
	v_cmpx_ne_u32_e32 0, v44
	s_cbranch_execz .LBB73_79
; %bb.76:
	v_lshl_add_u32 v47, v42, 2, 48
	v_mov_b32_e32 v43, 0
.LBB73_77:                              ; =>This Inner Loop Header: Depth=1
	v_cmp_eq_u32_e32 vcc_lo, 1, v42
	ds_load_b32 v49, v47
	v_dual_add_nc_u32 v44, -1, v44 :: v_dual_add_nc_u32 v47, 4, v47
	v_cndmask_b32_e32 v48, v12, v13, vcc_lo
	v_cmp_eq_u32_e32 vcc_lo, 2, v42
	s_delay_alu instid0(VALU_DEP_2) | instskip(SKIP_1) | instid1(VALU_DEP_2)
	v_cndmask_b32_e32 v48, v48, v14, vcc_lo
	v_cmp_eq_u32_e32 vcc_lo, 3, v42
	v_cndmask_b32_e32 v48, v48, v15, vcc_lo
	v_cmp_eq_u32_e32 vcc_lo, 4, v42
	s_delay_alu instid0(VALU_DEP_2) | instskip(SKIP_1) | instid1(VALU_DEP_2)
	v_cndmask_b32_e32 v48, v48, v16, vcc_lo
	v_cmp_eq_u32_e32 vcc_lo, 5, v42
	;; [unrolled: 5-line block ×3, first 2 shown]
	v_cndmask_b32_e32 v48, v48, v19, vcc_lo
	v_cmp_eq_u32_e32 vcc_lo, 8, v42
	s_delay_alu instid0(VALU_DEP_2) | instskip(SKIP_2) | instid1(VALU_DEP_3)
	v_cndmask_b32_e32 v48, v48, v20, vcc_lo
	v_cmp_eq_u32_e32 vcc_lo, 9, v42
	v_add_nc_u64_e32 v[42:43], 1, v[42:43]
	v_cndmask_b32_e32 v48, v48, v21, vcc_lo
	v_cmp_eq_u32_e32 vcc_lo, 0, v44
	s_wait_dscnt 0x0
	s_delay_alu instid0(VALU_DEP_2) | instskip(SKIP_1) | instid1(SALU_CYCLE_1)
	v_fmac_f32_e32 v46, v48, v49
	s_or_b32 s2, vcc_lo, s2
	s_and_not1_b32 exec_lo, exec_lo, s2
	s_cbranch_execnz .LBB73_77
; %bb.78:
	s_or_b32 exec_lo, exec_lo, s2
.LBB73_79:
	s_delay_alu instid0(SALU_CYCLE_1)
	s_or_b32 exec_lo, exec_lo, s0
.LBB73_80:
	s_delay_alu instid0(SALU_CYCLE_1)
	s_or_b32 exec_lo, exec_lo, s5
	v_mov_b32_e32 v15, 0
	ds_load_b32 v15, v15 offset:12
	s_wait_dscnt 0x0
	v_mul_f32_e32 v15, v46, v15
.LBB73_81:
	s_or_b32 exec_lo, exec_lo, s4
	v_cmp_lt_u32_e64 s0, 2, v0
	ds_store_b32 v45, v14
	s_wait_dscnt 0x0
	s_barrier_signal -1
	s_barrier_wait -1
	s_and_saveexec_b32 s4, s0
	s_cbranch_execz .LBB73_97
; %bb.82:
	s_and_not1_b32 vcc_lo, exec_lo, s14
	s_cbranch_vccnz .LBB73_84
; %bb.83:
	v_cmp_eq_u32_e32 vcc_lo, 1, v0
	ds_load_b32 v43, v45
	v_cndmask_b32_e32 v42, v12, v13, vcc_lo
	v_cmp_eq_u32_e32 vcc_lo, 2, v0
	s_delay_alu instid0(VALU_DEP_2) | instskip(SKIP_1) | instid1(VALU_DEP_2)
	v_cndmask_b32_e32 v42, v42, v14, vcc_lo
	v_cmp_eq_u32_e32 vcc_lo, 3, v0
	v_cndmask_b32_e32 v42, v42, v15, vcc_lo
	v_cmp_eq_u32_e32 vcc_lo, 4, v0
	s_delay_alu instid0(VALU_DEP_2) | instskip(SKIP_1) | instid1(VALU_DEP_2)
	v_cndmask_b32_e32 v42, v42, v16, vcc_lo
	v_cmp_eq_u32_e32 vcc_lo, 5, v0
	;; [unrolled: 5-line block ×4, first 2 shown]
	v_cndmask_b32_e32 v42, v42, v21, vcc_lo
	s_wait_dscnt 0x0
	s_delay_alu instid0(VALU_DEP_1)
	v_mul_f32_e32 v46, v42, v43
	s_cbranch_execz .LBB73_85
	s_branch .LBB73_86
.LBB73_84:
                                        ; implicit-def: $vgpr46
.LBB73_85:
	ds_load_b32 v46, v45
.LBB73_86:
	s_and_saveexec_b32 s5, s1
	s_cbranch_execz .LBB73_96
; %bb.87:
	v_dual_add_nc_u32 v42, -4, v0 :: v_dual_add_nc_u32 v43, -3, v0
	s_delay_alu instid0(VALU_DEP_1)
	v_cmp_lt_u32_e32 vcc_lo, 6, v42
	v_mov_b32_e32 v42, 3
	s_and_saveexec_b32 s1, vcc_lo
	s_cbranch_execz .LBB73_91
; %bb.88:
	v_and_b32_e32 v42, -8, v43
	s_mov_b32 s6, 0
	s_mov_b64 s[2:3], 10
	s_mov_b32 s7, 60
	s_delay_alu instid0(VALU_DEP_1)
	v_sub_nc_u32_e32 v44, 0, v42
.LBB73_89:                              ; =>This Inner Loop Header: Depth=1
	s_add_co_i32 m0, s2, -7
	v_movrels_b32_e32 v47, v12
	v_mov_b32_e32 v42, s7
	s_add_co_i32 m0, s2, -6
	s_add_co_i32 s7, s7, 32
	v_movrels_b32_e32 v56, v12
	ds_load_2addr_b32 v[48:49], v42 offset1:1
	ds_load_2addr_b32 v[50:51], v42 offset0:2 offset1:3
	s_add_co_i32 m0, s2, -5
	s_wait_dscnt 0x1
	v_fmac_f32_e32 v46, v47, v48
	ds_load_2addr_b32 v[52:53], v42 offset0:4 offset1:5
	ds_load_2addr_b32 v[54:55], v42 offset0:6 offset1:7
	v_movrels_b32_e32 v42, v12
	s_add_co_i32 m0, s2, -4
	v_fmac_f32_e32 v46, v56, v49
	v_movrels_b32_e32 v47, v12
	s_add_co_i32 m0, s2, -3
	s_wait_dscnt 0x2
	s_delay_alu instid0(VALU_DEP_2) | instskip(SKIP_2) | instid1(VALU_DEP_2)
	v_fmac_f32_e32 v46, v42, v50
	v_movrels_b32_e32 v42, v12
	s_add_co_i32 m0, s2, -2
	v_fmac_f32_e32 v46, v47, v51
	v_movrels_b32_e32 v47, v12
	s_add_co_i32 m0, s2, -1
	s_wait_dscnt 0x1
	s_delay_alu instid0(VALU_DEP_2)
	v_fmac_f32_e32 v46, v42, v52
	v_movrels_b32_e32 v42, v12
	s_mov_b32 m0, s2
	s_add_nc_u64 s[2:3], s[2:3], 8
	v_movrels_b32_e32 v48, v12
	v_dual_fmac_f32 v46, v47, v53 :: v_dual_add_nc_u32 v47, s2, v44
	s_add_co_i32 s8, s2, -7
	s_wait_dscnt 0x0
	s_delay_alu instid0(VALU_DEP_1) | instskip(NEXT) | instid1(VALU_DEP_2)
	v_fmac_f32_e32 v46, v42, v54
	v_cmp_eq_u32_e32 vcc_lo, 10, v47
	s_delay_alu instid0(VALU_DEP_2) | instskip(SKIP_1) | instid1(SALU_CYCLE_1)
	v_dual_mov_b32 v42, s8 :: v_dual_fmac_f32 v46, v48, v55
	s_or_b32 s6, vcc_lo, s6
	s_and_not1_b32 exec_lo, exec_lo, s6
	s_cbranch_execnz .LBB73_89
; %bb.90:
	s_or_b32 exec_lo, exec_lo, s6
.LBB73_91:
	s_delay_alu instid0(SALU_CYCLE_1) | instskip(SKIP_3) | instid1(VALU_DEP_1)
	s_or_b32 exec_lo, exec_lo, s1
	v_and_b32_e32 v44, 7, v43
	s_mov_b32 s2, 0
	s_mov_b32 s1, exec_lo
	v_cmpx_ne_u32_e32 0, v44
	s_cbranch_execz .LBB73_95
; %bb.92:
	v_lshl_add_u32 v47, v42, 2, 48
	v_mov_b32_e32 v43, 0
.LBB73_93:                              ; =>This Inner Loop Header: Depth=1
	v_cmp_eq_u32_e32 vcc_lo, 1, v42
	ds_load_b32 v49, v47
	v_dual_add_nc_u32 v44, -1, v44 :: v_dual_add_nc_u32 v47, 4, v47
	v_cndmask_b32_e32 v48, v12, v13, vcc_lo
	v_cmp_eq_u32_e32 vcc_lo, 2, v42
	s_delay_alu instid0(VALU_DEP_2) | instskip(SKIP_1) | instid1(VALU_DEP_2)
	v_cndmask_b32_e32 v48, v48, v14, vcc_lo
	v_cmp_eq_u32_e32 vcc_lo, 3, v42
	v_cndmask_b32_e32 v48, v48, v15, vcc_lo
	v_cmp_eq_u32_e32 vcc_lo, 4, v42
	s_delay_alu instid0(VALU_DEP_2) | instskip(SKIP_1) | instid1(VALU_DEP_2)
	v_cndmask_b32_e32 v48, v48, v16, vcc_lo
	v_cmp_eq_u32_e32 vcc_lo, 5, v42
	;; [unrolled: 5-line block ×3, first 2 shown]
	v_cndmask_b32_e32 v48, v48, v19, vcc_lo
	v_cmp_eq_u32_e32 vcc_lo, 8, v42
	s_delay_alu instid0(VALU_DEP_2) | instskip(SKIP_2) | instid1(VALU_DEP_3)
	v_cndmask_b32_e32 v48, v48, v20, vcc_lo
	v_cmp_eq_u32_e32 vcc_lo, 9, v42
	v_add_nc_u64_e32 v[42:43], 1, v[42:43]
	v_cndmask_b32_e32 v48, v48, v21, vcc_lo
	v_cmp_eq_u32_e32 vcc_lo, 0, v44
	s_wait_dscnt 0x0
	s_delay_alu instid0(VALU_DEP_2) | instskip(SKIP_1) | instid1(SALU_CYCLE_1)
	v_fmac_f32_e32 v46, v48, v49
	s_or_b32 s2, vcc_lo, s2
	s_and_not1_b32 exec_lo, exec_lo, s2
	s_cbranch_execnz .LBB73_93
; %bb.94:
	s_or_b32 exec_lo, exec_lo, s2
.LBB73_95:
	s_delay_alu instid0(SALU_CYCLE_1)
	s_or_b32 exec_lo, exec_lo, s1
.LBB73_96:
	s_delay_alu instid0(SALU_CYCLE_1)
	s_or_b32 exec_lo, exec_lo, s5
	v_mov_b32_e32 v14, 0
	ds_load_b32 v14, v14 offset:8
	s_wait_dscnt 0x0
	v_mul_f32_e32 v14, v46, v14
.LBB73_97:
	s_or_b32 exec_lo, exec_lo, s4
	v_cmp_lt_u32_e64 s1, 1, v0
	ds_store_b32 v45, v13
	s_wait_dscnt 0x0
	s_barrier_signal -1
	s_barrier_wait -1
	s_and_saveexec_b32 s4, s1
	s_cbranch_execz .LBB73_113
; %bb.98:
	s_and_not1_b32 vcc_lo, exec_lo, s14
	s_cbranch_vccnz .LBB73_100
; %bb.99:
	v_cmp_eq_u32_e32 vcc_lo, 1, v0
	ds_load_b32 v43, v45
	v_cndmask_b32_e32 v42, v12, v13, vcc_lo
	v_cmp_eq_u32_e32 vcc_lo, 2, v0
	s_delay_alu instid0(VALU_DEP_2) | instskip(SKIP_1) | instid1(VALU_DEP_2)
	v_cndmask_b32_e32 v42, v42, v14, vcc_lo
	v_cmp_eq_u32_e32 vcc_lo, 3, v0
	v_cndmask_b32_e32 v42, v42, v15, vcc_lo
	v_cmp_eq_u32_e32 vcc_lo, 4, v0
	s_delay_alu instid0(VALU_DEP_2) | instskip(SKIP_1) | instid1(VALU_DEP_2)
	v_cndmask_b32_e32 v42, v42, v16, vcc_lo
	v_cmp_eq_u32_e32 vcc_lo, 5, v0
	v_cndmask_b32_e32 v42, v42, v17, vcc_lo
	v_cmp_eq_u32_e32 vcc_lo, 6, v0
	s_delay_alu instid0(VALU_DEP_2) | instskip(SKIP_1) | instid1(VALU_DEP_2)
	v_cndmask_b32_e32 v42, v42, v18, vcc_lo
	v_cmp_eq_u32_e32 vcc_lo, 7, v0
	v_cndmask_b32_e32 v42, v42, v19, vcc_lo
	v_cmp_eq_u32_e32 vcc_lo, 8, v0
	s_delay_alu instid0(VALU_DEP_2) | instskip(SKIP_1) | instid1(VALU_DEP_2)
	v_cndmask_b32_e32 v42, v42, v20, vcc_lo
	v_cmp_eq_u32_e32 vcc_lo, 9, v0
	v_cndmask_b32_e32 v42, v42, v21, vcc_lo
	s_wait_dscnt 0x0
	s_delay_alu instid0(VALU_DEP_1)
	v_mul_f32_e32 v46, v42, v43
	s_cbranch_execz .LBB73_101
	s_branch .LBB73_102
.LBB73_100:
                                        ; implicit-def: $vgpr46
.LBB73_101:
	ds_load_b32 v46, v45
.LBB73_102:
	s_and_saveexec_b32 s5, s0
	s_cbranch_execz .LBB73_112
; %bb.103:
	v_dual_add_nc_u32 v42, -3, v0 :: v_dual_add_nc_u32 v43, -2, v0
	s_delay_alu instid0(VALU_DEP_1)
	v_cmp_lt_u32_e32 vcc_lo, 6, v42
	v_mov_b32_e32 v42, 2
	s_and_saveexec_b32 s0, vcc_lo
	s_cbranch_execz .LBB73_107
; %bb.104:
	v_and_b32_e32 v42, -8, v43
	s_mov_b32 s6, 0
	s_mov_b64 s[2:3], 9
	s_mov_b32 s7, 56
	s_delay_alu instid0(VALU_DEP_1)
	v_sub_nc_u32_e32 v44, 0, v42
.LBB73_105:                             ; =>This Inner Loop Header: Depth=1
	s_add_co_i32 m0, s2, -7
	v_movrels_b32_e32 v47, v12
	v_mov_b32_e32 v42, s7
	s_add_co_i32 m0, s2, -6
	s_add_co_i32 s7, s7, 32
	v_movrels_b32_e32 v56, v12
	s_add_co_i32 m0, s2, -5
	ds_load_2addr_b64 v[48:51], v42 offset1:1
	ds_load_2addr_b64 v[52:55], v42 offset0:2 offset1:3
	v_movrels_b32_e32 v42, v12
	s_add_co_i32 m0, s2, -4
	s_wait_dscnt 0x1
	v_fmac_f32_e32 v46, v47, v48
	v_movrels_b32_e32 v47, v12
	s_add_co_i32 m0, s2, -3
	s_delay_alu instid0(VALU_DEP_2) | instskip(NEXT) | instid1(VALU_DEP_1)
	v_fmac_f32_e32 v46, v56, v49
	v_fmac_f32_e32 v46, v42, v50
	v_movrels_b32_e32 v42, v12
	s_add_co_i32 m0, s2, -2
	s_delay_alu instid0(VALU_DEP_2) | instskip(SKIP_3) | instid1(VALU_DEP_2)
	v_fmac_f32_e32 v46, v47, v51
	v_movrels_b32_e32 v47, v12
	s_add_co_i32 m0, s2, -1
	s_wait_dscnt 0x0
	v_fmac_f32_e32 v46, v42, v52
	v_movrels_b32_e32 v42, v12
	s_mov_b32 m0, s2
	s_add_nc_u64 s[2:3], s[2:3], 8
	v_movrels_b32_e32 v48, v12
	v_dual_fmac_f32 v46, v47, v53 :: v_dual_add_nc_u32 v47, s2, v44
	s_add_co_i32 s8, s2, -7
	s_delay_alu instid0(VALU_DEP_1) | instskip(NEXT) | instid1(VALU_DEP_2)
	v_fmac_f32_e32 v46, v42, v54
	v_cmp_eq_u32_e32 vcc_lo, 9, v47
	s_delay_alu instid0(VALU_DEP_2) | instskip(SKIP_1) | instid1(SALU_CYCLE_1)
	v_dual_mov_b32 v42, s8 :: v_dual_fmac_f32 v46, v48, v55
	s_or_b32 s6, vcc_lo, s6
	s_and_not1_b32 exec_lo, exec_lo, s6
	s_cbranch_execnz .LBB73_105
; %bb.106:
	s_or_b32 exec_lo, exec_lo, s6
.LBB73_107:
	s_delay_alu instid0(SALU_CYCLE_1) | instskip(SKIP_3) | instid1(VALU_DEP_1)
	s_or_b32 exec_lo, exec_lo, s0
	v_and_b32_e32 v44, 7, v43
	s_mov_b32 s2, 0
	s_mov_b32 s0, exec_lo
	v_cmpx_ne_u32_e32 0, v44
	s_cbranch_execz .LBB73_111
; %bb.108:
	v_lshl_add_u32 v47, v42, 2, 48
	v_mov_b32_e32 v43, 0
.LBB73_109:                             ; =>This Inner Loop Header: Depth=1
	v_cmp_eq_u32_e32 vcc_lo, 1, v42
	ds_load_b32 v49, v47
	v_dual_add_nc_u32 v44, -1, v44 :: v_dual_add_nc_u32 v47, 4, v47
	v_cndmask_b32_e32 v48, v12, v13, vcc_lo
	v_cmp_eq_u32_e32 vcc_lo, 2, v42
	s_delay_alu instid0(VALU_DEP_2) | instskip(SKIP_1) | instid1(VALU_DEP_2)
	v_cndmask_b32_e32 v48, v48, v14, vcc_lo
	v_cmp_eq_u32_e32 vcc_lo, 3, v42
	v_cndmask_b32_e32 v48, v48, v15, vcc_lo
	v_cmp_eq_u32_e32 vcc_lo, 4, v42
	s_delay_alu instid0(VALU_DEP_2) | instskip(SKIP_1) | instid1(VALU_DEP_2)
	v_cndmask_b32_e32 v48, v48, v16, vcc_lo
	v_cmp_eq_u32_e32 vcc_lo, 5, v42
	;; [unrolled: 5-line block ×3, first 2 shown]
	v_cndmask_b32_e32 v48, v48, v19, vcc_lo
	v_cmp_eq_u32_e32 vcc_lo, 8, v42
	s_delay_alu instid0(VALU_DEP_2) | instskip(SKIP_2) | instid1(VALU_DEP_3)
	v_cndmask_b32_e32 v48, v48, v20, vcc_lo
	v_cmp_eq_u32_e32 vcc_lo, 9, v42
	v_add_nc_u64_e32 v[42:43], 1, v[42:43]
	v_cndmask_b32_e32 v48, v48, v21, vcc_lo
	v_cmp_eq_u32_e32 vcc_lo, 0, v44
	s_wait_dscnt 0x0
	s_delay_alu instid0(VALU_DEP_2) | instskip(SKIP_1) | instid1(SALU_CYCLE_1)
	v_fmac_f32_e32 v46, v48, v49
	s_or_b32 s2, vcc_lo, s2
	s_and_not1_b32 exec_lo, exec_lo, s2
	s_cbranch_execnz .LBB73_109
; %bb.110:
	s_or_b32 exec_lo, exec_lo, s2
.LBB73_111:
	s_delay_alu instid0(SALU_CYCLE_1)
	s_or_b32 exec_lo, exec_lo, s0
.LBB73_112:
	s_delay_alu instid0(SALU_CYCLE_1)
	s_or_b32 exec_lo, exec_lo, s5
	v_mov_b32_e32 v13, 0
	ds_load_b32 v13, v13 offset:4
	s_wait_dscnt 0x0
	v_mul_f32_e32 v13, v46, v13
.LBB73_113:
	s_or_b32 exec_lo, exec_lo, s4
	s_mov_b32 s2, 0
	s_mov_b32 s3, exec_lo
	ds_store_b32 v45, v12
	s_wait_dscnt 0x0
	s_barrier_signal -1
	s_barrier_wait -1
	v_cmpx_ne_u32_e32 0, v0
	s_cbranch_execz .LBB73_129
; %bb.114:
	s_and_not1_b32 vcc_lo, exec_lo, s14
	s_cbranch_vccnz .LBB73_116
; %bb.115:
	v_cmp_eq_u32_e32 vcc_lo, 1, v0
	ds_load_b32 v43, v45
	v_cndmask_b32_e32 v42, v12, v13, vcc_lo
	v_cmp_eq_u32_e32 vcc_lo, 2, v0
	s_delay_alu instid0(VALU_DEP_2) | instskip(SKIP_1) | instid1(VALU_DEP_2)
	v_cndmask_b32_e32 v42, v42, v14, vcc_lo
	v_cmp_eq_u32_e32 vcc_lo, 3, v0
	v_cndmask_b32_e32 v42, v42, v15, vcc_lo
	v_cmp_eq_u32_e32 vcc_lo, 4, v0
	s_delay_alu instid0(VALU_DEP_2) | instskip(SKIP_1) | instid1(VALU_DEP_2)
	v_cndmask_b32_e32 v42, v42, v16, vcc_lo
	v_cmp_eq_u32_e32 vcc_lo, 5, v0
	;; [unrolled: 5-line block ×4, first 2 shown]
	v_cndmask_b32_e32 v42, v42, v21, vcc_lo
	s_wait_dscnt 0x0
	s_delay_alu instid0(VALU_DEP_1)
	v_mul_f32_e32 v46, v42, v43
	s_cbranch_execz .LBB73_117
	s_branch .LBB73_118
.LBB73_116:
                                        ; implicit-def: $vgpr46
.LBB73_117:
	ds_load_b32 v46, v45
.LBB73_118:
	s_and_saveexec_b32 s4, s1
	s_cbranch_execz .LBB73_128
; %bb.119:
	v_dual_add_nc_u32 v42, -2, v0 :: v_dual_add_nc_u32 v43, -1, v0
	s_delay_alu instid0(VALU_DEP_1)
	v_cmp_lt_u32_e32 vcc_lo, 6, v42
	v_mov_b32_e32 v42, 1
	s_and_saveexec_b32 s5, vcc_lo
	s_cbranch_execz .LBB73_123
; %bb.120:
	v_and_b32_e32 v42, -8, v43
	s_mov_b32 s6, 0
	s_mov_b64 s[0:1], 8
	s_mov_b32 s7, 52
	s_delay_alu instid0(VALU_DEP_1)
	v_sub_nc_u32_e32 v44, 0, v42
.LBB73_121:                             ; =>This Inner Loop Header: Depth=1
	s_add_co_i32 m0, s0, -7
	v_movrels_b32_e32 v47, v12
	v_mov_b32_e32 v42, s7
	s_add_co_i32 m0, s0, -6
	s_add_co_i32 s7, s7, 32
	v_movrels_b32_e32 v56, v12
	ds_load_2addr_b32 v[48:49], v42 offset1:1
	ds_load_2addr_b32 v[50:51], v42 offset0:2 offset1:3
	s_add_co_i32 m0, s0, -5
	s_wait_dscnt 0x1
	v_fmac_f32_e32 v46, v47, v48
	ds_load_2addr_b32 v[52:53], v42 offset0:4 offset1:5
	ds_load_2addr_b32 v[54:55], v42 offset0:6 offset1:7
	v_movrels_b32_e32 v42, v12
	s_add_co_i32 m0, s0, -4
	v_fmac_f32_e32 v46, v56, v49
	v_movrels_b32_e32 v47, v12
	s_add_co_i32 m0, s0, -3
	s_wait_dscnt 0x2
	s_delay_alu instid0(VALU_DEP_2) | instskip(SKIP_2) | instid1(VALU_DEP_2)
	v_fmac_f32_e32 v46, v42, v50
	v_movrels_b32_e32 v42, v12
	s_add_co_i32 m0, s0, -2
	v_fmac_f32_e32 v46, v47, v51
	v_movrels_b32_e32 v47, v12
	s_add_co_i32 m0, s0, -1
	s_wait_dscnt 0x1
	s_delay_alu instid0(VALU_DEP_2)
	v_fmac_f32_e32 v46, v42, v52
	v_movrels_b32_e32 v42, v12
	s_mov_b32 m0, s0
	s_add_nc_u64 s[0:1], s[0:1], 8
	v_movrels_b32_e32 v48, v12
	v_dual_fmac_f32 v46, v47, v53 :: v_dual_add_nc_u32 v47, s0, v44
	s_add_co_i32 s8, s0, -7
	s_wait_dscnt 0x0
	s_delay_alu instid0(VALU_DEP_1) | instskip(NEXT) | instid1(VALU_DEP_2)
	v_fmac_f32_e32 v46, v42, v54
	v_cmp_eq_u32_e32 vcc_lo, 8, v47
	s_delay_alu instid0(VALU_DEP_2) | instskip(SKIP_1) | instid1(SALU_CYCLE_1)
	v_dual_mov_b32 v42, s8 :: v_dual_fmac_f32 v46, v48, v55
	s_or_b32 s6, vcc_lo, s6
	s_and_not1_b32 exec_lo, exec_lo, s6
	s_cbranch_execnz .LBB73_121
; %bb.122:
	s_or_b32 exec_lo, exec_lo, s6
.LBB73_123:
	s_delay_alu instid0(SALU_CYCLE_1) | instskip(SKIP_3) | instid1(VALU_DEP_1)
	s_or_b32 exec_lo, exec_lo, s5
	v_and_b32_e32 v44, 7, v43
	s_mov_b32 s1, 0
	s_mov_b32 s0, exec_lo
	v_cmpx_ne_u32_e32 0, v44
	s_cbranch_execz .LBB73_127
; %bb.124:
	v_lshl_add_u32 v47, v42, 2, 48
	v_mov_b32_e32 v43, 0
.LBB73_125:                             ; =>This Inner Loop Header: Depth=1
	v_cmp_eq_u32_e32 vcc_lo, 1, v42
	ds_load_b32 v49, v47
	v_dual_add_nc_u32 v44, -1, v44 :: v_dual_add_nc_u32 v47, 4, v47
	v_cndmask_b32_e32 v48, v12, v13, vcc_lo
	v_cmp_eq_u32_e32 vcc_lo, 2, v42
	s_delay_alu instid0(VALU_DEP_2) | instskip(SKIP_1) | instid1(VALU_DEP_2)
	v_cndmask_b32_e32 v48, v48, v14, vcc_lo
	v_cmp_eq_u32_e32 vcc_lo, 3, v42
	v_cndmask_b32_e32 v48, v48, v15, vcc_lo
	v_cmp_eq_u32_e32 vcc_lo, 4, v42
	s_delay_alu instid0(VALU_DEP_2) | instskip(SKIP_1) | instid1(VALU_DEP_2)
	v_cndmask_b32_e32 v48, v48, v16, vcc_lo
	v_cmp_eq_u32_e32 vcc_lo, 5, v42
	;; [unrolled: 5-line block ×3, first 2 shown]
	v_cndmask_b32_e32 v48, v48, v19, vcc_lo
	v_cmp_eq_u32_e32 vcc_lo, 8, v42
	s_delay_alu instid0(VALU_DEP_2) | instskip(SKIP_2) | instid1(VALU_DEP_3)
	v_cndmask_b32_e32 v48, v48, v20, vcc_lo
	v_cmp_eq_u32_e32 vcc_lo, 9, v42
	v_add_nc_u64_e32 v[42:43], 1, v[42:43]
	v_cndmask_b32_e32 v48, v48, v21, vcc_lo
	v_cmp_eq_u32_e32 vcc_lo, 0, v44
	s_wait_dscnt 0x0
	s_delay_alu instid0(VALU_DEP_2) | instskip(SKIP_1) | instid1(SALU_CYCLE_1)
	v_fmac_f32_e32 v46, v48, v49
	s_or_b32 s1, vcc_lo, s1
	s_and_not1_b32 exec_lo, exec_lo, s1
	s_cbranch_execnz .LBB73_125
; %bb.126:
	s_or_b32 exec_lo, exec_lo, s1
.LBB73_127:
	s_delay_alu instid0(SALU_CYCLE_1)
	s_or_b32 exec_lo, exec_lo, s0
.LBB73_128:
	s_delay_alu instid0(SALU_CYCLE_1)
	s_or_b32 exec_lo, exec_lo, s4
	v_mov_b32_e32 v12, 0
	ds_load_b32 v12, v12
	s_wait_dscnt 0x0
	v_mul_f32_e32 v12, v46, v12
.LBB73_129:
	s_or_b32 exec_lo, exec_lo, s3
	s_delay_alu instid0(SALU_CYCLE_1)
	s_and_b32 vcc_lo, exec_lo, s2
	s_cbranch_vccz .LBB73_223
.LBB73_130:
	v_cmp_eq_u32_e64 s0, 0, v0
	s_wait_loadcnt_dscnt 0x90a
	ds_store_b32 v45, v3
	s_wait_loadcnt_dscnt 0x0
	s_barrier_signal -1
	s_barrier_wait -1
	s_and_saveexec_b32 s1, s0
	s_cbranch_execz .LBB73_136
; %bb.131:
	s_and_b32 vcc_lo, exec_lo, s14
	s_cbranch_vccz .LBB73_133
; %bb.132:
	v_cmp_eq_u32_e32 vcc_lo, 1, v0
	ds_load_b32 v12, v45
	v_cndmask_b32_e32 v3, v2, v3, vcc_lo
	v_cmp_eq_u32_e32 vcc_lo, 2, v0
	s_delay_alu instid0(VALU_DEP_2) | instskip(SKIP_1) | instid1(VALU_DEP_2)
	v_cndmask_b32_e32 v3, v3, v4, vcc_lo
	v_cmp_eq_u32_e32 vcc_lo, 3, v0
	v_cndmask_b32_e32 v3, v3, v5, vcc_lo
	v_cmp_eq_u32_e32 vcc_lo, 4, v0
	s_delay_alu instid0(VALU_DEP_2) | instskip(SKIP_1) | instid1(VALU_DEP_2)
	v_cndmask_b32_e32 v3, v3, v6, vcc_lo
	v_cmp_eq_u32_e32 vcc_lo, 5, v0
	;; [unrolled: 5-line block ×4, first 2 shown]
	v_cndmask_b32_e32 v3, v3, v11, vcc_lo
	s_wait_dscnt 0x0
	s_delay_alu instid0(VALU_DEP_1)
	v_mul_f32_e32 v3, v3, v12
	s_cbranch_execz .LBB73_134
	s_branch .LBB73_135
.LBB73_133:
                                        ; implicit-def: $vgpr3
.LBB73_134:
	ds_load_b32 v3, v45
.LBB73_135:
	v_mov_b32_e32 v12, 0
	ds_load_b32 v12, v12 offset:4
	s_wait_dscnt 0x0
	v_mul_f32_e32 v3, v3, v12
.LBB73_136:
	s_or_b32 exec_lo, exec_lo, s1
	v_cmp_gt_u32_e64 s1, 2, v0
	v_cndmask_b32_e64 v15, 0, 1, s14
	ds_store_b32 v45, v4
	s_wait_dscnt 0x0
	s_barrier_signal -1
	s_barrier_wait -1
	s_and_saveexec_b32 s2, s1
	s_cbranch_execz .LBB73_142
; %bb.137:
	s_and_not1_b32 vcc_lo, exec_lo, s14
	s_cbranch_vccnz .LBB73_139
; %bb.138:
	v_cmp_eq_u32_e32 vcc_lo, 1, v0
	v_cndmask_b32_e32 v12, v2, v3, vcc_lo
	v_cmp_eq_u32_e32 vcc_lo, 2, v0
	s_delay_alu instid0(VALU_DEP_2) | instskip(SKIP_4) | instid1(VALU_DEP_2)
	v_cndmask_b32_e32 v4, v12, v4, vcc_lo
	v_cmp_eq_u32_e32 vcc_lo, 3, v0
	ds_load_b32 v12, v45
	v_cndmask_b32_e32 v4, v4, v5, vcc_lo
	v_cmp_eq_u32_e32 vcc_lo, 4, v0
	v_cndmask_b32_e32 v4, v4, v6, vcc_lo
	v_cmp_eq_u32_e32 vcc_lo, 5, v0
	s_delay_alu instid0(VALU_DEP_2) | instskip(SKIP_1) | instid1(VALU_DEP_2)
	v_cndmask_b32_e32 v4, v4, v7, vcc_lo
	v_cmp_eq_u32_e32 vcc_lo, 6, v0
	v_cndmask_b32_e32 v4, v4, v8, vcc_lo
	v_cmp_eq_u32_e32 vcc_lo, 7, v0
	s_delay_alu instid0(VALU_DEP_2) | instskip(SKIP_1) | instid1(VALU_DEP_2)
	v_cndmask_b32_e32 v4, v4, v9, vcc_lo
	v_cmp_eq_u32_e32 vcc_lo, 8, v0
	v_cndmask_b32_e32 v4, v4, v10, vcc_lo
	v_cmp_eq_u32_e32 vcc_lo, 9, v0
	s_delay_alu instid0(VALU_DEP_2) | instskip(SKIP_1) | instid1(VALU_DEP_1)
	v_cndmask_b32_e32 v4, v4, v11, vcc_lo
	s_wait_dscnt 0x0
	v_mul_f32_e32 v4, v4, v12
	s_cbranch_execz .LBB73_140
	s_branch .LBB73_141
.LBB73_139:
                                        ; implicit-def: $vgpr4
.LBB73_140:
	ds_load_b32 v4, v45
.LBB73_141:
	v_mov_b32_e32 v12, 0
	ds_load_2addr_b32 v[12:13], v12 offset0:2 offset1:13
	s_wait_dscnt 0x0
	v_fma_f32 v13, v3, v13, v4
	s_delay_alu instid0(VALU_DEP_1) | instskip(NEXT) | instid1(VALU_DEP_1)
	v_cndmask_b32_e64 v4, v4, v13, s0
	v_mul_f32_e32 v4, v4, v12
.LBB73_142:
	s_or_b32 exec_lo, exec_lo, s2
	v_add_nc_u32_e32 v14, 1, v0
	s_mov_b32 s2, exec_lo
	ds_store_b32 v45, v5
	s_wait_dscnt 0x0
	s_barrier_signal -1
	s_barrier_wait -1
	v_cmpx_gt_u32_e32 3, v0
	s_cbranch_execz .LBB73_150
; %bb.143:
	v_cmp_ne_u32_e32 vcc_lo, 1, v15
	s_cbranch_vccnz .LBB73_145
; %bb.144:
	v_cmp_eq_u32_e32 vcc_lo, 1, v0
	ds_load_b32 v13, v45
	v_cndmask_b32_e32 v12, v2, v3, vcc_lo
	v_cmp_eq_u32_e32 vcc_lo, 2, v0
	s_delay_alu instid0(VALU_DEP_2) | instskip(SKIP_1) | instid1(VALU_DEP_2)
	v_cndmask_b32_e32 v12, v12, v4, vcc_lo
	v_cmp_eq_u32_e32 vcc_lo, 3, v0
	v_cndmask_b32_e32 v12, v12, v5, vcc_lo
	v_cmp_eq_u32_e32 vcc_lo, 4, v0
	s_delay_alu instid0(VALU_DEP_2) | instskip(SKIP_1) | instid1(VALU_DEP_2)
	v_cndmask_b32_e32 v12, v12, v6, vcc_lo
	v_cmp_eq_u32_e32 vcc_lo, 5, v0
	;; [unrolled: 5-line block ×4, first 2 shown]
	v_cndmask_b32_e32 v12, v12, v11, vcc_lo
	s_wait_dscnt 0x0
	s_delay_alu instid0(VALU_DEP_1)
	v_mul_f32_e32 v12, v12, v13
	s_cbranch_execz .LBB73_146
	s_branch .LBB73_147
.LBB73_145:
                                        ; implicit-def: $vgpr12
.LBB73_146:
	ds_load_b32 v12, v45
.LBB73_147:
	s_mov_b32 s3, exec_lo
	v_cmpx_ne_u32_e32 2, v0
	s_cbranch_execz .LBB73_149
; %bb.148:
	v_cmp_eq_u32_e32 vcc_lo, 1, v14
	v_dual_mov_b32 v16, 0 :: v_dual_cndmask_b32 v13, v2, v3
	v_cmp_eq_u32_e32 vcc_lo, 2, v14
	ds_load_b32 v16, v16 offset:56
	v_cndmask_b32_e32 v13, v13, v4, vcc_lo
	v_cmp_eq_u32_e32 vcc_lo, 3, v14
	s_delay_alu instid0(VALU_DEP_2) | instskip(SKIP_4) | instid1(VALU_DEP_2)
	v_cndmask_b32_e32 v5, v13, v5, vcc_lo
	v_cmp_eq_u32_e32 vcc_lo, 4, v14
	ds_load_b32 v13, v45 offset:4
	v_cndmask_b32_e32 v5, v5, v6, vcc_lo
	v_cmp_eq_u32_e32 vcc_lo, 5, v14
	v_cndmask_b32_e32 v5, v5, v7, vcc_lo
	v_cmp_eq_u32_e32 vcc_lo, 6, v14
	s_delay_alu instid0(VALU_DEP_2) | instskip(SKIP_1) | instid1(VALU_DEP_2)
	v_cndmask_b32_e32 v5, v5, v8, vcc_lo
	v_cmp_eq_u32_e32 vcc_lo, 7, v14
	v_cndmask_b32_e32 v5, v5, v9, vcc_lo
	v_cmp_eq_u32_e32 vcc_lo, 8, v14
	s_delay_alu instid0(VALU_DEP_2) | instskip(SKIP_1) | instid1(VALU_DEP_2)
	v_cndmask_b32_e32 v5, v5, v10, vcc_lo
	v_cmp_eq_u32_e32 vcc_lo, 9, v14
	v_cndmask_b32_e32 v5, v5, v11, vcc_lo
	s_wait_dscnt 0x0
	s_delay_alu instid0(VALU_DEP_1) | instskip(NEXT) | instid1(VALU_DEP_1)
	v_fmac_f32_e32 v12, v5, v13
	v_fma_f32 v5, v4, v16, v12
	s_delay_alu instid0(VALU_DEP_1)
	v_cndmask_b32_e64 v12, v12, v5, s0
.LBB73_149:
	s_or_b32 exec_lo, exec_lo, s3
	v_mov_b32_e32 v5, 0
	ds_load_b32 v5, v5 offset:12
	s_wait_dscnt 0x0
	v_mul_f32_e32 v5, v12, v5
.LBB73_150:
	s_or_b32 exec_lo, exec_lo, s2
	v_cmp_gt_u32_e64 s2, 4, v0
	ds_store_b32 v45, v6
	s_wait_dscnt 0x0
	s_barrier_signal -1
	s_barrier_wait -1
	s_and_saveexec_b32 s3, s2
	s_cbranch_execz .LBB73_160
; %bb.151:
	v_cmp_ne_u32_e32 vcc_lo, 1, v15
	s_cbranch_vccnz .LBB73_153
; %bb.152:
	v_cmp_eq_u32_e32 vcc_lo, 1, v0
	ds_load_b32 v13, v45
	v_cndmask_b32_e32 v12, v2, v3, vcc_lo
	v_cmp_eq_u32_e32 vcc_lo, 2, v0
	s_delay_alu instid0(VALU_DEP_2) | instskip(SKIP_1) | instid1(VALU_DEP_2)
	v_cndmask_b32_e32 v12, v12, v4, vcc_lo
	v_cmp_eq_u32_e32 vcc_lo, 3, v0
	v_cndmask_b32_e32 v12, v12, v5, vcc_lo
	v_cmp_eq_u32_e32 vcc_lo, 4, v0
	s_delay_alu instid0(VALU_DEP_2) | instskip(SKIP_1) | instid1(VALU_DEP_2)
	v_cndmask_b32_e32 v12, v12, v6, vcc_lo
	v_cmp_eq_u32_e32 vcc_lo, 5, v0
	;; [unrolled: 5-line block ×4, first 2 shown]
	v_cndmask_b32_e32 v12, v12, v11, vcc_lo
	s_wait_dscnt 0x0
	s_delay_alu instid0(VALU_DEP_1)
	v_mul_f32_e32 v16, v12, v13
	s_cbranch_execz .LBB73_154
	s_branch .LBB73_155
.LBB73_153:
                                        ; implicit-def: $vgpr16
.LBB73_154:
	ds_load_b32 v16, v45
.LBB73_155:
	s_mov_b32 s4, exec_lo
	v_cmpx_ne_u32_e32 3, v0
	s_cbranch_execz .LBB73_159
; %bb.156:
	v_mov_b64_e32 v[12:13], v[0:1]
	v_lshl_add_u32 v17, v0, 2, 52
	s_mov_b32 s5, 0
.LBB73_157:                             ; =>This Inner Loop Header: Depth=1
	s_delay_alu instid0(VALU_DEP_2)
	v_add_nc_u64_e32 v[12:13], 1, v[12:13]
	ds_load_b32 v19, v17
	v_add_nc_u32_e32 v17, 4, v17
	v_cmp_eq_u32_e32 vcc_lo, 1, v12
	v_cndmask_b32_e32 v18, v2, v3, vcc_lo
	v_cmp_eq_u32_e32 vcc_lo, 2, v12
	s_delay_alu instid0(VALU_DEP_2) | instskip(SKIP_1) | instid1(VALU_DEP_2)
	v_cndmask_b32_e32 v18, v18, v4, vcc_lo
	v_cmp_eq_u32_e32 vcc_lo, 3, v12
	v_cndmask_b32_e32 v18, v18, v5, vcc_lo
	v_cmp_eq_u32_e32 vcc_lo, 4, v12
	s_delay_alu instid0(VALU_DEP_2) | instskip(SKIP_1) | instid1(VALU_DEP_2)
	v_cndmask_b32_e32 v18, v18, v6, vcc_lo
	;; [unrolled: 5-line block ×4, first 2 shown]
	v_cmp_eq_u32_e32 vcc_lo, 9, v12
	v_cndmask_b32_e32 v18, v18, v11, vcc_lo
	v_cmp_lt_u32_e32 vcc_lo, 2, v12
	s_wait_dscnt 0x0
	s_delay_alu instid0(VALU_DEP_2) | instskip(SKIP_1) | instid1(SALU_CYCLE_1)
	v_fmac_f32_e32 v16, v18, v19
	s_or_b32 s5, vcc_lo, s5
	s_and_not1_b32 exec_lo, exec_lo, s5
	s_cbranch_execnz .LBB73_157
; %bb.158:
	s_or_b32 exec_lo, exec_lo, s5
.LBB73_159:
	s_delay_alu instid0(SALU_CYCLE_1)
	s_or_b32 exec_lo, exec_lo, s4
	v_mov_b32_e32 v6, 0
	ds_load_b32 v6, v6 offset:16
	s_wait_dscnt 0x0
	v_mul_f32_e32 v6, v16, v6
.LBB73_160:
	s_or_b32 exec_lo, exec_lo, s3
	s_delay_alu instid0(SALU_CYCLE_1)
	s_mov_b32 s3, exec_lo
	ds_store_b32 v45, v7
	s_wait_dscnt 0x0
	s_barrier_signal -1
	s_barrier_wait -1
	v_cmpx_gt_u32_e32 5, v0
	s_cbranch_execz .LBB73_170
; %bb.161:
	v_cmp_ne_u32_e32 vcc_lo, 1, v15
	s_cbranch_vccnz .LBB73_163
; %bb.162:
	v_cmp_eq_u32_e32 vcc_lo, 1, v0
	ds_load_b32 v13, v45
	v_cndmask_b32_e32 v12, v2, v3, vcc_lo
	v_cmp_eq_u32_e32 vcc_lo, 2, v0
	s_delay_alu instid0(VALU_DEP_2) | instskip(SKIP_1) | instid1(VALU_DEP_2)
	v_cndmask_b32_e32 v12, v12, v4, vcc_lo
	v_cmp_eq_u32_e32 vcc_lo, 3, v0
	v_cndmask_b32_e32 v12, v12, v5, vcc_lo
	v_cmp_eq_u32_e32 vcc_lo, 4, v0
	s_delay_alu instid0(VALU_DEP_2) | instskip(SKIP_1) | instid1(VALU_DEP_2)
	v_cndmask_b32_e32 v12, v12, v6, vcc_lo
	v_cmp_eq_u32_e32 vcc_lo, 5, v0
	;; [unrolled: 5-line block ×4, first 2 shown]
	v_cndmask_b32_e32 v12, v12, v11, vcc_lo
	s_wait_dscnt 0x0
	s_delay_alu instid0(VALU_DEP_1)
	v_mul_f32_e32 v16, v12, v13
	s_cbranch_execz .LBB73_164
	s_branch .LBB73_165
.LBB73_163:
                                        ; implicit-def: $vgpr16
.LBB73_164:
	ds_load_b32 v16, v45
.LBB73_165:
	s_mov_b32 s4, exec_lo
	v_cmpx_ne_u32_e32 4, v0
	s_cbranch_execz .LBB73_169
; %bb.166:
	v_mov_b64_e32 v[12:13], v[0:1]
	v_lshl_add_u32 v17, v0, 2, 52
	s_mov_b32 s5, 0
.LBB73_167:                             ; =>This Inner Loop Header: Depth=1
	s_delay_alu instid0(VALU_DEP_2)
	v_add_nc_u64_e32 v[12:13], 1, v[12:13]
	ds_load_b32 v19, v17
	v_add_nc_u32_e32 v17, 4, v17
	v_cmp_eq_u32_e32 vcc_lo, 1, v12
	v_cndmask_b32_e32 v18, v2, v3, vcc_lo
	v_cmp_eq_u32_e32 vcc_lo, 2, v12
	s_delay_alu instid0(VALU_DEP_2) | instskip(SKIP_1) | instid1(VALU_DEP_2)
	v_cndmask_b32_e32 v18, v18, v4, vcc_lo
	v_cmp_eq_u32_e32 vcc_lo, 3, v12
	v_cndmask_b32_e32 v18, v18, v5, vcc_lo
	v_cmp_eq_u32_e32 vcc_lo, 4, v12
	s_delay_alu instid0(VALU_DEP_2) | instskip(SKIP_1) | instid1(VALU_DEP_2)
	v_cndmask_b32_e32 v18, v18, v6, vcc_lo
	;; [unrolled: 5-line block ×4, first 2 shown]
	v_cmp_eq_u32_e32 vcc_lo, 9, v12
	v_cndmask_b32_e32 v18, v18, v11, vcc_lo
	v_cmp_lt_u32_e32 vcc_lo, 3, v12
	s_wait_dscnt 0x0
	s_delay_alu instid0(VALU_DEP_2) | instskip(SKIP_1) | instid1(SALU_CYCLE_1)
	v_fmac_f32_e32 v16, v18, v19
	s_or_b32 s5, vcc_lo, s5
	s_and_not1_b32 exec_lo, exec_lo, s5
	s_cbranch_execnz .LBB73_167
; %bb.168:
	s_or_b32 exec_lo, exec_lo, s5
.LBB73_169:
	s_delay_alu instid0(SALU_CYCLE_1)
	s_or_b32 exec_lo, exec_lo, s4
	v_mov_b32_e32 v7, 0
	ds_load_b32 v7, v7 offset:20
	s_wait_dscnt 0x0
	v_mul_f32_e32 v7, v16, v7
.LBB73_170:
	s_or_b32 exec_lo, exec_lo, s3
	v_cmp_gt_u32_e64 s3, 6, v0
	ds_store_b32 v45, v8
	s_wait_dscnt 0x0
	s_barrier_signal -1
	s_barrier_wait -1
	s_and_saveexec_b32 s4, s3
	s_cbranch_execz .LBB73_180
; %bb.171:
	v_cmp_ne_u32_e32 vcc_lo, 1, v15
	s_cbranch_vccnz .LBB73_173
; %bb.172:
	v_cmp_eq_u32_e32 vcc_lo, 1, v0
	ds_load_b32 v13, v45
	v_cndmask_b32_e32 v12, v2, v3, vcc_lo
	v_cmp_eq_u32_e32 vcc_lo, 2, v0
	s_delay_alu instid0(VALU_DEP_2) | instskip(SKIP_1) | instid1(VALU_DEP_2)
	v_cndmask_b32_e32 v12, v12, v4, vcc_lo
	v_cmp_eq_u32_e32 vcc_lo, 3, v0
	v_cndmask_b32_e32 v12, v12, v5, vcc_lo
	v_cmp_eq_u32_e32 vcc_lo, 4, v0
	s_delay_alu instid0(VALU_DEP_2) | instskip(SKIP_1) | instid1(VALU_DEP_2)
	v_cndmask_b32_e32 v12, v12, v6, vcc_lo
	v_cmp_eq_u32_e32 vcc_lo, 5, v0
	;; [unrolled: 5-line block ×4, first 2 shown]
	v_cndmask_b32_e32 v12, v12, v11, vcc_lo
	s_wait_dscnt 0x0
	s_delay_alu instid0(VALU_DEP_1)
	v_mul_f32_e32 v16, v12, v13
	s_cbranch_execz .LBB73_174
	s_branch .LBB73_175
.LBB73_173:
                                        ; implicit-def: $vgpr16
.LBB73_174:
	ds_load_b32 v16, v45
.LBB73_175:
	s_mov_b32 s5, exec_lo
	v_cmpx_ne_u32_e32 5, v0
	s_cbranch_execz .LBB73_179
; %bb.176:
	v_mov_b64_e32 v[12:13], v[0:1]
	v_lshl_add_u32 v17, v0, 2, 52
	s_mov_b32 s6, 0
.LBB73_177:                             ; =>This Inner Loop Header: Depth=1
	s_delay_alu instid0(VALU_DEP_2)
	v_add_nc_u64_e32 v[12:13], 1, v[12:13]
	ds_load_b32 v19, v17
	v_add_nc_u32_e32 v17, 4, v17
	v_cmp_eq_u32_e32 vcc_lo, 1, v12
	v_cndmask_b32_e32 v18, v2, v3, vcc_lo
	v_cmp_eq_u32_e32 vcc_lo, 2, v12
	s_delay_alu instid0(VALU_DEP_2) | instskip(SKIP_1) | instid1(VALU_DEP_2)
	v_cndmask_b32_e32 v18, v18, v4, vcc_lo
	v_cmp_eq_u32_e32 vcc_lo, 3, v12
	v_cndmask_b32_e32 v18, v18, v5, vcc_lo
	v_cmp_eq_u32_e32 vcc_lo, 4, v12
	s_delay_alu instid0(VALU_DEP_2) | instskip(SKIP_1) | instid1(VALU_DEP_2)
	v_cndmask_b32_e32 v18, v18, v6, vcc_lo
	;; [unrolled: 5-line block ×4, first 2 shown]
	v_cmp_eq_u32_e32 vcc_lo, 9, v12
	v_cndmask_b32_e32 v18, v18, v11, vcc_lo
	v_cmp_lt_u32_e32 vcc_lo, 4, v12
	s_wait_dscnt 0x0
	s_delay_alu instid0(VALU_DEP_2) | instskip(SKIP_1) | instid1(SALU_CYCLE_1)
	v_fmac_f32_e32 v16, v18, v19
	s_or_b32 s6, vcc_lo, s6
	s_and_not1_b32 exec_lo, exec_lo, s6
	s_cbranch_execnz .LBB73_177
; %bb.178:
	s_or_b32 exec_lo, exec_lo, s6
.LBB73_179:
	s_delay_alu instid0(SALU_CYCLE_1)
	s_or_b32 exec_lo, exec_lo, s5
	v_mov_b32_e32 v8, 0
	ds_load_b32 v8, v8 offset:24
	s_wait_dscnt 0x0
	v_mul_f32_e32 v8, v16, v8
.LBB73_180:
	s_or_b32 exec_lo, exec_lo, s4
	s_delay_alu instid0(SALU_CYCLE_1)
	s_mov_b32 s4, exec_lo
	ds_store_b32 v45, v9
	s_wait_dscnt 0x0
	s_barrier_signal -1
	s_barrier_wait -1
	v_cmpx_gt_u32_e32 7, v0
	s_cbranch_execz .LBB73_190
; %bb.181:
	v_cmp_ne_u32_e32 vcc_lo, 1, v15
	s_cbranch_vccnz .LBB73_183
; %bb.182:
	v_cmp_eq_u32_e32 vcc_lo, 1, v0
	ds_load_b32 v13, v45
	v_cndmask_b32_e32 v12, v2, v3, vcc_lo
	v_cmp_eq_u32_e32 vcc_lo, 2, v0
	s_delay_alu instid0(VALU_DEP_2) | instskip(SKIP_1) | instid1(VALU_DEP_2)
	v_cndmask_b32_e32 v12, v12, v4, vcc_lo
	v_cmp_eq_u32_e32 vcc_lo, 3, v0
	v_cndmask_b32_e32 v12, v12, v5, vcc_lo
	v_cmp_eq_u32_e32 vcc_lo, 4, v0
	s_delay_alu instid0(VALU_DEP_2) | instskip(SKIP_1) | instid1(VALU_DEP_2)
	v_cndmask_b32_e32 v12, v12, v6, vcc_lo
	v_cmp_eq_u32_e32 vcc_lo, 5, v0
	;; [unrolled: 5-line block ×4, first 2 shown]
	v_cndmask_b32_e32 v12, v12, v11, vcc_lo
	s_wait_dscnt 0x0
	s_delay_alu instid0(VALU_DEP_1)
	v_mul_f32_e32 v16, v12, v13
	s_cbranch_execz .LBB73_184
	s_branch .LBB73_185
.LBB73_183:
                                        ; implicit-def: $vgpr16
.LBB73_184:
	ds_load_b32 v16, v45
.LBB73_185:
	s_mov_b32 s5, exec_lo
	v_cmpx_ne_u32_e32 6, v0
	s_cbranch_execz .LBB73_189
; %bb.186:
	v_mov_b64_e32 v[12:13], v[0:1]
	v_lshl_add_u32 v17, v0, 2, 52
	s_mov_b32 s6, 0
.LBB73_187:                             ; =>This Inner Loop Header: Depth=1
	s_delay_alu instid0(VALU_DEP_2)
	v_add_nc_u64_e32 v[12:13], 1, v[12:13]
	ds_load_b32 v19, v17
	v_add_nc_u32_e32 v17, 4, v17
	v_cmp_eq_u32_e32 vcc_lo, 1, v12
	v_cndmask_b32_e32 v18, v2, v3, vcc_lo
	v_cmp_eq_u32_e32 vcc_lo, 2, v12
	s_delay_alu instid0(VALU_DEP_2) | instskip(SKIP_1) | instid1(VALU_DEP_2)
	v_cndmask_b32_e32 v18, v18, v4, vcc_lo
	v_cmp_eq_u32_e32 vcc_lo, 3, v12
	v_cndmask_b32_e32 v18, v18, v5, vcc_lo
	v_cmp_eq_u32_e32 vcc_lo, 4, v12
	s_delay_alu instid0(VALU_DEP_2) | instskip(SKIP_1) | instid1(VALU_DEP_2)
	v_cndmask_b32_e32 v18, v18, v6, vcc_lo
	;; [unrolled: 5-line block ×4, first 2 shown]
	v_cmp_eq_u32_e32 vcc_lo, 9, v12
	v_cndmask_b32_e32 v18, v18, v11, vcc_lo
	v_cmp_lt_u32_e32 vcc_lo, 5, v12
	s_wait_dscnt 0x0
	s_delay_alu instid0(VALU_DEP_2) | instskip(SKIP_1) | instid1(SALU_CYCLE_1)
	v_fmac_f32_e32 v16, v18, v19
	s_or_b32 s6, vcc_lo, s6
	s_and_not1_b32 exec_lo, exec_lo, s6
	s_cbranch_execnz .LBB73_187
; %bb.188:
	s_or_b32 exec_lo, exec_lo, s6
.LBB73_189:
	s_delay_alu instid0(SALU_CYCLE_1)
	s_or_b32 exec_lo, exec_lo, s5
	v_mov_b32_e32 v9, 0
	ds_load_b32 v9, v9 offset:28
	s_wait_dscnt 0x0
	v_mul_f32_e32 v9, v16, v9
.LBB73_190:
	s_or_b32 exec_lo, exec_lo, s4
	v_cmp_gt_u32_e64 s4, 8, v0
	ds_store_b32 v45, v10
	s_wait_dscnt 0x0
	s_barrier_signal -1
	s_barrier_wait -1
	s_and_saveexec_b32 s5, s4
	s_cbranch_execz .LBB73_200
; %bb.191:
	v_cmp_ne_u32_e32 vcc_lo, 1, v15
	s_cbranch_vccnz .LBB73_193
; %bb.192:
	v_cmp_eq_u32_e32 vcc_lo, 1, v0
	ds_load_b32 v13, v45
	v_cndmask_b32_e32 v12, v2, v3, vcc_lo
	v_cmp_eq_u32_e32 vcc_lo, 2, v0
	s_delay_alu instid0(VALU_DEP_2) | instskip(SKIP_1) | instid1(VALU_DEP_2)
	v_cndmask_b32_e32 v12, v12, v4, vcc_lo
	v_cmp_eq_u32_e32 vcc_lo, 3, v0
	v_cndmask_b32_e32 v12, v12, v5, vcc_lo
	v_cmp_eq_u32_e32 vcc_lo, 4, v0
	s_delay_alu instid0(VALU_DEP_2) | instskip(SKIP_1) | instid1(VALU_DEP_2)
	v_cndmask_b32_e32 v12, v12, v6, vcc_lo
	v_cmp_eq_u32_e32 vcc_lo, 5, v0
	;; [unrolled: 5-line block ×4, first 2 shown]
	v_cndmask_b32_e32 v12, v12, v11, vcc_lo
	s_wait_dscnt 0x0
	s_delay_alu instid0(VALU_DEP_1)
	v_mul_f32_e32 v16, v12, v13
	s_cbranch_execz .LBB73_194
	s_branch .LBB73_195
.LBB73_193:
                                        ; implicit-def: $vgpr16
.LBB73_194:
	ds_load_b32 v16, v45
.LBB73_195:
	s_mov_b32 s6, exec_lo
	v_cmpx_ne_u32_e32 7, v0
	s_cbranch_execz .LBB73_199
; %bb.196:
	v_mov_b64_e32 v[12:13], v[0:1]
	v_lshl_add_u32 v17, v0, 2, 52
	s_mov_b32 s7, 0
.LBB73_197:                             ; =>This Inner Loop Header: Depth=1
	s_delay_alu instid0(VALU_DEP_2)
	v_add_nc_u64_e32 v[12:13], 1, v[12:13]
	ds_load_b32 v18, v17
	v_add_nc_u32_e32 v17, 4, v17
	v_cmp_eq_u32_e32 vcc_lo, 1, v12
	v_cndmask_b32_e32 v1, v2, v3, vcc_lo
	v_cmp_eq_u32_e32 vcc_lo, 2, v12
	s_delay_alu instid0(VALU_DEP_2) | instskip(SKIP_1) | instid1(VALU_DEP_2)
	v_cndmask_b32_e32 v1, v1, v4, vcc_lo
	v_cmp_eq_u32_e32 vcc_lo, 3, v12
	v_cndmask_b32_e32 v1, v1, v5, vcc_lo
	v_cmp_eq_u32_e32 vcc_lo, 4, v12
	s_delay_alu instid0(VALU_DEP_2) | instskip(SKIP_1) | instid1(VALU_DEP_2)
	v_cndmask_b32_e32 v1, v1, v6, vcc_lo
	;; [unrolled: 5-line block ×4, first 2 shown]
	v_cmp_eq_u32_e32 vcc_lo, 9, v12
	v_cndmask_b32_e32 v1, v1, v11, vcc_lo
	v_cmp_lt_u32_e32 vcc_lo, 6, v12
	s_wait_dscnt 0x0
	s_delay_alu instid0(VALU_DEP_2) | instskip(SKIP_1) | instid1(SALU_CYCLE_1)
	v_fmac_f32_e32 v16, v1, v18
	s_or_b32 s7, vcc_lo, s7
	s_and_not1_b32 exec_lo, exec_lo, s7
	s_cbranch_execnz .LBB73_197
; %bb.198:
	s_or_b32 exec_lo, exec_lo, s7
.LBB73_199:
	s_delay_alu instid0(SALU_CYCLE_1)
	s_or_b32 exec_lo, exec_lo, s6
	v_mov_b32_e32 v1, 0
	ds_load_b32 v1, v1 offset:32
	s_wait_dscnt 0x0
	v_mul_f32_e32 v10, v16, v1
.LBB73_200:
	s_or_b32 exec_lo, exec_lo, s5
	s_delay_alu instid0(SALU_CYCLE_1)
	s_mov_b32 s5, exec_lo
	ds_store_b32 v45, v11
	s_wait_dscnt 0x0
	s_barrier_signal -1
	s_barrier_wait -1
	v_cmpx_ne_u32_e32 9, v0
	s_cbranch_execz .LBB73_222
; %bb.201:
	v_cmp_ne_u32_e32 vcc_lo, 1, v15
	s_cbranch_vccnz .LBB73_203
; %bb.202:
	v_cmp_eq_u32_e32 vcc_lo, 1, v0
	ds_load_b32 v12, v45
	v_cndmask_b32_e32 v1, v2, v3, vcc_lo
	v_cmp_eq_u32_e32 vcc_lo, 2, v0
	s_delay_alu instid0(VALU_DEP_2) | instskip(SKIP_1) | instid1(VALU_DEP_2)
	v_cndmask_b32_e32 v1, v1, v4, vcc_lo
	v_cmp_eq_u32_e32 vcc_lo, 3, v0
	v_cndmask_b32_e32 v1, v1, v5, vcc_lo
	v_cmp_eq_u32_e32 vcc_lo, 4, v0
	s_delay_alu instid0(VALU_DEP_2) | instskip(SKIP_1) | instid1(VALU_DEP_2)
	v_cndmask_b32_e32 v1, v1, v6, vcc_lo
	v_cmp_eq_u32_e32 vcc_lo, 5, v0
	;; [unrolled: 5-line block ×4, first 2 shown]
	v_cndmask_b32_e32 v1, v1, v11, vcc_lo
	s_wait_dscnt 0x0
	s_delay_alu instid0(VALU_DEP_1)
	v_mul_f32_e32 v1, v1, v12
	s_cbranch_execz .LBB73_204
	s_branch .LBB73_205
.LBB73_203:
                                        ; implicit-def: $vgpr1
.LBB73_204:
	ds_load_b32 v1, v45
.LBB73_205:
	s_and_saveexec_b32 s6, s4
	s_cbranch_execz .LBB73_221
; %bb.206:
	v_cmp_eq_u32_e32 vcc_lo, 1, v14
	ds_load_b32 v13, v45 offset:4
	s_mov_b32 s4, exec_lo
	v_cndmask_b32_e32 v12, v2, v3, vcc_lo
	v_cmp_eq_u32_e32 vcc_lo, 2, v14
	s_delay_alu instid0(VALU_DEP_2) | instskip(SKIP_1) | instid1(VALU_DEP_2)
	v_cndmask_b32_e32 v12, v12, v4, vcc_lo
	v_cmp_eq_u32_e32 vcc_lo, 3, v14
	v_cndmask_b32_e32 v12, v12, v5, vcc_lo
	v_cmp_eq_u32_e32 vcc_lo, 4, v14
	s_delay_alu instid0(VALU_DEP_2) | instskip(SKIP_1) | instid1(VALU_DEP_2)
	v_cndmask_b32_e32 v12, v12, v6, vcc_lo
	v_cmp_eq_u32_e32 vcc_lo, 5, v14
	;; [unrolled: 5-line block ×4, first 2 shown]
	v_cndmask_b32_e32 v12, v12, v11, vcc_lo
	s_wait_dscnt 0x0
	s_delay_alu instid0(VALU_DEP_1)
	v_fmac_f32_e32 v1, v12, v13
	v_cmpx_ne_u32_e32 7, v0
	s_cbranch_execz .LBB73_220
; %bb.207:
	v_add_nc_u32_e32 v12, 2, v0
	ds_load_b32 v14, v45 offset:8
	v_cmp_eq_u32_e32 vcc_lo, 1, v12
	v_cndmask_b32_e32 v13, v2, v3, vcc_lo
	v_cmp_eq_u32_e32 vcc_lo, 2, v12
	s_delay_alu instid0(VALU_DEP_2) | instskip(SKIP_1) | instid1(VALU_DEP_2)
	v_cndmask_b32_e32 v13, v13, v4, vcc_lo
	v_cmp_eq_u32_e32 vcc_lo, 3, v12
	v_cndmask_b32_e32 v13, v13, v5, vcc_lo
	v_cmp_eq_u32_e32 vcc_lo, 4, v12
	s_delay_alu instid0(VALU_DEP_2) | instskip(SKIP_1) | instid1(VALU_DEP_2)
	v_cndmask_b32_e32 v13, v13, v6, vcc_lo
	;; [unrolled: 5-line block ×4, first 2 shown]
	v_cmp_eq_u32_e32 vcc_lo, 9, v12
	v_cndmask_b32_e32 v12, v13, v11, vcc_lo
	s_wait_dscnt 0x0
	s_delay_alu instid0(VALU_DEP_1)
	v_fmac_f32_e32 v1, v12, v14
	s_and_saveexec_b32 s7, s3
	s_cbranch_execz .LBB73_219
; %bb.208:
	v_add_nc_u32_e32 v12, 3, v0
	ds_load_b32 v14, v45 offset:12
	s_mov_b32 s3, exec_lo
	v_cmp_eq_u32_e32 vcc_lo, 1, v12
	v_cndmask_b32_e32 v13, v2, v3, vcc_lo
	v_cmp_eq_u32_e32 vcc_lo, 2, v12
	s_delay_alu instid0(VALU_DEP_2) | instskip(SKIP_1) | instid1(VALU_DEP_2)
	v_cndmask_b32_e32 v13, v13, v4, vcc_lo
	v_cmp_eq_u32_e32 vcc_lo, 3, v12
	v_cndmask_b32_e32 v13, v13, v5, vcc_lo
	v_cmp_eq_u32_e32 vcc_lo, 4, v12
	s_delay_alu instid0(VALU_DEP_2) | instskip(SKIP_1) | instid1(VALU_DEP_2)
	v_cndmask_b32_e32 v13, v13, v6, vcc_lo
	;; [unrolled: 5-line block ×4, first 2 shown]
	v_cmp_eq_u32_e32 vcc_lo, 9, v12
	v_cndmask_b32_e32 v12, v13, v11, vcc_lo
	s_wait_dscnt 0x0
	s_delay_alu instid0(VALU_DEP_1)
	v_fmac_f32_e32 v1, v12, v14
	v_cmpx_ne_u32_e32 5, v0
	s_cbranch_execz .LBB73_218
; %bb.209:
	v_add_nc_u32_e32 v12, 4, v0
	ds_load_b32 v14, v45 offset:16
	v_cmp_eq_u32_e32 vcc_lo, 1, v12
	v_cndmask_b32_e32 v13, v2, v3, vcc_lo
	v_cmp_eq_u32_e32 vcc_lo, 2, v12
	s_delay_alu instid0(VALU_DEP_2) | instskip(SKIP_1) | instid1(VALU_DEP_2)
	v_cndmask_b32_e32 v13, v13, v4, vcc_lo
	v_cmp_eq_u32_e32 vcc_lo, 3, v12
	v_cndmask_b32_e32 v13, v13, v5, vcc_lo
	v_cmp_eq_u32_e32 vcc_lo, 4, v12
	s_delay_alu instid0(VALU_DEP_2) | instskip(SKIP_1) | instid1(VALU_DEP_2)
	v_cndmask_b32_e32 v13, v13, v6, vcc_lo
	;; [unrolled: 5-line block ×4, first 2 shown]
	v_cmp_eq_u32_e32 vcc_lo, 9, v12
	v_cndmask_b32_e32 v12, v13, v11, vcc_lo
	s_wait_dscnt 0x0
	s_delay_alu instid0(VALU_DEP_1)
	v_fmac_f32_e32 v1, v12, v14
	s_and_saveexec_b32 s8, s2
	s_cbranch_execz .LBB73_217
; %bb.210:
	v_add_nc_u32_e32 v12, 5, v0
	ds_load_b32 v14, v45 offset:20
	s_mov_b32 s2, exec_lo
	v_cmp_eq_u32_e32 vcc_lo, 1, v12
	v_cndmask_b32_e32 v13, v2, v3, vcc_lo
	v_cmp_eq_u32_e32 vcc_lo, 2, v12
	s_delay_alu instid0(VALU_DEP_2) | instskip(SKIP_1) | instid1(VALU_DEP_2)
	v_cndmask_b32_e32 v13, v13, v4, vcc_lo
	v_cmp_eq_u32_e32 vcc_lo, 3, v12
	v_cndmask_b32_e32 v13, v13, v5, vcc_lo
	v_cmp_eq_u32_e32 vcc_lo, 4, v12
	s_delay_alu instid0(VALU_DEP_2) | instskip(SKIP_1) | instid1(VALU_DEP_2)
	v_cndmask_b32_e32 v13, v13, v6, vcc_lo
	;; [unrolled: 5-line block ×4, first 2 shown]
	v_cmp_eq_u32_e32 vcc_lo, 9, v12
	v_cndmask_b32_e32 v12, v13, v11, vcc_lo
	s_wait_dscnt 0x0
	s_delay_alu instid0(VALU_DEP_1)
	v_fmac_f32_e32 v1, v12, v14
	v_cmpx_ne_u32_e32 3, v0
	s_cbranch_execz .LBB73_216
; %bb.211:
	v_add_nc_u32_e32 v12, 6, v0
	ds_load_b32 v14, v45 offset:24
	v_cmp_eq_u32_e32 vcc_lo, 1, v12
	v_cndmask_b32_e32 v13, v2, v3, vcc_lo
	v_cmp_eq_u32_e32 vcc_lo, 2, v12
	s_delay_alu instid0(VALU_DEP_2) | instskip(SKIP_1) | instid1(VALU_DEP_2)
	v_cndmask_b32_e32 v13, v13, v4, vcc_lo
	v_cmp_eq_u32_e32 vcc_lo, 3, v12
	v_cndmask_b32_e32 v13, v13, v5, vcc_lo
	v_cmp_eq_u32_e32 vcc_lo, 4, v12
	s_delay_alu instid0(VALU_DEP_2) | instskip(SKIP_1) | instid1(VALU_DEP_2)
	v_cndmask_b32_e32 v13, v13, v6, vcc_lo
	;; [unrolled: 5-line block ×4, first 2 shown]
	v_cmp_eq_u32_e32 vcc_lo, 9, v12
	v_cndmask_b32_e32 v12, v13, v11, vcc_lo
	s_wait_dscnt 0x0
	s_delay_alu instid0(VALU_DEP_1)
	v_fmac_f32_e32 v1, v12, v14
	s_and_saveexec_b32 s9, s1
	s_cbranch_execz .LBB73_215
; %bb.212:
	v_add_nc_u32_e32 v0, 7, v0
	ds_load_b32 v13, v45 offset:28
	v_cmp_eq_u32_e32 vcc_lo, 1, v0
	v_cndmask_b32_e32 v12, v2, v3, vcc_lo
	v_cmp_eq_u32_e32 vcc_lo, 2, v0
	s_delay_alu instid0(VALU_DEP_2) | instskip(SKIP_1) | instid1(VALU_DEP_2)
	v_cndmask_b32_e32 v12, v12, v4, vcc_lo
	v_cmp_eq_u32_e32 vcc_lo, 3, v0
	v_cndmask_b32_e32 v12, v12, v5, vcc_lo
	v_cmp_eq_u32_e32 vcc_lo, 4, v0
	s_delay_alu instid0(VALU_DEP_2) | instskip(SKIP_1) | instid1(VALU_DEP_2)
	v_cndmask_b32_e32 v12, v12, v6, vcc_lo
	;; [unrolled: 5-line block ×4, first 2 shown]
	v_cmp_eq_u32_e32 vcc_lo, 9, v0
	v_cndmask_b32_e32 v0, v12, v11, vcc_lo
	s_wait_dscnt 0x0
	s_delay_alu instid0(VALU_DEP_1)
	v_fmac_f32_e32 v1, v0, v13
	s_and_saveexec_b32 s1, s0
	s_cbranch_execz .LBB73_214
; %bb.213:
	ds_load_b32 v0, v45 offset:32
	s_wait_dscnt 0x0
	v_fmac_f32_e32 v1, v10, v0
.LBB73_214:
	s_or_b32 exec_lo, exec_lo, s1
.LBB73_215:
	s_delay_alu instid0(SALU_CYCLE_1)
	s_or_b32 exec_lo, exec_lo, s9
.LBB73_216:
	s_delay_alu instid0(SALU_CYCLE_1)
	s_or_b32 exec_lo, exec_lo, s2
.LBB73_217:
	s_delay_alu instid0(SALU_CYCLE_1)
	s_or_b32 exec_lo, exec_lo, s8
.LBB73_218:
	s_delay_alu instid0(SALU_CYCLE_1)
	s_or_b32 exec_lo, exec_lo, s3
.LBB73_219:
	s_delay_alu instid0(SALU_CYCLE_1)
	s_or_b32 exec_lo, exec_lo, s7
.LBB73_220:
	s_delay_alu instid0(SALU_CYCLE_1)
	s_or_b32 exec_lo, exec_lo, s4
.LBB73_221:
	s_delay_alu instid0(SALU_CYCLE_1)
	s_or_b32 exec_lo, exec_lo, s6
	v_mov_b32_e32 v0, 0
	ds_load_b32 v0, v0 offset:36
	s_wait_dscnt 0x0
	v_mul_f32_e32 v11, v1, v0
.LBB73_222:
	s_or_b32 exec_lo, exec_lo, s5
	s_delay_alu instid0(VALU_DEP_1)
	v_mov_b64_e32 v[20:21], v[10:11]
	v_mov_b64_e32 v[18:19], v[8:9]
	;; [unrolled: 1-line block ×5, first 2 shown]
.LBB73_223:
	s_wait_xcnt 0x1
	v_lshl_add_u64 v[0:1], v[22:23], 2, s[10:11]
	s_wait_loadcnt_dscnt 0x102
	v_lshl_add_u64 v[2:3], v[24:25], 2, s[10:11]
	v_lshl_add_u64 v[4:5], v[26:27], 2, s[10:11]
	;; [unrolled: 1-line block ×4, first 2 shown]
	s_wait_loadcnt_dscnt 0x1
	v_lshl_add_u64 v[10:11], v[36:37], 2, s[10:11]
	v_lshl_add_u64 v[22:23], v[38:39], 2, s[10:11]
	;; [unrolled: 1-line block ×3, first 2 shown]
	s_clause 0x9
	flat_store_b32 v[30:31], v12
	flat_store_b32 v[34:35], v13
	;; [unrolled: 1-line block ×10, first 2 shown]
.LBB73_224:
	s_endpgm
	.section	.rodata,"a",@progbits
	.p2align	6, 0x0
	.amdhsa_kernel _ZN9rocsolver6v33100L18trti2_kernel_smallILi10EfPKPfEEv13rocblas_fill_17rocblas_diagonal_T1_iil
		.amdhsa_group_segment_fixed_size 88
		.amdhsa_private_segment_fixed_size 0
		.amdhsa_kernarg_size 32
		.amdhsa_user_sgpr_count 2
		.amdhsa_user_sgpr_dispatch_ptr 0
		.amdhsa_user_sgpr_queue_ptr 0
		.amdhsa_user_sgpr_kernarg_segment_ptr 1
		.amdhsa_user_sgpr_dispatch_id 0
		.amdhsa_user_sgpr_kernarg_preload_length 0
		.amdhsa_user_sgpr_kernarg_preload_offset 0
		.amdhsa_user_sgpr_private_segment_size 0
		.amdhsa_wavefront_size32 1
		.amdhsa_uses_dynamic_stack 0
		.amdhsa_enable_private_segment 0
		.amdhsa_system_sgpr_workgroup_id_x 1
		.amdhsa_system_sgpr_workgroup_id_y 0
		.amdhsa_system_sgpr_workgroup_id_z 0
		.amdhsa_system_sgpr_workgroup_info 0
		.amdhsa_system_vgpr_workitem_id 0
		.amdhsa_next_free_vgpr 57
		.amdhsa_next_free_sgpr 16
		.amdhsa_named_barrier_count 0
		.amdhsa_reserve_vcc 1
		.amdhsa_float_round_mode_32 0
		.amdhsa_float_round_mode_16_64 0
		.amdhsa_float_denorm_mode_32 3
		.amdhsa_float_denorm_mode_16_64 3
		.amdhsa_fp16_overflow 0
		.amdhsa_memory_ordered 1
		.amdhsa_forward_progress 1
		.amdhsa_inst_pref_size 77
		.amdhsa_round_robin_scheduling 0
		.amdhsa_exception_fp_ieee_invalid_op 0
		.amdhsa_exception_fp_denorm_src 0
		.amdhsa_exception_fp_ieee_div_zero 0
		.amdhsa_exception_fp_ieee_overflow 0
		.amdhsa_exception_fp_ieee_underflow 0
		.amdhsa_exception_fp_ieee_inexact 0
		.amdhsa_exception_int_div_zero 0
	.end_amdhsa_kernel
	.section	.text._ZN9rocsolver6v33100L18trti2_kernel_smallILi10EfPKPfEEv13rocblas_fill_17rocblas_diagonal_T1_iil,"axG",@progbits,_ZN9rocsolver6v33100L18trti2_kernel_smallILi10EfPKPfEEv13rocblas_fill_17rocblas_diagonal_T1_iil,comdat
.Lfunc_end73:
	.size	_ZN9rocsolver6v33100L18trti2_kernel_smallILi10EfPKPfEEv13rocblas_fill_17rocblas_diagonal_T1_iil, .Lfunc_end73-_ZN9rocsolver6v33100L18trti2_kernel_smallILi10EfPKPfEEv13rocblas_fill_17rocblas_diagonal_T1_iil
                                        ; -- End function
	.set _ZN9rocsolver6v33100L18trti2_kernel_smallILi10EfPKPfEEv13rocblas_fill_17rocblas_diagonal_T1_iil.num_vgpr, 57
	.set _ZN9rocsolver6v33100L18trti2_kernel_smallILi10EfPKPfEEv13rocblas_fill_17rocblas_diagonal_T1_iil.num_agpr, 0
	.set _ZN9rocsolver6v33100L18trti2_kernel_smallILi10EfPKPfEEv13rocblas_fill_17rocblas_diagonal_T1_iil.numbered_sgpr, 16
	.set _ZN9rocsolver6v33100L18trti2_kernel_smallILi10EfPKPfEEv13rocblas_fill_17rocblas_diagonal_T1_iil.num_named_barrier, 0
	.set _ZN9rocsolver6v33100L18trti2_kernel_smallILi10EfPKPfEEv13rocblas_fill_17rocblas_diagonal_T1_iil.private_seg_size, 0
	.set _ZN9rocsolver6v33100L18trti2_kernel_smallILi10EfPKPfEEv13rocblas_fill_17rocblas_diagonal_T1_iil.uses_vcc, 1
	.set _ZN9rocsolver6v33100L18trti2_kernel_smallILi10EfPKPfEEv13rocblas_fill_17rocblas_diagonal_T1_iil.uses_flat_scratch, 1
	.set _ZN9rocsolver6v33100L18trti2_kernel_smallILi10EfPKPfEEv13rocblas_fill_17rocblas_diagonal_T1_iil.has_dyn_sized_stack, 0
	.set _ZN9rocsolver6v33100L18trti2_kernel_smallILi10EfPKPfEEv13rocblas_fill_17rocblas_diagonal_T1_iil.has_recursion, 0
	.set _ZN9rocsolver6v33100L18trti2_kernel_smallILi10EfPKPfEEv13rocblas_fill_17rocblas_diagonal_T1_iil.has_indirect_call, 0
	.section	.AMDGPU.csdata,"",@progbits
; Kernel info:
; codeLenInByte = 9756
; TotalNumSgprs: 18
; NumVgprs: 57
; ScratchSize: 0
; MemoryBound: 0
; FloatMode: 240
; IeeeMode: 1
; LDSByteSize: 88 bytes/workgroup (compile time only)
; SGPRBlocks: 0
; VGPRBlocks: 3
; NumSGPRsForWavesPerEU: 18
; NumVGPRsForWavesPerEU: 57
; NamedBarCnt: 0
; Occupancy: 16
; WaveLimiterHint : 1
; COMPUTE_PGM_RSRC2:SCRATCH_EN: 0
; COMPUTE_PGM_RSRC2:USER_SGPR: 2
; COMPUTE_PGM_RSRC2:TRAP_HANDLER: 0
; COMPUTE_PGM_RSRC2:TGID_X_EN: 1
; COMPUTE_PGM_RSRC2:TGID_Y_EN: 0
; COMPUTE_PGM_RSRC2:TGID_Z_EN: 0
; COMPUTE_PGM_RSRC2:TIDIG_COMP_CNT: 0
	.section	.text._ZN9rocsolver6v33100L18trti2_kernel_smallILi11EfPKPfEEv13rocblas_fill_17rocblas_diagonal_T1_iil,"axG",@progbits,_ZN9rocsolver6v33100L18trti2_kernel_smallILi11EfPKPfEEv13rocblas_fill_17rocblas_diagonal_T1_iil,comdat
	.globl	_ZN9rocsolver6v33100L18trti2_kernel_smallILi11EfPKPfEEv13rocblas_fill_17rocblas_diagonal_T1_iil ; -- Begin function _ZN9rocsolver6v33100L18trti2_kernel_smallILi11EfPKPfEEv13rocblas_fill_17rocblas_diagonal_T1_iil
	.p2align	8
	.type	_ZN9rocsolver6v33100L18trti2_kernel_smallILi11EfPKPfEEv13rocblas_fill_17rocblas_diagonal_T1_iil,@function
_ZN9rocsolver6v33100L18trti2_kernel_smallILi11EfPKPfEEv13rocblas_fill_17rocblas_diagonal_T1_iil: ; @_ZN9rocsolver6v33100L18trti2_kernel_smallILi11EfPKPfEEv13rocblas_fill_17rocblas_diagonal_T1_iil
; %bb.0:
	s_mov_b32 s2, exec_lo
	v_cmpx_gt_u32_e32 11, v0
	s_cbranch_execz .LBB74_250
; %bb.1:
	s_clause 0x1
	s_load_b64 s[2:3], s[0:1], 0x10
	s_load_b128 s[12:15], s[0:1], 0x0
	s_wait_xcnt 0x0
	s_bfe_u32 s0, ttmp6, 0x4000c
	s_and_b32 s1, ttmp6, 15
	s_add_co_i32 s0, s0, 1
	s_getreg_b32 s4, hwreg(HW_REG_IB_STS2, 6, 4)
	s_mul_i32 s0, ttmp9, s0
	v_mov_b32_e32 v1, 0
	s_add_co_i32 s0, s1, s0
	s_delay_alu instid0(VALU_DEP_1)
	v_dual_mov_b32 v15, v1 :: v_dual_lshlrev_b32 v14, 2, v0
	s_wait_kmcnt 0x0
	s_ashr_i32 s1, s2, 31
	s_cmp_eq_u32 s4, 0
	v_add3_u32 v26, s3, s3, v0
	s_cselect_b32 s4, ttmp9, s0
	s_mov_b32 s0, s2
	s_ashr_i32 s5, s4, 31
	s_lshl_b64 s[0:1], s[0:1], 2
	s_lshl_b64 s[4:5], s[4:5], 3
	v_add_nc_u32_e32 v28, s3, v26
	s_add_nc_u64 s[4:5], s[14:15], s[4:5]
	s_load_b64 s[4:5], s[4:5], 0x0
	s_delay_alu instid0(VALU_DEP_1) | instskip(NEXT) | instid1(VALU_DEP_1)
	v_add_nc_u32_e32 v30, s3, v28
	v_add_nc_u32_e32 v32, s3, v30
	s_delay_alu instid0(VALU_DEP_1) | instskip(NEXT) | instid1(VALU_DEP_1)
	v_add_nc_u32_e32 v34, s3, v32
	v_add_nc_u32_e32 v38, s3, v34
	s_wait_kmcnt 0x0
	s_add_nc_u64 s[14:15], s[4:5], s[0:1]
	s_mov_b32 s0, s3
	v_add_nc_u64_e32 v[36:37], s[14:15], v[14:15]
	v_add_nc_u32_e32 v42, s3, v38
	s_ashr_i32 s1, s3, 31
	v_mov_b32_e32 v15, -1.0
	s_cmp_lg_u32 s13, 0x84
	s_delay_alu instid0(VALU_DEP_2) | instskip(NEXT) | instid1(VALU_DEP_4)
	v_add_nc_u32_e32 v44, s3, v42
	v_lshl_add_u64 v[40:41], s[0:1], 2, v[36:37]
	v_cmp_eq_u32_e64 s0, 0, v0
	s_cselect_b32 s11, -1, 0
	s_cmp_eq_u32 s13, 0x84
	v_add_nc_u32_e32 v46, s3, v44
	s_clause 0xa
	flat_load_b32 v3, v[40:41]
	flat_load_b32 v4, v26, s[14:15] scale_offset
	flat_load_b32 v5, v28, s[14:15] scale_offset
	;; [unrolled: 1-line block ×10, first 2 shown]
	s_cbranch_scc1 .LBB74_3
; %bb.2:
	v_cmp_eq_u32_e64 s1, 1, v0
	v_cmp_eq_u32_e64 s2, 2, v0
	;; [unrolled: 1-line block ×5, first 2 shown]
	s_wait_loadcnt_dscnt 0x202
	v_cndmask_b32_e64 v13, v2, v3, s1
	v_cmp_eq_u32_e64 s6, 6, v0
	v_cmp_eq_u32_e64 s7, 7, v0
	;; [unrolled: 1-line block ×4, first 2 shown]
	v_cndmask_b32_e64 v13, v13, v4, s2
	v_cmp_eq_u32_e64 s10, 10, v0
	s_delay_alu instid0(VALU_DEP_2) | instskip(NEXT) | instid1(VALU_DEP_1)
	v_cndmask_b32_e64 v13, v13, v5, s3
	v_cndmask_b32_e64 v13, v13, v6, s4
	s_delay_alu instid0(VALU_DEP_1) | instskip(NEXT) | instid1(VALU_DEP_1)
	v_cndmask_b32_e64 v13, v13, v7, s5
	v_cndmask_b32_e64 v13, v13, v8, s6
	s_delay_alu instid0(VALU_DEP_1) | instskip(NEXT) | instid1(VALU_DEP_1)
	v_cndmask_b32_e64 v13, v13, v9, s7
	v_cndmask_b32_e64 v13, v13, v10, s8
	s_wait_loadcnt_dscnt 0x101
	s_delay_alu instid0(VALU_DEP_1) | instskip(SKIP_1) | instid1(VALU_DEP_1)
	v_cndmask_b32_e64 v13, v13, v11, s9
	s_wait_loadcnt_dscnt 0x0
	v_cndmask_b32_e64 v13, v13, v12, s10
	s_delay_alu instid0(VALU_DEP_1) | instskip(SKIP_1) | instid1(VALU_DEP_2)
	v_div_scale_f32 v15, null, v13, v13, 1.0
	v_div_scale_f32 v18, vcc_lo, 1.0, v13, 1.0
	v_rcp_f32_e32 v16, v15
	v_nop
	s_delay_alu instid0(TRANS32_DEP_1) | instskip(NEXT) | instid1(VALU_DEP_1)
	v_fma_f32 v17, -v15, v16, 1.0
	v_fmac_f32_e32 v16, v17, v16
	s_delay_alu instid0(VALU_DEP_1) | instskip(NEXT) | instid1(VALU_DEP_1)
	v_mul_f32_e32 v17, v18, v16
	v_fma_f32 v19, -v15, v17, v18
	s_delay_alu instid0(VALU_DEP_1) | instskip(NEXT) | instid1(VALU_DEP_1)
	v_fmac_f32_e32 v17, v19, v16
	v_fma_f32 v15, -v15, v17, v18
	s_delay_alu instid0(VALU_DEP_1) | instskip(NEXT) | instid1(VALU_DEP_1)
	v_div_fmas_f32 v15, v15, v16, v17
	v_div_fixup_f32 v13, v15, v13, 1.0
	s_delay_alu instid0(VALU_DEP_1)
	v_dual_cndmask_b32 v12, v12, v13, s10 :: v_dual_cndmask_b32 v11, v11, v13, s9
	v_dual_cndmask_b32 v10, v10, v13, s8 :: v_dual_cndmask_b32 v9, v9, v13, s7
	;; [unrolled: 1-line block ×5, first 2 shown]
	v_cndmask_b32_e64 v2, v2, v13, s0
	v_xor_b32_e32 v15, 0x80000000, v13
.LBB74_3:
	v_dual_ashrrev_i32 v27, 31, v26 :: v_dual_ashrrev_i32 v29, 31, v28
	v_dual_ashrrev_i32 v31, 31, v30 :: v_dual_ashrrev_i32 v33, 31, v32
	v_dual_ashrrev_i32 v35, 31, v34 :: v_dual_ashrrev_i32 v45, 31, v44
	v_ashrrev_i32_e32 v39, 31, v38
	v_ashrrev_i32_e32 v43, 31, v42
	;; [unrolled: 1-line block ×3, first 2 shown]
	v_add_nc_u32_e32 v13, 48, v14
	s_cmp_eq_u32 s12, 0x79
	ds_store_b32 v14, v15
	s_cbranch_scc1 .LBB74_7
; %bb.4:
	s_wait_loadcnt_dscnt 0x1
	v_dual_mov_b32 v24, v12 :: v_dual_mov_b32 v23, v11
	v_dual_mov_b32 v22, v10 :: v_dual_mov_b32 v21, v9
	;; [unrolled: 1-line block ×5, first 2 shown]
	v_mov_b32_e32 v14, v2
	v_cmp_eq_u32_e64 s1, 10, v0
	ds_store_b32 v13, v11
	s_wait_dscnt 0x0
	s_barrier_signal -1
	s_barrier_wait -1
	s_and_saveexec_b32 s0, s1
	s_cbranch_execz .LBB74_11
; %bb.5:
	s_and_b32 vcc_lo, exec_lo, s11
	s_cbranch_vccz .LBB74_8
; %bb.6:
	v_cmp_eq_u32_e32 vcc_lo, 1, v0
	ds_load_b32 v15, v13
	v_cndmask_b32_e32 v14, v2, v3, vcc_lo
	v_cmp_eq_u32_e32 vcc_lo, 2, v0
	s_delay_alu instid0(VALU_DEP_2) | instskip(SKIP_1) | instid1(VALU_DEP_2)
	v_cndmask_b32_e32 v14, v14, v4, vcc_lo
	v_cmp_eq_u32_e32 vcc_lo, 3, v0
	v_cndmask_b32_e32 v14, v14, v5, vcc_lo
	v_cmp_eq_u32_e32 vcc_lo, 4, v0
	s_delay_alu instid0(VALU_DEP_2) | instskip(SKIP_1) | instid1(VALU_DEP_2)
	v_cndmask_b32_e32 v14, v14, v6, vcc_lo
	v_cmp_eq_u32_e32 vcc_lo, 5, v0
	v_cndmask_b32_e32 v14, v14, v7, vcc_lo
	v_cmp_eq_u32_e32 vcc_lo, 6, v0
	s_delay_alu instid0(VALU_DEP_2) | instskip(SKIP_1) | instid1(VALU_DEP_2)
	v_cndmask_b32_e32 v14, v14, v8, vcc_lo
	v_cmp_eq_u32_e32 vcc_lo, 7, v0
	v_cndmask_b32_e32 v14, v14, v9, vcc_lo
	v_cmp_eq_u32_e32 vcc_lo, 8, v0
	s_delay_alu instid0(VALU_DEP_2) | instskip(SKIP_1) | instid1(VALU_DEP_2)
	v_cndmask_b32_e32 v14, v14, v10, vcc_lo
	v_cmp_eq_u32_e32 vcc_lo, 9, v0
	v_cndmask_b32_e32 v14, v14, v11, vcc_lo
	v_cmp_eq_u32_e32 vcc_lo, 10, v0
	s_delay_alu instid0(VALU_DEP_2) | instskip(SKIP_1) | instid1(VALU_DEP_1)
	v_cndmask_b32_e32 v14, v14, v12, vcc_lo
	s_wait_dscnt 0x0
	v_mul_f32_e32 v14, v14, v15
	s_cbranch_execz .LBB74_9
	s_branch .LBB74_10
.LBB74_7:
                                        ; implicit-def: $vgpr14_vgpr15_vgpr16_vgpr17_vgpr18_vgpr19_vgpr20_vgpr21_vgpr22_vgpr23_vgpr24
	s_cbranch_execnz .LBB74_146
	s_branch .LBB74_249
.LBB74_8:
                                        ; implicit-def: $vgpr14
.LBB74_9:
	ds_load_b32 v14, v13
.LBB74_10:
	v_mov_b32_e32 v15, 0
	ds_load_b32 v15, v15 offset:36
	s_wait_dscnt 0x0
	v_dual_mul_f32 v25, v14, v15 :: v_dual_mov_b32 v24, v12
	v_dual_mov_b32 v23, v11 :: v_dual_mov_b32 v22, v10
	v_dual_mov_b32 v21, v9 :: v_dual_mov_b32 v20, v8
	;; [unrolled: 1-line block ×5, first 2 shown]
	v_mov_b32_e32 v23, v25
.LBB74_11:
	s_or_b32 exec_lo, exec_lo, s0
	v_cmp_lt_u32_e64 s0, 8, v0
	ds_store_b32 v13, v22
	s_wait_dscnt 0x0
	s_barrier_signal -1
	s_barrier_wait -1
	s_and_saveexec_b32 s2, s0
	s_cbranch_execz .LBB74_17
; %bb.12:
	s_and_not1_b32 vcc_lo, exec_lo, s11
	s_cbranch_vccnz .LBB74_14
; %bb.13:
	v_cmp_eq_u32_e32 vcc_lo, 1, v0
	ds_load_b32 v48, v13
	v_cndmask_b32_e32 v25, v14, v15, vcc_lo
	v_cmp_eq_u32_e32 vcc_lo, 2, v0
	s_delay_alu instid0(VALU_DEP_2) | instskip(SKIP_1) | instid1(VALU_DEP_2)
	v_cndmask_b32_e32 v25, v25, v16, vcc_lo
	v_cmp_eq_u32_e32 vcc_lo, 3, v0
	v_cndmask_b32_e32 v25, v25, v17, vcc_lo
	v_cmp_eq_u32_e32 vcc_lo, 4, v0
	s_delay_alu instid0(VALU_DEP_2) | instskip(SKIP_1) | instid1(VALU_DEP_2)
	v_cndmask_b32_e32 v25, v25, v18, vcc_lo
	v_cmp_eq_u32_e32 vcc_lo, 5, v0
	;; [unrolled: 5-line block ×4, first 2 shown]
	v_cndmask_b32_e32 v22, v22, v23, vcc_lo
	v_cmp_eq_u32_e32 vcc_lo, 10, v0
	s_delay_alu instid0(VALU_DEP_2) | instskip(SKIP_1) | instid1(VALU_DEP_1)
	v_cndmask_b32_e32 v22, v22, v24, vcc_lo
	s_wait_dscnt 0x0
	v_mul_f32_e32 v22, v22, v48
	s_cbranch_execz .LBB74_15
	s_branch .LBB74_16
.LBB74_14:
                                        ; implicit-def: $vgpr22
.LBB74_15:
	ds_load_b32 v22, v13
.LBB74_16:
	v_mov_b32_e32 v25, 0
	ds_load_2addr_b32 v[48:49], v25 offset0:8 offset1:21
	s_wait_dscnt 0x0
	v_fma_f32 v25, v23, v49, v22
	s_delay_alu instid0(VALU_DEP_1) | instskip(NEXT) | instid1(VALU_DEP_1)
	v_cndmask_b32_e64 v22, v22, v25, s1
	v_mul_f32_e32 v22, v22, v48
.LBB74_17:
	s_or_b32 exec_lo, exec_lo, s2
	v_cmp_lt_u32_e64 s1, 7, v0
	ds_store_b32 v13, v21
	s_wait_dscnt 0x0
	s_barrier_signal -1
	s_barrier_wait -1
	s_and_saveexec_b32 s4, s1
	s_cbranch_execz .LBB74_33
; %bb.18:
	s_and_not1_b32 vcc_lo, exec_lo, s11
	s_cbranch_vccnz .LBB74_20
; %bb.19:
	v_cmp_eq_u32_e32 vcc_lo, 1, v0
	ds_load_b32 v48, v13
	v_cndmask_b32_e32 v25, v14, v15, vcc_lo
	v_cmp_eq_u32_e32 vcc_lo, 2, v0
	s_delay_alu instid0(VALU_DEP_2) | instskip(SKIP_1) | instid1(VALU_DEP_2)
	v_cndmask_b32_e32 v25, v25, v16, vcc_lo
	v_cmp_eq_u32_e32 vcc_lo, 3, v0
	v_cndmask_b32_e32 v25, v25, v17, vcc_lo
	v_cmp_eq_u32_e32 vcc_lo, 4, v0
	s_delay_alu instid0(VALU_DEP_2) | instskip(SKIP_1) | instid1(VALU_DEP_2)
	v_cndmask_b32_e32 v25, v25, v18, vcc_lo
	v_cmp_eq_u32_e32 vcc_lo, 5, v0
	v_cndmask_b32_e32 v25, v25, v19, vcc_lo
	v_cmp_eq_u32_e32 vcc_lo, 6, v0
	s_delay_alu instid0(VALU_DEP_2) | instskip(SKIP_1) | instid1(VALU_DEP_2)
	v_cndmask_b32_e32 v25, v25, v20, vcc_lo
	v_cmp_eq_u32_e32 vcc_lo, 7, v0
	v_cndmask_b32_e32 v25, v25, v21, vcc_lo
	v_cmp_eq_u32_e32 vcc_lo, 8, v0
	s_delay_alu instid0(VALU_DEP_2) | instskip(SKIP_1) | instid1(VALU_DEP_2)
	v_cndmask_b32_e32 v25, v25, v22, vcc_lo
	v_cmp_eq_u32_e32 vcc_lo, 9, v0
	v_cndmask_b32_e32 v25, v25, v23, vcc_lo
	v_cmp_eq_u32_e32 vcc_lo, 10, v0
	s_delay_alu instid0(VALU_DEP_2) | instskip(SKIP_1) | instid1(VALU_DEP_1)
	v_cndmask_b32_e32 v25, v25, v24, vcc_lo
	s_wait_dscnt 0x0
	v_mul_f32_e32 v25, v25, v48
	s_cbranch_execz .LBB74_21
	s_branch .LBB74_22
.LBB74_20:
                                        ; implicit-def: $vgpr25
.LBB74_21:
	ds_load_b32 v25, v13
.LBB74_22:
	s_and_saveexec_b32 s5, s0
	s_cbranch_execz .LBB74_32
; %bb.23:
	v_add_nc_u32_e32 v48, -9, v0
	s_delay_alu instid0(VALU_DEP_1)
	v_cmp_lt_u32_e32 vcc_lo, 6, v48
	v_mov_b32_e32 v48, 8
	s_and_saveexec_b32 s0, vcc_lo
	s_cbranch_execz .LBB74_27
; %bb.24:
	v_bfe_u32 v48, v0, 3, 1
	v_mov_b32_e32 v49, 0
	s_mov_b64 s[2:3], 0xfffffff8
	s_movk_i32 s7, 0x50
	s_mov_b32 s6, 0
	s_delay_alu instid0(VALU_DEP_1)
	v_mul_u64_e32 v[50:51], s[2:3], v[48:49]
	s_mov_b64 s[2:3], 15
.LBB74_25:                              ; =>This Inner Loop Header: Depth=1
	s_delay_alu instid0(SALU_CYCLE_1)
	s_add_co_i32 m0, s2, -7
	v_movrels_b32_e32 v49, v14
	v_mov_b32_e32 v48, s7
	s_add_co_i32 m0, s2, -6
	s_add_co_i32 s7, s7, 32
	v_movrels_b32_e32 v51, v14
	s_add_co_i32 m0, s2, -5
	ds_load_b128 v[52:55], v48
	ds_load_b128 v[56:59], v48 offset:16
	v_movrels_b32_e32 v48, v14
	s_add_co_i32 m0, s2, -4
	s_wait_dscnt 0x1
	v_fmac_f32_e32 v25, v49, v52
	v_movrels_b32_e32 v49, v14
	s_add_co_i32 m0, s2, -3
	s_delay_alu instid0(VALU_DEP_2) | instskip(NEXT) | instid1(VALU_DEP_1)
	v_fmac_f32_e32 v25, v51, v53
	v_fmac_f32_e32 v25, v48, v54
	v_movrels_b32_e32 v48, v14
	s_add_co_i32 m0, s2, -2
	s_delay_alu instid0(VALU_DEP_2) | instskip(SKIP_3) | instid1(VALU_DEP_2)
	v_fmac_f32_e32 v25, v49, v55
	v_movrels_b32_e32 v49, v14
	s_add_co_i32 m0, s2, -1
	s_wait_dscnt 0x0
	v_fmac_f32_e32 v25, v48, v56
	v_movrels_b32_e32 v48, v14
	s_mov_b32 m0, s2
	s_add_nc_u64 s[2:3], s[2:3], 8
	v_movrels_b32_e32 v51, v14
	v_dual_fmac_f32 v25, v49, v57 :: v_dual_add_nc_u32 v49, s2, v50
	s_add_co_i32 s8, s2, -7
	s_delay_alu instid0(VALU_DEP_1) | instskip(NEXT) | instid1(VALU_DEP_2)
	v_fmac_f32_e32 v25, v48, v58
	v_cmp_eq_u32_e32 vcc_lo, 7, v49
	s_delay_alu instid0(VALU_DEP_2) | instskip(SKIP_1) | instid1(SALU_CYCLE_1)
	v_dual_mov_b32 v48, s8 :: v_dual_fmac_f32 v25, v51, v59
	s_or_b32 s6, vcc_lo, s6
	s_and_not1_b32 exec_lo, exec_lo, s6
	s_cbranch_execnz .LBB74_25
; %bb.26:
	s_or_b32 exec_lo, exec_lo, s6
.LBB74_27:
	s_delay_alu instid0(SALU_CYCLE_1) | instskip(SKIP_3) | instid1(VALU_DEP_1)
	s_or_b32 exec_lo, exec_lo, s0
	v_and_b32_e32 v50, 7, v0
	s_mov_b32 s2, 0
	s_mov_b32 s0, exec_lo
	v_cmpx_ne_u32_e32 0, v50
	s_cbranch_execz .LBB74_31
; %bb.28:
	v_lshl_add_u32 v51, v48, 2, 48
	v_mov_b32_e32 v49, 0
.LBB74_29:                              ; =>This Inner Loop Header: Depth=1
	v_cmp_eq_u32_e32 vcc_lo, 1, v48
	ds_load_b32 v53, v51
	v_dual_add_nc_u32 v50, -1, v50 :: v_dual_add_nc_u32 v51, 4, v51
	v_cndmask_b32_e32 v52, v14, v15, vcc_lo
	v_cmp_eq_u32_e32 vcc_lo, 2, v48
	s_delay_alu instid0(VALU_DEP_2) | instskip(SKIP_1) | instid1(VALU_DEP_2)
	v_cndmask_b32_e32 v52, v52, v16, vcc_lo
	v_cmp_eq_u32_e32 vcc_lo, 3, v48
	v_cndmask_b32_e32 v52, v52, v17, vcc_lo
	v_cmp_eq_u32_e32 vcc_lo, 4, v48
	s_delay_alu instid0(VALU_DEP_2) | instskip(SKIP_1) | instid1(VALU_DEP_2)
	v_cndmask_b32_e32 v52, v52, v18, vcc_lo
	v_cmp_eq_u32_e32 vcc_lo, 5, v48
	;; [unrolled: 5-line block ×4, first 2 shown]
	v_cndmask_b32_e32 v52, v52, v23, vcc_lo
	v_cmp_eq_u32_e32 vcc_lo, 10, v48
	v_add_nc_u64_e32 v[48:49], 1, v[48:49]
	s_delay_alu instid0(VALU_DEP_3) | instskip(SKIP_2) | instid1(VALU_DEP_2)
	v_cndmask_b32_e32 v52, v52, v24, vcc_lo
	v_cmp_eq_u32_e32 vcc_lo, 0, v50
	s_wait_dscnt 0x0
	v_fmac_f32_e32 v25, v52, v53
	s_or_b32 s2, vcc_lo, s2
	s_delay_alu instid0(SALU_CYCLE_1)
	s_and_not1_b32 exec_lo, exec_lo, s2
	s_cbranch_execnz .LBB74_29
; %bb.30:
	s_or_b32 exec_lo, exec_lo, s2
.LBB74_31:
	s_delay_alu instid0(SALU_CYCLE_1)
	s_or_b32 exec_lo, exec_lo, s0
.LBB74_32:
	s_delay_alu instid0(SALU_CYCLE_1)
	s_or_b32 exec_lo, exec_lo, s5
	v_mov_b32_e32 v21, 0
	ds_load_b32 v21, v21 offset:28
	s_wait_dscnt 0x0
	v_mul_f32_e32 v21, v25, v21
.LBB74_33:
	s_or_b32 exec_lo, exec_lo, s4
	v_cmp_lt_u32_e64 s0, 6, v0
	ds_store_b32 v13, v20
	s_wait_dscnt 0x0
	s_barrier_signal -1
	s_barrier_wait -1
	s_and_saveexec_b32 s4, s0
	s_cbranch_execz .LBB74_49
; %bb.34:
	s_and_not1_b32 vcc_lo, exec_lo, s11
	s_cbranch_vccnz .LBB74_36
; %bb.35:
	v_cmp_eq_u32_e32 vcc_lo, 1, v0
	ds_load_b32 v48, v13
	v_cndmask_b32_e32 v25, v14, v15, vcc_lo
	v_cmp_eq_u32_e32 vcc_lo, 2, v0
	s_delay_alu instid0(VALU_DEP_2) | instskip(SKIP_1) | instid1(VALU_DEP_2)
	v_cndmask_b32_e32 v25, v25, v16, vcc_lo
	v_cmp_eq_u32_e32 vcc_lo, 3, v0
	v_cndmask_b32_e32 v25, v25, v17, vcc_lo
	v_cmp_eq_u32_e32 vcc_lo, 4, v0
	s_delay_alu instid0(VALU_DEP_2) | instskip(SKIP_1) | instid1(VALU_DEP_2)
	v_cndmask_b32_e32 v25, v25, v18, vcc_lo
	v_cmp_eq_u32_e32 vcc_lo, 5, v0
	;; [unrolled: 5-line block ×4, first 2 shown]
	v_cndmask_b32_e32 v25, v25, v23, vcc_lo
	v_cmp_eq_u32_e32 vcc_lo, 10, v0
	s_delay_alu instid0(VALU_DEP_2) | instskip(SKIP_1) | instid1(VALU_DEP_1)
	v_cndmask_b32_e32 v25, v25, v24, vcc_lo
	s_wait_dscnt 0x0
	v_mul_f32_e32 v25, v25, v48
	s_cbranch_execz .LBB74_37
	s_branch .LBB74_38
.LBB74_36:
                                        ; implicit-def: $vgpr25
.LBB74_37:
	ds_load_b32 v25, v13
.LBB74_38:
	s_and_saveexec_b32 s5, s1
	s_cbranch_execz .LBB74_48
; %bb.39:
	v_dual_add_nc_u32 v48, -8, v0 :: v_dual_add_nc_u32 v49, -7, v0
	s_delay_alu instid0(VALU_DEP_1)
	v_cmp_lt_u32_e32 vcc_lo, 6, v48
	v_mov_b32_e32 v48, 7
	s_and_saveexec_b32 s1, vcc_lo
	s_cbranch_execz .LBB74_43
; %bb.40:
	v_and_b32_e32 v48, -8, v49
	s_mov_b32 s6, 0
	s_mov_b64 s[2:3], 14
	s_movk_i32 s7, 0x4c
	s_delay_alu instid0(VALU_DEP_1)
	v_sub_nc_u32_e32 v50, 0, v48
.LBB74_41:                              ; =>This Inner Loop Header: Depth=1
	s_add_co_i32 m0, s2, -7
	v_movrels_b32_e32 v51, v14
	v_mov_b32_e32 v48, s7
	s_add_co_i32 m0, s2, -6
	s_add_co_i32 s7, s7, 32
	v_movrels_b32_e32 v60, v14
	ds_load_2addr_b32 v[52:53], v48 offset1:1
	ds_load_2addr_b32 v[54:55], v48 offset0:2 offset1:3
	s_add_co_i32 m0, s2, -5
	s_wait_dscnt 0x1
	v_fmac_f32_e32 v25, v51, v52
	ds_load_2addr_b32 v[56:57], v48 offset0:4 offset1:5
	ds_load_2addr_b32 v[58:59], v48 offset0:6 offset1:7
	v_movrels_b32_e32 v48, v14
	s_add_co_i32 m0, s2, -4
	v_fmac_f32_e32 v25, v60, v53
	v_movrels_b32_e32 v51, v14
	s_add_co_i32 m0, s2, -3
	s_wait_dscnt 0x2
	s_delay_alu instid0(VALU_DEP_2) | instskip(SKIP_2) | instid1(VALU_DEP_2)
	v_fmac_f32_e32 v25, v48, v54
	v_movrels_b32_e32 v48, v14
	s_add_co_i32 m0, s2, -2
	v_fmac_f32_e32 v25, v51, v55
	v_movrels_b32_e32 v51, v14
	s_add_co_i32 m0, s2, -1
	s_wait_dscnt 0x1
	s_delay_alu instid0(VALU_DEP_2)
	v_fmac_f32_e32 v25, v48, v56
	v_movrels_b32_e32 v48, v14
	s_mov_b32 m0, s2
	s_add_nc_u64 s[2:3], s[2:3], 8
	v_movrels_b32_e32 v52, v14
	v_dual_fmac_f32 v25, v51, v57 :: v_dual_add_nc_u32 v51, s2, v50
	s_add_co_i32 s8, s2, -7
	s_wait_dscnt 0x0
	s_delay_alu instid0(VALU_DEP_1) | instskip(NEXT) | instid1(VALU_DEP_2)
	v_fmac_f32_e32 v25, v48, v58
	v_cmp_eq_u32_e32 vcc_lo, 14, v51
	s_delay_alu instid0(VALU_DEP_2) | instskip(SKIP_1) | instid1(SALU_CYCLE_1)
	v_dual_mov_b32 v48, s8 :: v_dual_fmac_f32 v25, v52, v59
	s_or_b32 s6, vcc_lo, s6
	s_and_not1_b32 exec_lo, exec_lo, s6
	s_cbranch_execnz .LBB74_41
; %bb.42:
	s_or_b32 exec_lo, exec_lo, s6
.LBB74_43:
	s_delay_alu instid0(SALU_CYCLE_1) | instskip(SKIP_3) | instid1(VALU_DEP_1)
	s_or_b32 exec_lo, exec_lo, s1
	v_and_b32_e32 v50, 7, v49
	s_mov_b32 s2, 0
	s_mov_b32 s1, exec_lo
	v_cmpx_ne_u32_e32 0, v50
	s_cbranch_execz .LBB74_47
; %bb.44:
	v_lshl_add_u32 v51, v48, 2, 48
	v_mov_b32_e32 v49, 0
.LBB74_45:                              ; =>This Inner Loop Header: Depth=1
	v_cmp_eq_u32_e32 vcc_lo, 1, v48
	ds_load_b32 v53, v51
	v_dual_add_nc_u32 v50, -1, v50 :: v_dual_add_nc_u32 v51, 4, v51
	v_cndmask_b32_e32 v52, v14, v15, vcc_lo
	v_cmp_eq_u32_e32 vcc_lo, 2, v48
	s_delay_alu instid0(VALU_DEP_2) | instskip(SKIP_1) | instid1(VALU_DEP_2)
	v_cndmask_b32_e32 v52, v52, v16, vcc_lo
	v_cmp_eq_u32_e32 vcc_lo, 3, v48
	v_cndmask_b32_e32 v52, v52, v17, vcc_lo
	v_cmp_eq_u32_e32 vcc_lo, 4, v48
	s_delay_alu instid0(VALU_DEP_2) | instskip(SKIP_1) | instid1(VALU_DEP_2)
	v_cndmask_b32_e32 v52, v52, v18, vcc_lo
	v_cmp_eq_u32_e32 vcc_lo, 5, v48
	;; [unrolled: 5-line block ×4, first 2 shown]
	v_cndmask_b32_e32 v52, v52, v23, vcc_lo
	v_cmp_eq_u32_e32 vcc_lo, 10, v48
	v_add_nc_u64_e32 v[48:49], 1, v[48:49]
	s_delay_alu instid0(VALU_DEP_3) | instskip(SKIP_2) | instid1(VALU_DEP_2)
	v_cndmask_b32_e32 v52, v52, v24, vcc_lo
	v_cmp_eq_u32_e32 vcc_lo, 0, v50
	s_wait_dscnt 0x0
	v_fmac_f32_e32 v25, v52, v53
	s_or_b32 s2, vcc_lo, s2
	s_delay_alu instid0(SALU_CYCLE_1)
	s_and_not1_b32 exec_lo, exec_lo, s2
	s_cbranch_execnz .LBB74_45
; %bb.46:
	s_or_b32 exec_lo, exec_lo, s2
.LBB74_47:
	s_delay_alu instid0(SALU_CYCLE_1)
	s_or_b32 exec_lo, exec_lo, s1
.LBB74_48:
	s_delay_alu instid0(SALU_CYCLE_1)
	s_or_b32 exec_lo, exec_lo, s5
	v_mov_b32_e32 v20, 0
	ds_load_b32 v20, v20 offset:24
	s_wait_dscnt 0x0
	v_mul_f32_e32 v20, v25, v20
.LBB74_49:
	s_or_b32 exec_lo, exec_lo, s4
	v_cmp_lt_u32_e64 s1, 5, v0
	ds_store_b32 v13, v19
	s_wait_dscnt 0x0
	s_barrier_signal -1
	s_barrier_wait -1
	s_and_saveexec_b32 s4, s1
	s_cbranch_execz .LBB74_65
; %bb.50:
	s_and_not1_b32 vcc_lo, exec_lo, s11
	s_cbranch_vccnz .LBB74_52
; %bb.51:
	v_cmp_eq_u32_e32 vcc_lo, 1, v0
	ds_load_b32 v48, v13
	v_cndmask_b32_e32 v25, v14, v15, vcc_lo
	v_cmp_eq_u32_e32 vcc_lo, 2, v0
	s_delay_alu instid0(VALU_DEP_2) | instskip(SKIP_1) | instid1(VALU_DEP_2)
	v_cndmask_b32_e32 v25, v25, v16, vcc_lo
	v_cmp_eq_u32_e32 vcc_lo, 3, v0
	v_cndmask_b32_e32 v25, v25, v17, vcc_lo
	v_cmp_eq_u32_e32 vcc_lo, 4, v0
	s_delay_alu instid0(VALU_DEP_2) | instskip(SKIP_1) | instid1(VALU_DEP_2)
	v_cndmask_b32_e32 v25, v25, v18, vcc_lo
	v_cmp_eq_u32_e32 vcc_lo, 5, v0
	;; [unrolled: 5-line block ×4, first 2 shown]
	v_cndmask_b32_e32 v25, v25, v23, vcc_lo
	v_cmp_eq_u32_e32 vcc_lo, 10, v0
	s_delay_alu instid0(VALU_DEP_2) | instskip(SKIP_1) | instid1(VALU_DEP_1)
	v_cndmask_b32_e32 v25, v25, v24, vcc_lo
	s_wait_dscnt 0x0
	v_mul_f32_e32 v25, v25, v48
	s_cbranch_execz .LBB74_53
	s_branch .LBB74_54
.LBB74_52:
                                        ; implicit-def: $vgpr25
.LBB74_53:
	ds_load_b32 v25, v13
.LBB74_54:
	s_and_saveexec_b32 s5, s0
	s_cbranch_execz .LBB74_64
; %bb.55:
	v_dual_add_nc_u32 v50, -7, v0 :: v_dual_add_nc_u32 v49, -6, v0
	v_mov_b32_e32 v48, 6
	s_mov_b32 s0, exec_lo
	s_delay_alu instid0(VALU_DEP_2)
	v_cmpx_lt_u32_e32 6, v50
	s_cbranch_execz .LBB74_59
; %bb.56:
	v_and_b32_e32 v48, -8, v49
	s_mov_b32 s6, 0
	s_mov_b64 s[2:3], 13
	s_movk_i32 s7, 0x48
	s_delay_alu instid0(VALU_DEP_1)
	v_sub_nc_u32_e32 v50, 0, v48
.LBB74_57:                              ; =>This Inner Loop Header: Depth=1
	s_add_co_i32 m0, s2, -7
	v_movrels_b32_e32 v51, v14
	v_mov_b32_e32 v48, s7
	s_add_co_i32 m0, s2, -6
	s_add_co_i32 s7, s7, 32
	v_movrels_b32_e32 v60, v14
	s_add_co_i32 m0, s2, -5
	ds_load_2addr_b64 v[52:55], v48 offset1:1
	ds_load_2addr_b64 v[56:59], v48 offset0:2 offset1:3
	v_movrels_b32_e32 v48, v14
	s_add_co_i32 m0, s2, -4
	s_wait_dscnt 0x1
	v_fmac_f32_e32 v25, v51, v52
	v_movrels_b32_e32 v51, v14
	s_add_co_i32 m0, s2, -3
	s_delay_alu instid0(VALU_DEP_2) | instskip(NEXT) | instid1(VALU_DEP_1)
	v_fmac_f32_e32 v25, v60, v53
	v_fmac_f32_e32 v25, v48, v54
	v_movrels_b32_e32 v48, v14
	s_add_co_i32 m0, s2, -2
	s_delay_alu instid0(VALU_DEP_2) | instskip(SKIP_3) | instid1(VALU_DEP_2)
	v_fmac_f32_e32 v25, v51, v55
	v_movrels_b32_e32 v51, v14
	s_add_co_i32 m0, s2, -1
	s_wait_dscnt 0x0
	v_fmac_f32_e32 v25, v48, v56
	v_movrels_b32_e32 v48, v14
	s_mov_b32 m0, s2
	s_add_nc_u64 s[2:3], s[2:3], 8
	v_movrels_b32_e32 v52, v14
	v_dual_fmac_f32 v25, v51, v57 :: v_dual_add_nc_u32 v51, s2, v50
	s_add_co_i32 s8, s2, -7
	s_delay_alu instid0(VALU_DEP_1) | instskip(NEXT) | instid1(VALU_DEP_2)
	v_fmac_f32_e32 v25, v48, v58
	v_cmp_eq_u32_e32 vcc_lo, 13, v51
	s_delay_alu instid0(VALU_DEP_2) | instskip(SKIP_1) | instid1(SALU_CYCLE_1)
	v_dual_mov_b32 v48, s8 :: v_dual_fmac_f32 v25, v52, v59
	s_or_b32 s6, vcc_lo, s6
	s_and_not1_b32 exec_lo, exec_lo, s6
	s_cbranch_execnz .LBB74_57
; %bb.58:
	s_or_b32 exec_lo, exec_lo, s6
.LBB74_59:
	s_delay_alu instid0(SALU_CYCLE_1) | instskip(SKIP_3) | instid1(VALU_DEP_1)
	s_or_b32 exec_lo, exec_lo, s0
	v_and_b32_e32 v50, 7, v49
	s_mov_b32 s2, 0
	s_mov_b32 s0, exec_lo
	v_cmpx_ne_u32_e32 0, v50
	s_cbranch_execz .LBB74_63
; %bb.60:
	v_lshl_add_u32 v51, v48, 2, 48
	v_mov_b32_e32 v49, 0
.LBB74_61:                              ; =>This Inner Loop Header: Depth=1
	v_cmp_eq_u32_e32 vcc_lo, 1, v48
	ds_load_b32 v53, v51
	v_dual_add_nc_u32 v50, -1, v50 :: v_dual_add_nc_u32 v51, 4, v51
	v_cndmask_b32_e32 v52, v14, v15, vcc_lo
	v_cmp_eq_u32_e32 vcc_lo, 2, v48
	s_delay_alu instid0(VALU_DEP_2) | instskip(SKIP_1) | instid1(VALU_DEP_2)
	v_cndmask_b32_e32 v52, v52, v16, vcc_lo
	v_cmp_eq_u32_e32 vcc_lo, 3, v48
	v_cndmask_b32_e32 v52, v52, v17, vcc_lo
	v_cmp_eq_u32_e32 vcc_lo, 4, v48
	s_delay_alu instid0(VALU_DEP_2) | instskip(SKIP_1) | instid1(VALU_DEP_2)
	v_cndmask_b32_e32 v52, v52, v18, vcc_lo
	v_cmp_eq_u32_e32 vcc_lo, 5, v48
	;; [unrolled: 5-line block ×4, first 2 shown]
	v_cndmask_b32_e32 v52, v52, v23, vcc_lo
	v_cmp_eq_u32_e32 vcc_lo, 10, v48
	v_add_nc_u64_e32 v[48:49], 1, v[48:49]
	s_delay_alu instid0(VALU_DEP_3) | instskip(SKIP_2) | instid1(VALU_DEP_2)
	v_cndmask_b32_e32 v52, v52, v24, vcc_lo
	v_cmp_eq_u32_e32 vcc_lo, 0, v50
	s_wait_dscnt 0x0
	v_fmac_f32_e32 v25, v52, v53
	s_or_b32 s2, vcc_lo, s2
	s_delay_alu instid0(SALU_CYCLE_1)
	s_and_not1_b32 exec_lo, exec_lo, s2
	s_cbranch_execnz .LBB74_61
; %bb.62:
	s_or_b32 exec_lo, exec_lo, s2
.LBB74_63:
	s_delay_alu instid0(SALU_CYCLE_1)
	s_or_b32 exec_lo, exec_lo, s0
.LBB74_64:
	s_delay_alu instid0(SALU_CYCLE_1)
	s_or_b32 exec_lo, exec_lo, s5
	v_mov_b32_e32 v19, 0
	ds_load_b32 v19, v19 offset:20
	s_wait_dscnt 0x0
	v_mul_f32_e32 v19, v25, v19
.LBB74_65:
	s_or_b32 exec_lo, exec_lo, s4
	v_cmp_lt_u32_e64 s0, 4, v0
	ds_store_b32 v13, v18
	s_wait_dscnt 0x0
	s_barrier_signal -1
	s_barrier_wait -1
	s_and_saveexec_b32 s4, s0
	s_cbranch_execz .LBB74_81
; %bb.66:
	s_and_not1_b32 vcc_lo, exec_lo, s11
	s_cbranch_vccnz .LBB74_68
; %bb.67:
	v_cmp_eq_u32_e32 vcc_lo, 1, v0
	ds_load_b32 v48, v13
	v_cndmask_b32_e32 v25, v14, v15, vcc_lo
	v_cmp_eq_u32_e32 vcc_lo, 2, v0
	s_delay_alu instid0(VALU_DEP_2) | instskip(SKIP_1) | instid1(VALU_DEP_2)
	v_cndmask_b32_e32 v25, v25, v16, vcc_lo
	v_cmp_eq_u32_e32 vcc_lo, 3, v0
	v_cndmask_b32_e32 v25, v25, v17, vcc_lo
	v_cmp_eq_u32_e32 vcc_lo, 4, v0
	s_delay_alu instid0(VALU_DEP_2) | instskip(SKIP_1) | instid1(VALU_DEP_2)
	v_cndmask_b32_e32 v25, v25, v18, vcc_lo
	v_cmp_eq_u32_e32 vcc_lo, 5, v0
	;; [unrolled: 5-line block ×4, first 2 shown]
	v_cndmask_b32_e32 v25, v25, v23, vcc_lo
	v_cmp_eq_u32_e32 vcc_lo, 10, v0
	s_delay_alu instid0(VALU_DEP_2) | instskip(SKIP_1) | instid1(VALU_DEP_1)
	v_cndmask_b32_e32 v25, v25, v24, vcc_lo
	s_wait_dscnt 0x0
	v_mul_f32_e32 v25, v25, v48
	s_cbranch_execz .LBB74_69
	s_branch .LBB74_70
.LBB74_68:
                                        ; implicit-def: $vgpr25
.LBB74_69:
	ds_load_b32 v25, v13
.LBB74_70:
	s_and_saveexec_b32 s5, s1
	s_cbranch_execz .LBB74_80
; %bb.71:
	v_dual_add_nc_u32 v48, -6, v0 :: v_dual_add_nc_u32 v49, -5, v0
	s_delay_alu instid0(VALU_DEP_1)
	v_cmp_lt_u32_e32 vcc_lo, 6, v48
	v_mov_b32_e32 v48, 5
	s_and_saveexec_b32 s1, vcc_lo
	s_cbranch_execz .LBB74_75
; %bb.72:
	v_and_b32_e32 v48, -8, v49
	s_mov_b32 s6, 0
	s_mov_b64 s[2:3], 12
	s_movk_i32 s7, 0x44
	s_delay_alu instid0(VALU_DEP_1)
	v_sub_nc_u32_e32 v50, 0, v48
.LBB74_73:                              ; =>This Inner Loop Header: Depth=1
	s_add_co_i32 m0, s2, -7
	v_movrels_b32_e32 v51, v14
	v_mov_b32_e32 v48, s7
	s_add_co_i32 m0, s2, -6
	s_add_co_i32 s7, s7, 32
	v_movrels_b32_e32 v60, v14
	ds_load_2addr_b32 v[52:53], v48 offset1:1
	ds_load_2addr_b32 v[54:55], v48 offset0:2 offset1:3
	s_add_co_i32 m0, s2, -5
	s_wait_dscnt 0x1
	v_fmac_f32_e32 v25, v51, v52
	ds_load_2addr_b32 v[56:57], v48 offset0:4 offset1:5
	ds_load_2addr_b32 v[58:59], v48 offset0:6 offset1:7
	v_movrels_b32_e32 v48, v14
	s_add_co_i32 m0, s2, -4
	v_fmac_f32_e32 v25, v60, v53
	v_movrels_b32_e32 v51, v14
	s_add_co_i32 m0, s2, -3
	s_wait_dscnt 0x2
	s_delay_alu instid0(VALU_DEP_2) | instskip(SKIP_2) | instid1(VALU_DEP_2)
	v_fmac_f32_e32 v25, v48, v54
	v_movrels_b32_e32 v48, v14
	s_add_co_i32 m0, s2, -2
	v_fmac_f32_e32 v25, v51, v55
	v_movrels_b32_e32 v51, v14
	s_add_co_i32 m0, s2, -1
	s_wait_dscnt 0x1
	s_delay_alu instid0(VALU_DEP_2)
	v_fmac_f32_e32 v25, v48, v56
	v_movrels_b32_e32 v48, v14
	s_mov_b32 m0, s2
	s_add_nc_u64 s[2:3], s[2:3], 8
	v_movrels_b32_e32 v52, v14
	v_dual_fmac_f32 v25, v51, v57 :: v_dual_add_nc_u32 v51, s2, v50
	s_add_co_i32 s8, s2, -7
	s_wait_dscnt 0x0
	s_delay_alu instid0(VALU_DEP_1) | instskip(NEXT) | instid1(VALU_DEP_2)
	v_fmac_f32_e32 v25, v48, v58
	v_cmp_eq_u32_e32 vcc_lo, 12, v51
	s_delay_alu instid0(VALU_DEP_2) | instskip(SKIP_1) | instid1(SALU_CYCLE_1)
	v_dual_mov_b32 v48, s8 :: v_dual_fmac_f32 v25, v52, v59
	s_or_b32 s6, vcc_lo, s6
	s_and_not1_b32 exec_lo, exec_lo, s6
	s_cbranch_execnz .LBB74_73
; %bb.74:
	s_or_b32 exec_lo, exec_lo, s6
.LBB74_75:
	s_delay_alu instid0(SALU_CYCLE_1) | instskip(SKIP_3) | instid1(VALU_DEP_1)
	s_or_b32 exec_lo, exec_lo, s1
	v_and_b32_e32 v50, 7, v49
	s_mov_b32 s2, 0
	s_mov_b32 s1, exec_lo
	v_cmpx_ne_u32_e32 0, v50
	s_cbranch_execz .LBB74_79
; %bb.76:
	v_lshl_add_u32 v51, v48, 2, 48
	v_mov_b32_e32 v49, 0
.LBB74_77:                              ; =>This Inner Loop Header: Depth=1
	v_cmp_eq_u32_e32 vcc_lo, 1, v48
	ds_load_b32 v53, v51
	v_dual_add_nc_u32 v50, -1, v50 :: v_dual_add_nc_u32 v51, 4, v51
	v_cndmask_b32_e32 v52, v14, v15, vcc_lo
	v_cmp_eq_u32_e32 vcc_lo, 2, v48
	s_delay_alu instid0(VALU_DEP_2) | instskip(SKIP_1) | instid1(VALU_DEP_2)
	v_cndmask_b32_e32 v52, v52, v16, vcc_lo
	v_cmp_eq_u32_e32 vcc_lo, 3, v48
	v_cndmask_b32_e32 v52, v52, v17, vcc_lo
	v_cmp_eq_u32_e32 vcc_lo, 4, v48
	s_delay_alu instid0(VALU_DEP_2) | instskip(SKIP_1) | instid1(VALU_DEP_2)
	v_cndmask_b32_e32 v52, v52, v18, vcc_lo
	v_cmp_eq_u32_e32 vcc_lo, 5, v48
	;; [unrolled: 5-line block ×4, first 2 shown]
	v_cndmask_b32_e32 v52, v52, v23, vcc_lo
	v_cmp_eq_u32_e32 vcc_lo, 10, v48
	v_add_nc_u64_e32 v[48:49], 1, v[48:49]
	s_delay_alu instid0(VALU_DEP_3) | instskip(SKIP_2) | instid1(VALU_DEP_2)
	v_cndmask_b32_e32 v52, v52, v24, vcc_lo
	v_cmp_eq_u32_e32 vcc_lo, 0, v50
	s_wait_dscnt 0x0
	v_fmac_f32_e32 v25, v52, v53
	s_or_b32 s2, vcc_lo, s2
	s_delay_alu instid0(SALU_CYCLE_1)
	s_and_not1_b32 exec_lo, exec_lo, s2
	s_cbranch_execnz .LBB74_77
; %bb.78:
	s_or_b32 exec_lo, exec_lo, s2
.LBB74_79:
	s_delay_alu instid0(SALU_CYCLE_1)
	s_or_b32 exec_lo, exec_lo, s1
.LBB74_80:
	s_delay_alu instid0(SALU_CYCLE_1)
	s_or_b32 exec_lo, exec_lo, s5
	v_mov_b32_e32 v18, 0
	ds_load_b32 v18, v18 offset:16
	s_wait_dscnt 0x0
	v_mul_f32_e32 v18, v25, v18
.LBB74_81:
	s_or_b32 exec_lo, exec_lo, s4
	v_cmp_lt_u32_e64 s1, 3, v0
	ds_store_b32 v13, v17
	s_wait_dscnt 0x0
	s_barrier_signal -1
	s_barrier_wait -1
	s_and_saveexec_b32 s4, s1
	s_cbranch_execz .LBB74_97
; %bb.82:
	s_and_not1_b32 vcc_lo, exec_lo, s11
	s_cbranch_vccnz .LBB74_84
; %bb.83:
	v_cmp_eq_u32_e32 vcc_lo, 1, v0
	ds_load_b32 v48, v13
	v_cndmask_b32_e32 v25, v14, v15, vcc_lo
	v_cmp_eq_u32_e32 vcc_lo, 2, v0
	s_delay_alu instid0(VALU_DEP_2) | instskip(SKIP_1) | instid1(VALU_DEP_2)
	v_cndmask_b32_e32 v25, v25, v16, vcc_lo
	v_cmp_eq_u32_e32 vcc_lo, 3, v0
	v_cndmask_b32_e32 v25, v25, v17, vcc_lo
	v_cmp_eq_u32_e32 vcc_lo, 4, v0
	s_delay_alu instid0(VALU_DEP_2) | instskip(SKIP_1) | instid1(VALU_DEP_2)
	v_cndmask_b32_e32 v25, v25, v18, vcc_lo
	v_cmp_eq_u32_e32 vcc_lo, 5, v0
	;; [unrolled: 5-line block ×4, first 2 shown]
	v_cndmask_b32_e32 v25, v25, v23, vcc_lo
	v_cmp_eq_u32_e32 vcc_lo, 10, v0
	s_delay_alu instid0(VALU_DEP_2) | instskip(SKIP_1) | instid1(VALU_DEP_1)
	v_cndmask_b32_e32 v25, v25, v24, vcc_lo
	s_wait_dscnt 0x0
	v_mul_f32_e32 v25, v25, v48
	s_cbranch_execz .LBB74_85
	s_branch .LBB74_86
.LBB74_84:
                                        ; implicit-def: $vgpr25
.LBB74_85:
	ds_load_b32 v25, v13
.LBB74_86:
	s_and_saveexec_b32 s5, s0
	s_cbranch_execz .LBB74_96
; %bb.87:
	v_dual_add_nc_u32 v48, -5, v0 :: v_dual_add_nc_u32 v49, -4, v0
	s_delay_alu instid0(VALU_DEP_1)
	v_cmp_lt_u32_e32 vcc_lo, 6, v48
	v_mov_b32_e32 v48, 4
	s_and_saveexec_b32 s0, vcc_lo
	s_cbranch_execz .LBB74_91
; %bb.88:
	v_and_b32_e32 v48, -8, v49
	s_mov_b32 s6, 0
	s_mov_b64 s[2:3], 5
	s_mov_b32 s7, 64
	s_delay_alu instid0(VALU_DEP_1)
	v_sub_nc_u32_e32 v50, 0, v48
.LBB74_89:                              ; =>This Inner Loop Header: Depth=1
	s_add_co_i32 m0, s2, -1
	v_movrels_b32_e32 v51, v14
	v_mov_b32_e32 v48, s7
	s_mov_b32 m0, s2
	s_add_co_i32 s7, s7, 32
	v_movrels_b32_e32 v60, v14
	s_add_co_i32 m0, s2, 1
	ds_load_b128 v[52:55], v48
	ds_load_b128 v[56:59], v48 offset:16
	v_movrels_b32_e32 v48, v14
	s_add_co_i32 m0, s2, 2
	s_wait_dscnt 0x1
	v_fmac_f32_e32 v25, v51, v52
	v_movrels_b32_e32 v51, v14
	s_add_co_i32 m0, s2, 3
	s_delay_alu instid0(VALU_DEP_2) | instskip(NEXT) | instid1(VALU_DEP_1)
	v_fmac_f32_e32 v25, v60, v53
	v_fmac_f32_e32 v25, v48, v54
	v_movrels_b32_e32 v48, v14
	s_add_co_i32 m0, s2, 4
	s_delay_alu instid0(VALU_DEP_2) | instskip(SKIP_3) | instid1(VALU_DEP_2)
	v_fmac_f32_e32 v25, v51, v55
	v_movrels_b32_e32 v51, v14
	s_add_co_i32 m0, s2, 5
	s_wait_dscnt 0x0
	v_fmac_f32_e32 v25, v48, v56
	v_movrels_b32_e32 v48, v14
	s_add_co_i32 m0, s2, 6
	s_add_nc_u64 s[2:3], s[2:3], 8
	v_movrels_b32_e32 v52, v14
	v_dual_fmac_f32 v25, v51, v57 :: v_dual_add_nc_u32 v51, s2, v50
	s_add_co_i32 s8, s2, -1
	s_delay_alu instid0(VALU_DEP_1) | instskip(NEXT) | instid1(VALU_DEP_2)
	v_fmac_f32_e32 v25, v48, v58
	v_cmp_eq_u32_e32 vcc_lo, 5, v51
	s_delay_alu instid0(VALU_DEP_2) | instskip(SKIP_1) | instid1(SALU_CYCLE_1)
	v_dual_mov_b32 v48, s8 :: v_dual_fmac_f32 v25, v52, v59
	s_or_b32 s6, vcc_lo, s6
	s_and_not1_b32 exec_lo, exec_lo, s6
	s_cbranch_execnz .LBB74_89
; %bb.90:
	s_or_b32 exec_lo, exec_lo, s6
.LBB74_91:
	s_delay_alu instid0(SALU_CYCLE_1) | instskip(SKIP_3) | instid1(VALU_DEP_1)
	s_or_b32 exec_lo, exec_lo, s0
	v_and_b32_e32 v50, 7, v49
	s_mov_b32 s2, 0
	s_mov_b32 s0, exec_lo
	v_cmpx_ne_u32_e32 0, v50
	s_cbranch_execz .LBB74_95
; %bb.92:
	v_lshl_add_u32 v51, v48, 2, 48
	v_mov_b32_e32 v49, 0
.LBB74_93:                              ; =>This Inner Loop Header: Depth=1
	v_cmp_eq_u32_e32 vcc_lo, 1, v48
	ds_load_b32 v53, v51
	v_dual_add_nc_u32 v50, -1, v50 :: v_dual_add_nc_u32 v51, 4, v51
	v_cndmask_b32_e32 v52, v14, v15, vcc_lo
	v_cmp_eq_u32_e32 vcc_lo, 2, v48
	s_delay_alu instid0(VALU_DEP_2) | instskip(SKIP_1) | instid1(VALU_DEP_2)
	v_cndmask_b32_e32 v52, v52, v16, vcc_lo
	v_cmp_eq_u32_e32 vcc_lo, 3, v48
	v_cndmask_b32_e32 v52, v52, v17, vcc_lo
	v_cmp_eq_u32_e32 vcc_lo, 4, v48
	s_delay_alu instid0(VALU_DEP_2) | instskip(SKIP_1) | instid1(VALU_DEP_2)
	v_cndmask_b32_e32 v52, v52, v18, vcc_lo
	v_cmp_eq_u32_e32 vcc_lo, 5, v48
	;; [unrolled: 5-line block ×4, first 2 shown]
	v_cndmask_b32_e32 v52, v52, v23, vcc_lo
	v_cmp_eq_u32_e32 vcc_lo, 10, v48
	v_add_nc_u64_e32 v[48:49], 1, v[48:49]
	s_delay_alu instid0(VALU_DEP_3) | instskip(SKIP_2) | instid1(VALU_DEP_2)
	v_cndmask_b32_e32 v52, v52, v24, vcc_lo
	v_cmp_eq_u32_e32 vcc_lo, 0, v50
	s_wait_dscnt 0x0
	v_fmac_f32_e32 v25, v52, v53
	s_or_b32 s2, vcc_lo, s2
	s_delay_alu instid0(SALU_CYCLE_1)
	s_and_not1_b32 exec_lo, exec_lo, s2
	s_cbranch_execnz .LBB74_93
; %bb.94:
	s_or_b32 exec_lo, exec_lo, s2
.LBB74_95:
	s_delay_alu instid0(SALU_CYCLE_1)
	s_or_b32 exec_lo, exec_lo, s0
.LBB74_96:
	s_delay_alu instid0(SALU_CYCLE_1)
	s_or_b32 exec_lo, exec_lo, s5
	v_mov_b32_e32 v17, 0
	ds_load_b32 v17, v17 offset:12
	s_wait_dscnt 0x0
	v_mul_f32_e32 v17, v25, v17
.LBB74_97:
	s_or_b32 exec_lo, exec_lo, s4
	v_cmp_lt_u32_e64 s0, 2, v0
	ds_store_b32 v13, v16
	s_wait_dscnt 0x0
	s_barrier_signal -1
	s_barrier_wait -1
	s_and_saveexec_b32 s4, s0
	s_cbranch_execz .LBB74_113
; %bb.98:
	s_and_not1_b32 vcc_lo, exec_lo, s11
	s_cbranch_vccnz .LBB74_100
; %bb.99:
	v_cmp_eq_u32_e32 vcc_lo, 1, v0
	ds_load_b32 v48, v13
	v_cndmask_b32_e32 v25, v14, v15, vcc_lo
	v_cmp_eq_u32_e32 vcc_lo, 2, v0
	s_delay_alu instid0(VALU_DEP_2) | instskip(SKIP_1) | instid1(VALU_DEP_2)
	v_cndmask_b32_e32 v25, v25, v16, vcc_lo
	v_cmp_eq_u32_e32 vcc_lo, 3, v0
	v_cndmask_b32_e32 v25, v25, v17, vcc_lo
	v_cmp_eq_u32_e32 vcc_lo, 4, v0
	s_delay_alu instid0(VALU_DEP_2) | instskip(SKIP_1) | instid1(VALU_DEP_2)
	v_cndmask_b32_e32 v25, v25, v18, vcc_lo
	v_cmp_eq_u32_e32 vcc_lo, 5, v0
	;; [unrolled: 5-line block ×4, first 2 shown]
	v_cndmask_b32_e32 v25, v25, v23, vcc_lo
	v_cmp_eq_u32_e32 vcc_lo, 10, v0
	s_delay_alu instid0(VALU_DEP_2) | instskip(SKIP_1) | instid1(VALU_DEP_1)
	v_cndmask_b32_e32 v25, v25, v24, vcc_lo
	s_wait_dscnt 0x0
	v_mul_f32_e32 v25, v25, v48
	s_cbranch_execz .LBB74_101
	s_branch .LBB74_102
.LBB74_100:
                                        ; implicit-def: $vgpr25
.LBB74_101:
	ds_load_b32 v25, v13
.LBB74_102:
	s_and_saveexec_b32 s5, s1
	s_cbranch_execz .LBB74_112
; %bb.103:
	v_dual_add_nc_u32 v48, -4, v0 :: v_dual_add_nc_u32 v49, -3, v0
	s_delay_alu instid0(VALU_DEP_1)
	v_cmp_lt_u32_e32 vcc_lo, 6, v48
	v_mov_b32_e32 v48, 3
	s_and_saveexec_b32 s1, vcc_lo
	s_cbranch_execz .LBB74_107
; %bb.104:
	v_and_b32_e32 v48, -8, v49
	s_mov_b32 s6, 0
	s_mov_b64 s[2:3], 10
	s_mov_b32 s7, 60
	s_delay_alu instid0(VALU_DEP_1)
	v_sub_nc_u32_e32 v50, 0, v48
.LBB74_105:                             ; =>This Inner Loop Header: Depth=1
	s_add_co_i32 m0, s2, -7
	v_movrels_b32_e32 v51, v14
	v_mov_b32_e32 v48, s7
	s_add_co_i32 m0, s2, -6
	s_add_co_i32 s7, s7, 32
	v_movrels_b32_e32 v60, v14
	ds_load_2addr_b32 v[52:53], v48 offset1:1
	ds_load_2addr_b32 v[54:55], v48 offset0:2 offset1:3
	s_add_co_i32 m0, s2, -5
	s_wait_dscnt 0x1
	v_fmac_f32_e32 v25, v51, v52
	ds_load_2addr_b32 v[56:57], v48 offset0:4 offset1:5
	ds_load_2addr_b32 v[58:59], v48 offset0:6 offset1:7
	v_movrels_b32_e32 v48, v14
	s_add_co_i32 m0, s2, -4
	v_fmac_f32_e32 v25, v60, v53
	v_movrels_b32_e32 v51, v14
	s_add_co_i32 m0, s2, -3
	s_wait_dscnt 0x2
	s_delay_alu instid0(VALU_DEP_2) | instskip(SKIP_2) | instid1(VALU_DEP_2)
	v_fmac_f32_e32 v25, v48, v54
	v_movrels_b32_e32 v48, v14
	s_add_co_i32 m0, s2, -2
	v_fmac_f32_e32 v25, v51, v55
	v_movrels_b32_e32 v51, v14
	s_add_co_i32 m0, s2, -1
	s_wait_dscnt 0x1
	s_delay_alu instid0(VALU_DEP_2)
	v_fmac_f32_e32 v25, v48, v56
	v_movrels_b32_e32 v48, v14
	s_mov_b32 m0, s2
	s_add_nc_u64 s[2:3], s[2:3], 8
	v_movrels_b32_e32 v52, v14
	v_dual_fmac_f32 v25, v51, v57 :: v_dual_add_nc_u32 v51, s2, v50
	s_add_co_i32 s8, s2, -7
	s_wait_dscnt 0x0
	s_delay_alu instid0(VALU_DEP_1) | instskip(NEXT) | instid1(VALU_DEP_2)
	v_fmac_f32_e32 v25, v48, v58
	v_cmp_eq_u32_e32 vcc_lo, 10, v51
	s_delay_alu instid0(VALU_DEP_2) | instskip(SKIP_1) | instid1(SALU_CYCLE_1)
	v_dual_mov_b32 v48, s8 :: v_dual_fmac_f32 v25, v52, v59
	s_or_b32 s6, vcc_lo, s6
	s_and_not1_b32 exec_lo, exec_lo, s6
	s_cbranch_execnz .LBB74_105
; %bb.106:
	s_or_b32 exec_lo, exec_lo, s6
.LBB74_107:
	s_delay_alu instid0(SALU_CYCLE_1) | instskip(SKIP_3) | instid1(VALU_DEP_1)
	s_or_b32 exec_lo, exec_lo, s1
	v_and_b32_e32 v50, 7, v49
	s_mov_b32 s2, 0
	s_mov_b32 s1, exec_lo
	v_cmpx_ne_u32_e32 0, v50
	s_cbranch_execz .LBB74_111
; %bb.108:
	v_lshl_add_u32 v51, v48, 2, 48
	v_mov_b32_e32 v49, 0
.LBB74_109:                             ; =>This Inner Loop Header: Depth=1
	v_cmp_eq_u32_e32 vcc_lo, 1, v48
	ds_load_b32 v53, v51
	v_dual_add_nc_u32 v50, -1, v50 :: v_dual_add_nc_u32 v51, 4, v51
	v_cndmask_b32_e32 v52, v14, v15, vcc_lo
	v_cmp_eq_u32_e32 vcc_lo, 2, v48
	s_delay_alu instid0(VALU_DEP_2) | instskip(SKIP_1) | instid1(VALU_DEP_2)
	v_cndmask_b32_e32 v52, v52, v16, vcc_lo
	v_cmp_eq_u32_e32 vcc_lo, 3, v48
	v_cndmask_b32_e32 v52, v52, v17, vcc_lo
	v_cmp_eq_u32_e32 vcc_lo, 4, v48
	s_delay_alu instid0(VALU_DEP_2) | instskip(SKIP_1) | instid1(VALU_DEP_2)
	v_cndmask_b32_e32 v52, v52, v18, vcc_lo
	v_cmp_eq_u32_e32 vcc_lo, 5, v48
	;; [unrolled: 5-line block ×4, first 2 shown]
	v_cndmask_b32_e32 v52, v52, v23, vcc_lo
	v_cmp_eq_u32_e32 vcc_lo, 10, v48
	v_add_nc_u64_e32 v[48:49], 1, v[48:49]
	s_delay_alu instid0(VALU_DEP_3) | instskip(SKIP_2) | instid1(VALU_DEP_2)
	v_cndmask_b32_e32 v52, v52, v24, vcc_lo
	v_cmp_eq_u32_e32 vcc_lo, 0, v50
	s_wait_dscnt 0x0
	v_fmac_f32_e32 v25, v52, v53
	s_or_b32 s2, vcc_lo, s2
	s_delay_alu instid0(SALU_CYCLE_1)
	s_and_not1_b32 exec_lo, exec_lo, s2
	s_cbranch_execnz .LBB74_109
; %bb.110:
	s_or_b32 exec_lo, exec_lo, s2
.LBB74_111:
	s_delay_alu instid0(SALU_CYCLE_1)
	s_or_b32 exec_lo, exec_lo, s1
.LBB74_112:
	s_delay_alu instid0(SALU_CYCLE_1)
	s_or_b32 exec_lo, exec_lo, s5
	v_mov_b32_e32 v16, 0
	ds_load_b32 v16, v16 offset:8
	s_wait_dscnt 0x0
	v_mul_f32_e32 v16, v25, v16
.LBB74_113:
	s_or_b32 exec_lo, exec_lo, s4
	v_cmp_lt_u32_e64 s1, 1, v0
	ds_store_b32 v13, v15
	s_wait_dscnt 0x0
	s_barrier_signal -1
	s_barrier_wait -1
	s_and_saveexec_b32 s4, s1
	s_cbranch_execz .LBB74_129
; %bb.114:
	s_and_not1_b32 vcc_lo, exec_lo, s11
	s_cbranch_vccnz .LBB74_116
; %bb.115:
	v_cmp_eq_u32_e32 vcc_lo, 1, v0
	ds_load_b32 v48, v13
	v_cndmask_b32_e32 v25, v14, v15, vcc_lo
	v_cmp_eq_u32_e32 vcc_lo, 2, v0
	s_delay_alu instid0(VALU_DEP_2) | instskip(SKIP_1) | instid1(VALU_DEP_2)
	v_cndmask_b32_e32 v25, v25, v16, vcc_lo
	v_cmp_eq_u32_e32 vcc_lo, 3, v0
	v_cndmask_b32_e32 v25, v25, v17, vcc_lo
	v_cmp_eq_u32_e32 vcc_lo, 4, v0
	s_delay_alu instid0(VALU_DEP_2) | instskip(SKIP_1) | instid1(VALU_DEP_2)
	v_cndmask_b32_e32 v25, v25, v18, vcc_lo
	v_cmp_eq_u32_e32 vcc_lo, 5, v0
	;; [unrolled: 5-line block ×4, first 2 shown]
	v_cndmask_b32_e32 v25, v25, v23, vcc_lo
	v_cmp_eq_u32_e32 vcc_lo, 10, v0
	s_delay_alu instid0(VALU_DEP_2) | instskip(SKIP_1) | instid1(VALU_DEP_1)
	v_cndmask_b32_e32 v25, v25, v24, vcc_lo
	s_wait_dscnt 0x0
	v_mul_f32_e32 v25, v25, v48
	s_cbranch_execz .LBB74_117
	s_branch .LBB74_118
.LBB74_116:
                                        ; implicit-def: $vgpr25
.LBB74_117:
	ds_load_b32 v25, v13
.LBB74_118:
	s_and_saveexec_b32 s5, s0
	s_cbranch_execz .LBB74_128
; %bb.119:
	v_dual_add_nc_u32 v48, -3, v0 :: v_dual_add_nc_u32 v49, -2, v0
	s_delay_alu instid0(VALU_DEP_1)
	v_cmp_lt_u32_e32 vcc_lo, 6, v48
	v_mov_b32_e32 v48, 2
	s_and_saveexec_b32 s0, vcc_lo
	s_cbranch_execz .LBB74_123
; %bb.120:
	v_and_b32_e32 v48, -8, v49
	s_mov_b32 s6, 0
	s_mov_b64 s[2:3], 9
	s_mov_b32 s7, 56
	s_delay_alu instid0(VALU_DEP_1)
	v_sub_nc_u32_e32 v50, 0, v48
.LBB74_121:                             ; =>This Inner Loop Header: Depth=1
	s_add_co_i32 m0, s2, -7
	v_movrels_b32_e32 v51, v14
	v_mov_b32_e32 v48, s7
	s_add_co_i32 m0, s2, -6
	s_add_co_i32 s7, s7, 32
	v_movrels_b32_e32 v60, v14
	s_add_co_i32 m0, s2, -5
	ds_load_2addr_b64 v[52:55], v48 offset1:1
	ds_load_2addr_b64 v[56:59], v48 offset0:2 offset1:3
	v_movrels_b32_e32 v48, v14
	s_add_co_i32 m0, s2, -4
	s_wait_dscnt 0x1
	v_fmac_f32_e32 v25, v51, v52
	v_movrels_b32_e32 v51, v14
	s_add_co_i32 m0, s2, -3
	s_delay_alu instid0(VALU_DEP_2) | instskip(NEXT) | instid1(VALU_DEP_1)
	v_fmac_f32_e32 v25, v60, v53
	v_fmac_f32_e32 v25, v48, v54
	v_movrels_b32_e32 v48, v14
	s_add_co_i32 m0, s2, -2
	s_delay_alu instid0(VALU_DEP_2) | instskip(SKIP_3) | instid1(VALU_DEP_2)
	v_fmac_f32_e32 v25, v51, v55
	v_movrels_b32_e32 v51, v14
	s_add_co_i32 m0, s2, -1
	s_wait_dscnt 0x0
	v_fmac_f32_e32 v25, v48, v56
	v_movrels_b32_e32 v48, v14
	s_mov_b32 m0, s2
	s_add_nc_u64 s[2:3], s[2:3], 8
	v_movrels_b32_e32 v52, v14
	v_dual_fmac_f32 v25, v51, v57 :: v_dual_add_nc_u32 v51, s2, v50
	s_add_co_i32 s8, s2, -7
	s_delay_alu instid0(VALU_DEP_1) | instskip(NEXT) | instid1(VALU_DEP_2)
	v_fmac_f32_e32 v25, v48, v58
	v_cmp_eq_u32_e32 vcc_lo, 9, v51
	s_delay_alu instid0(VALU_DEP_2) | instskip(SKIP_1) | instid1(SALU_CYCLE_1)
	v_dual_mov_b32 v48, s8 :: v_dual_fmac_f32 v25, v52, v59
	s_or_b32 s6, vcc_lo, s6
	s_and_not1_b32 exec_lo, exec_lo, s6
	s_cbranch_execnz .LBB74_121
; %bb.122:
	s_or_b32 exec_lo, exec_lo, s6
.LBB74_123:
	s_delay_alu instid0(SALU_CYCLE_1) | instskip(SKIP_3) | instid1(VALU_DEP_1)
	s_or_b32 exec_lo, exec_lo, s0
	v_and_b32_e32 v50, 7, v49
	s_mov_b32 s2, 0
	s_mov_b32 s0, exec_lo
	v_cmpx_ne_u32_e32 0, v50
	s_cbranch_execz .LBB74_127
; %bb.124:
	v_lshl_add_u32 v51, v48, 2, 48
	v_mov_b32_e32 v49, 0
.LBB74_125:                             ; =>This Inner Loop Header: Depth=1
	v_cmp_eq_u32_e32 vcc_lo, 1, v48
	ds_load_b32 v53, v51
	v_dual_add_nc_u32 v50, -1, v50 :: v_dual_add_nc_u32 v51, 4, v51
	v_cndmask_b32_e32 v52, v14, v15, vcc_lo
	v_cmp_eq_u32_e32 vcc_lo, 2, v48
	s_delay_alu instid0(VALU_DEP_2) | instskip(SKIP_1) | instid1(VALU_DEP_2)
	v_cndmask_b32_e32 v52, v52, v16, vcc_lo
	v_cmp_eq_u32_e32 vcc_lo, 3, v48
	v_cndmask_b32_e32 v52, v52, v17, vcc_lo
	v_cmp_eq_u32_e32 vcc_lo, 4, v48
	s_delay_alu instid0(VALU_DEP_2) | instskip(SKIP_1) | instid1(VALU_DEP_2)
	v_cndmask_b32_e32 v52, v52, v18, vcc_lo
	v_cmp_eq_u32_e32 vcc_lo, 5, v48
	;; [unrolled: 5-line block ×4, first 2 shown]
	v_cndmask_b32_e32 v52, v52, v23, vcc_lo
	v_cmp_eq_u32_e32 vcc_lo, 10, v48
	v_add_nc_u64_e32 v[48:49], 1, v[48:49]
	s_delay_alu instid0(VALU_DEP_3) | instskip(SKIP_2) | instid1(VALU_DEP_2)
	v_cndmask_b32_e32 v52, v52, v24, vcc_lo
	v_cmp_eq_u32_e32 vcc_lo, 0, v50
	s_wait_dscnt 0x0
	v_fmac_f32_e32 v25, v52, v53
	s_or_b32 s2, vcc_lo, s2
	s_delay_alu instid0(SALU_CYCLE_1)
	s_and_not1_b32 exec_lo, exec_lo, s2
	s_cbranch_execnz .LBB74_125
; %bb.126:
	s_or_b32 exec_lo, exec_lo, s2
.LBB74_127:
	s_delay_alu instid0(SALU_CYCLE_1)
	s_or_b32 exec_lo, exec_lo, s0
.LBB74_128:
	s_delay_alu instid0(SALU_CYCLE_1)
	s_or_b32 exec_lo, exec_lo, s5
	v_mov_b32_e32 v15, 0
	ds_load_b32 v15, v15 offset:4
	s_wait_dscnt 0x0
	v_mul_f32_e32 v15, v25, v15
.LBB74_129:
	s_or_b32 exec_lo, exec_lo, s4
	s_mov_b32 s2, 0
	s_mov_b32 s3, exec_lo
	ds_store_b32 v13, v14
	s_wait_dscnt 0x0
	s_barrier_signal -1
	s_barrier_wait -1
	v_cmpx_ne_u32_e32 0, v0
	s_cbranch_execz .LBB74_145
; %bb.130:
	s_and_not1_b32 vcc_lo, exec_lo, s11
	s_cbranch_vccnz .LBB74_132
; %bb.131:
	v_cmp_eq_u32_e32 vcc_lo, 1, v0
	ds_load_b32 v48, v13
	v_cndmask_b32_e32 v25, v14, v15, vcc_lo
	v_cmp_eq_u32_e32 vcc_lo, 2, v0
	s_delay_alu instid0(VALU_DEP_2) | instskip(SKIP_1) | instid1(VALU_DEP_2)
	v_cndmask_b32_e32 v25, v25, v16, vcc_lo
	v_cmp_eq_u32_e32 vcc_lo, 3, v0
	v_cndmask_b32_e32 v25, v25, v17, vcc_lo
	v_cmp_eq_u32_e32 vcc_lo, 4, v0
	s_delay_alu instid0(VALU_DEP_2) | instskip(SKIP_1) | instid1(VALU_DEP_2)
	v_cndmask_b32_e32 v25, v25, v18, vcc_lo
	v_cmp_eq_u32_e32 vcc_lo, 5, v0
	;; [unrolled: 5-line block ×4, first 2 shown]
	v_cndmask_b32_e32 v25, v25, v23, vcc_lo
	v_cmp_eq_u32_e32 vcc_lo, 10, v0
	s_delay_alu instid0(VALU_DEP_2) | instskip(SKIP_1) | instid1(VALU_DEP_1)
	v_cndmask_b32_e32 v25, v25, v24, vcc_lo
	s_wait_dscnt 0x0
	v_mul_f32_e32 v25, v25, v48
	s_cbranch_execz .LBB74_133
	s_branch .LBB74_134
.LBB74_132:
                                        ; implicit-def: $vgpr25
.LBB74_133:
	ds_load_b32 v25, v13
.LBB74_134:
	s_and_saveexec_b32 s4, s1
	s_cbranch_execz .LBB74_144
; %bb.135:
	v_dual_add_nc_u32 v48, -2, v0 :: v_dual_add_nc_u32 v49, -1, v0
	s_delay_alu instid0(VALU_DEP_1)
	v_cmp_lt_u32_e32 vcc_lo, 6, v48
	v_mov_b32_e32 v48, 1
	s_and_saveexec_b32 s5, vcc_lo
	s_cbranch_execz .LBB74_139
; %bb.136:
	v_and_b32_e32 v48, -8, v49
	s_mov_b32 s6, 0
	s_mov_b64 s[0:1], 8
	s_mov_b32 s7, 52
	s_delay_alu instid0(VALU_DEP_1)
	v_sub_nc_u32_e32 v50, 0, v48
.LBB74_137:                             ; =>This Inner Loop Header: Depth=1
	s_add_co_i32 m0, s0, -7
	v_movrels_b32_e32 v51, v14
	v_mov_b32_e32 v48, s7
	s_add_co_i32 m0, s0, -6
	s_add_co_i32 s7, s7, 32
	v_movrels_b32_e32 v60, v14
	ds_load_2addr_b32 v[52:53], v48 offset1:1
	ds_load_2addr_b32 v[54:55], v48 offset0:2 offset1:3
	s_add_co_i32 m0, s0, -5
	s_wait_dscnt 0x1
	v_fmac_f32_e32 v25, v51, v52
	ds_load_2addr_b32 v[56:57], v48 offset0:4 offset1:5
	ds_load_2addr_b32 v[58:59], v48 offset0:6 offset1:7
	v_movrels_b32_e32 v48, v14
	s_add_co_i32 m0, s0, -4
	v_fmac_f32_e32 v25, v60, v53
	v_movrels_b32_e32 v51, v14
	s_add_co_i32 m0, s0, -3
	s_wait_dscnt 0x2
	s_delay_alu instid0(VALU_DEP_2) | instskip(SKIP_2) | instid1(VALU_DEP_2)
	v_fmac_f32_e32 v25, v48, v54
	v_movrels_b32_e32 v48, v14
	s_add_co_i32 m0, s0, -2
	v_fmac_f32_e32 v25, v51, v55
	v_movrels_b32_e32 v51, v14
	s_add_co_i32 m0, s0, -1
	s_wait_dscnt 0x1
	s_delay_alu instid0(VALU_DEP_2)
	v_fmac_f32_e32 v25, v48, v56
	v_movrels_b32_e32 v48, v14
	s_mov_b32 m0, s0
	s_add_nc_u64 s[0:1], s[0:1], 8
	v_movrels_b32_e32 v52, v14
	v_dual_fmac_f32 v25, v51, v57 :: v_dual_add_nc_u32 v51, s0, v50
	s_add_co_i32 s8, s0, -7
	s_wait_dscnt 0x0
	s_delay_alu instid0(VALU_DEP_1) | instskip(NEXT) | instid1(VALU_DEP_2)
	v_fmac_f32_e32 v25, v48, v58
	v_cmp_eq_u32_e32 vcc_lo, 8, v51
	s_delay_alu instid0(VALU_DEP_2) | instskip(SKIP_1) | instid1(SALU_CYCLE_1)
	v_dual_mov_b32 v48, s8 :: v_dual_fmac_f32 v25, v52, v59
	s_or_b32 s6, vcc_lo, s6
	s_and_not1_b32 exec_lo, exec_lo, s6
	s_cbranch_execnz .LBB74_137
; %bb.138:
	s_or_b32 exec_lo, exec_lo, s6
.LBB74_139:
	s_delay_alu instid0(SALU_CYCLE_1) | instskip(SKIP_3) | instid1(VALU_DEP_1)
	s_or_b32 exec_lo, exec_lo, s5
	v_and_b32_e32 v50, 7, v49
	s_mov_b32 s1, 0
	s_mov_b32 s0, exec_lo
	v_cmpx_ne_u32_e32 0, v50
	s_cbranch_execz .LBB74_143
; %bb.140:
	v_lshl_add_u32 v51, v48, 2, 48
	v_mov_b32_e32 v49, 0
.LBB74_141:                             ; =>This Inner Loop Header: Depth=1
	v_cmp_eq_u32_e32 vcc_lo, 1, v48
	ds_load_b32 v53, v51
	v_dual_add_nc_u32 v50, -1, v50 :: v_dual_add_nc_u32 v51, 4, v51
	v_cndmask_b32_e32 v52, v14, v15, vcc_lo
	v_cmp_eq_u32_e32 vcc_lo, 2, v48
	s_delay_alu instid0(VALU_DEP_2) | instskip(SKIP_1) | instid1(VALU_DEP_2)
	v_cndmask_b32_e32 v52, v52, v16, vcc_lo
	v_cmp_eq_u32_e32 vcc_lo, 3, v48
	v_cndmask_b32_e32 v52, v52, v17, vcc_lo
	v_cmp_eq_u32_e32 vcc_lo, 4, v48
	s_delay_alu instid0(VALU_DEP_2) | instskip(SKIP_1) | instid1(VALU_DEP_2)
	v_cndmask_b32_e32 v52, v52, v18, vcc_lo
	v_cmp_eq_u32_e32 vcc_lo, 5, v48
	;; [unrolled: 5-line block ×4, first 2 shown]
	v_cndmask_b32_e32 v52, v52, v23, vcc_lo
	v_cmp_eq_u32_e32 vcc_lo, 10, v48
	v_add_nc_u64_e32 v[48:49], 1, v[48:49]
	s_delay_alu instid0(VALU_DEP_3) | instskip(SKIP_2) | instid1(VALU_DEP_2)
	v_cndmask_b32_e32 v52, v52, v24, vcc_lo
	v_cmp_eq_u32_e32 vcc_lo, 0, v50
	s_wait_dscnt 0x0
	v_fmac_f32_e32 v25, v52, v53
	s_or_b32 s1, vcc_lo, s1
	s_delay_alu instid0(SALU_CYCLE_1)
	s_and_not1_b32 exec_lo, exec_lo, s1
	s_cbranch_execnz .LBB74_141
; %bb.142:
	s_or_b32 exec_lo, exec_lo, s1
.LBB74_143:
	s_delay_alu instid0(SALU_CYCLE_1)
	s_or_b32 exec_lo, exec_lo, s0
.LBB74_144:
	s_delay_alu instid0(SALU_CYCLE_1)
	s_or_b32 exec_lo, exec_lo, s4
	v_mov_b32_e32 v14, 0
	ds_load_b32 v14, v14
	s_wait_dscnt 0x0
	v_mul_f32_e32 v14, v25, v14
.LBB74_145:
	s_or_b32 exec_lo, exec_lo, s3
	s_delay_alu instid0(SALU_CYCLE_1)
	s_and_b32 vcc_lo, exec_lo, s2
	s_cbranch_vccz .LBB74_249
.LBB74_146:
	v_cmp_eq_u32_e64 s0, 0, v0
	s_wait_loadcnt_dscnt 0xa0b
	ds_store_b32 v13, v3
	s_wait_loadcnt_dscnt 0x0
	s_barrier_signal -1
	s_barrier_wait -1
	s_and_saveexec_b32 s1, s0
	s_cbranch_execz .LBB74_152
; %bb.147:
	s_and_b32 vcc_lo, exec_lo, s11
	s_cbranch_vccz .LBB74_149
; %bb.148:
	v_cmp_eq_u32_e32 vcc_lo, 1, v0
	ds_load_b32 v14, v13
	v_cndmask_b32_e32 v3, v2, v3, vcc_lo
	v_cmp_eq_u32_e32 vcc_lo, 2, v0
	s_delay_alu instid0(VALU_DEP_2) | instskip(SKIP_1) | instid1(VALU_DEP_2)
	v_cndmask_b32_e32 v3, v3, v4, vcc_lo
	v_cmp_eq_u32_e32 vcc_lo, 3, v0
	v_cndmask_b32_e32 v3, v3, v5, vcc_lo
	v_cmp_eq_u32_e32 vcc_lo, 4, v0
	s_delay_alu instid0(VALU_DEP_2) | instskip(SKIP_1) | instid1(VALU_DEP_2)
	v_cndmask_b32_e32 v3, v3, v6, vcc_lo
	v_cmp_eq_u32_e32 vcc_lo, 5, v0
	;; [unrolled: 5-line block ×4, first 2 shown]
	v_cndmask_b32_e32 v3, v3, v11, vcc_lo
	v_cmp_eq_u32_e32 vcc_lo, 10, v0
	s_delay_alu instid0(VALU_DEP_2) | instskip(SKIP_1) | instid1(VALU_DEP_1)
	v_cndmask_b32_e32 v3, v3, v12, vcc_lo
	s_wait_dscnt 0x0
	v_mul_f32_e32 v3, v3, v14
	s_cbranch_execz .LBB74_150
	s_branch .LBB74_151
.LBB74_149:
                                        ; implicit-def: $vgpr3
.LBB74_150:
	ds_load_b32 v3, v13
.LBB74_151:
	v_mov_b32_e32 v14, 0
	ds_load_b32 v14, v14 offset:4
	s_wait_dscnt 0x0
	v_mul_f32_e32 v3, v3, v14
.LBB74_152:
	s_or_b32 exec_lo, exec_lo, s1
	v_cndmask_b32_e64 v16, 0, 1, s11
	s_mov_b32 s1, exec_lo
	ds_store_b32 v13, v4
	s_wait_dscnt 0x0
	s_barrier_signal -1
	s_barrier_wait -1
	v_cmpx_gt_u32_e32 2, v0
	s_cbranch_execz .LBB74_158
; %bb.153:
	s_and_not1_b32 vcc_lo, exec_lo, s11
	s_cbranch_vccnz .LBB74_155
; %bb.154:
	v_cmp_eq_u32_e32 vcc_lo, 1, v0
	v_cndmask_b32_e32 v14, v2, v3, vcc_lo
	v_cmp_eq_u32_e32 vcc_lo, 2, v0
	s_delay_alu instid0(VALU_DEP_2) | instskip(SKIP_4) | instid1(VALU_DEP_2)
	v_cndmask_b32_e32 v4, v14, v4, vcc_lo
	v_cmp_eq_u32_e32 vcc_lo, 3, v0
	ds_load_b32 v14, v13
	v_cndmask_b32_e32 v4, v4, v5, vcc_lo
	v_cmp_eq_u32_e32 vcc_lo, 4, v0
	v_cndmask_b32_e32 v4, v4, v6, vcc_lo
	v_cmp_eq_u32_e32 vcc_lo, 5, v0
	s_delay_alu instid0(VALU_DEP_2) | instskip(SKIP_1) | instid1(VALU_DEP_2)
	v_cndmask_b32_e32 v4, v4, v7, vcc_lo
	v_cmp_eq_u32_e32 vcc_lo, 6, v0
	v_cndmask_b32_e32 v4, v4, v8, vcc_lo
	v_cmp_eq_u32_e32 vcc_lo, 7, v0
	s_delay_alu instid0(VALU_DEP_2) | instskip(SKIP_1) | instid1(VALU_DEP_2)
	;; [unrolled: 5-line block ×3, first 2 shown]
	v_cndmask_b32_e32 v4, v4, v11, vcc_lo
	v_cmp_eq_u32_e32 vcc_lo, 10, v0
	v_cndmask_b32_e32 v4, v4, v12, vcc_lo
	s_wait_dscnt 0x0
	s_delay_alu instid0(VALU_DEP_1)
	v_mul_f32_e32 v4, v4, v14
	s_cbranch_execz .LBB74_156
	s_branch .LBB74_157
.LBB74_155:
                                        ; implicit-def: $vgpr4
.LBB74_156:
	ds_load_b32 v4, v13
.LBB74_157:
	v_mov_b32_e32 v14, 0
	ds_load_2addr_b32 v[14:15], v14 offset0:2 offset1:13
	s_wait_dscnt 0x0
	v_fma_f32 v15, v3, v15, v4
	s_delay_alu instid0(VALU_DEP_1) | instskip(NEXT) | instid1(VALU_DEP_1)
	v_cndmask_b32_e64 v4, v4, v15, s0
	v_mul_f32_e32 v4, v4, v14
.LBB74_158:
	s_or_b32 exec_lo, exec_lo, s1
	v_add_nc_u32_e32 v17, 1, v0
	v_cmp_gt_u32_e64 s1, 3, v0
	ds_store_b32 v13, v5
	s_wait_dscnt 0x0
	s_barrier_signal -1
	s_barrier_wait -1
	s_and_saveexec_b32 s2, s1
	s_cbranch_execz .LBB74_166
; %bb.159:
	v_cmp_ne_u32_e32 vcc_lo, 1, v16
	s_cbranch_vccnz .LBB74_161
; %bb.160:
	v_cmp_eq_u32_e32 vcc_lo, 1, v0
	ds_load_b32 v15, v13
	v_cndmask_b32_e32 v14, v2, v3, vcc_lo
	v_cmp_eq_u32_e32 vcc_lo, 2, v0
	s_delay_alu instid0(VALU_DEP_2) | instskip(SKIP_1) | instid1(VALU_DEP_2)
	v_cndmask_b32_e32 v14, v14, v4, vcc_lo
	v_cmp_eq_u32_e32 vcc_lo, 3, v0
	v_cndmask_b32_e32 v14, v14, v5, vcc_lo
	v_cmp_eq_u32_e32 vcc_lo, 4, v0
	s_delay_alu instid0(VALU_DEP_2) | instskip(SKIP_1) | instid1(VALU_DEP_2)
	v_cndmask_b32_e32 v14, v14, v6, vcc_lo
	v_cmp_eq_u32_e32 vcc_lo, 5, v0
	;; [unrolled: 5-line block ×4, first 2 shown]
	v_cndmask_b32_e32 v14, v14, v11, vcc_lo
	v_cmp_eq_u32_e32 vcc_lo, 10, v0
	s_delay_alu instid0(VALU_DEP_2) | instskip(SKIP_1) | instid1(VALU_DEP_1)
	v_cndmask_b32_e32 v14, v14, v12, vcc_lo
	s_wait_dscnt 0x0
	v_mul_f32_e32 v14, v14, v15
	s_cbranch_execz .LBB74_162
	s_branch .LBB74_163
.LBB74_161:
                                        ; implicit-def: $vgpr14
.LBB74_162:
	ds_load_b32 v14, v13
.LBB74_163:
	s_mov_b32 s3, exec_lo
	v_cmpx_ne_u32_e32 2, v0
	s_cbranch_execz .LBB74_165
; %bb.164:
	v_cmp_eq_u32_e32 vcc_lo, 1, v17
	v_dual_mov_b32 v18, 0 :: v_dual_cndmask_b32 v15, v2, v3
	v_cmp_eq_u32_e32 vcc_lo, 2, v17
	ds_load_b32 v18, v18 offset:56
	v_cndmask_b32_e32 v15, v15, v4, vcc_lo
	v_cmp_eq_u32_e32 vcc_lo, 3, v17
	s_delay_alu instid0(VALU_DEP_2) | instskip(SKIP_4) | instid1(VALU_DEP_2)
	v_cndmask_b32_e32 v5, v15, v5, vcc_lo
	v_cmp_eq_u32_e32 vcc_lo, 4, v17
	ds_load_b32 v15, v13 offset:4
	v_cndmask_b32_e32 v5, v5, v6, vcc_lo
	v_cmp_eq_u32_e32 vcc_lo, 5, v17
	v_cndmask_b32_e32 v5, v5, v7, vcc_lo
	v_cmp_eq_u32_e32 vcc_lo, 6, v17
	s_delay_alu instid0(VALU_DEP_2) | instskip(SKIP_1) | instid1(VALU_DEP_2)
	v_cndmask_b32_e32 v5, v5, v8, vcc_lo
	v_cmp_eq_u32_e32 vcc_lo, 7, v17
	v_cndmask_b32_e32 v5, v5, v9, vcc_lo
	v_cmp_eq_u32_e32 vcc_lo, 8, v17
	s_delay_alu instid0(VALU_DEP_2) | instskip(SKIP_1) | instid1(VALU_DEP_2)
	v_cndmask_b32_e32 v5, v5, v10, vcc_lo
	v_cmp_eq_u32_e32 vcc_lo, 9, v17
	v_cndmask_b32_e32 v5, v5, v11, vcc_lo
	v_cmp_eq_u32_e32 vcc_lo, 10, v17
	s_delay_alu instid0(VALU_DEP_2) | instskip(SKIP_1) | instid1(VALU_DEP_1)
	v_cndmask_b32_e32 v5, v5, v12, vcc_lo
	s_wait_dscnt 0x0
	v_fmac_f32_e32 v14, v5, v15
	s_delay_alu instid0(VALU_DEP_1) | instskip(NEXT) | instid1(VALU_DEP_1)
	v_fma_f32 v5, v4, v18, v14
	v_cndmask_b32_e64 v14, v14, v5, s0
.LBB74_165:
	s_or_b32 exec_lo, exec_lo, s3
	v_mov_b32_e32 v5, 0
	ds_load_b32 v5, v5 offset:12
	s_wait_dscnt 0x0
	v_mul_f32_e32 v5, v14, v5
.LBB74_166:
	s_or_b32 exec_lo, exec_lo, s2
	s_delay_alu instid0(SALU_CYCLE_1)
	s_mov_b32 s2, exec_lo
	ds_store_b32 v13, v6
	s_wait_dscnt 0x0
	s_barrier_signal -1
	s_barrier_wait -1
	v_cmpx_gt_u32_e32 4, v0
	s_cbranch_execz .LBB74_176
; %bb.167:
	v_cmp_ne_u32_e32 vcc_lo, 1, v16
	s_cbranch_vccnz .LBB74_169
; %bb.168:
	v_cmp_eq_u32_e32 vcc_lo, 1, v0
	ds_load_b32 v15, v13
	v_cndmask_b32_e32 v14, v2, v3, vcc_lo
	v_cmp_eq_u32_e32 vcc_lo, 2, v0
	s_delay_alu instid0(VALU_DEP_2) | instskip(SKIP_1) | instid1(VALU_DEP_2)
	v_cndmask_b32_e32 v14, v14, v4, vcc_lo
	v_cmp_eq_u32_e32 vcc_lo, 3, v0
	v_cndmask_b32_e32 v14, v14, v5, vcc_lo
	v_cmp_eq_u32_e32 vcc_lo, 4, v0
	s_delay_alu instid0(VALU_DEP_2) | instskip(SKIP_1) | instid1(VALU_DEP_2)
	v_cndmask_b32_e32 v14, v14, v6, vcc_lo
	v_cmp_eq_u32_e32 vcc_lo, 5, v0
	;; [unrolled: 5-line block ×4, first 2 shown]
	v_cndmask_b32_e32 v14, v14, v11, vcc_lo
	v_cmp_eq_u32_e32 vcc_lo, 10, v0
	s_delay_alu instid0(VALU_DEP_2) | instskip(SKIP_1) | instid1(VALU_DEP_1)
	v_cndmask_b32_e32 v14, v14, v12, vcc_lo
	s_wait_dscnt 0x0
	v_mul_f32_e32 v18, v14, v15
	s_cbranch_execz .LBB74_170
	s_branch .LBB74_171
.LBB74_169:
                                        ; implicit-def: $vgpr18
.LBB74_170:
	ds_load_b32 v18, v13
.LBB74_171:
	s_mov_b32 s3, exec_lo
	v_cmpx_ne_u32_e32 3, v0
	s_cbranch_execz .LBB74_175
; %bb.172:
	v_mov_b64_e32 v[14:15], v[0:1]
	v_lshl_add_u32 v19, v0, 2, 52
	s_mov_b32 s4, 0
.LBB74_173:                             ; =>This Inner Loop Header: Depth=1
	s_delay_alu instid0(VALU_DEP_2)
	v_add_nc_u64_e32 v[14:15], 1, v[14:15]
	ds_load_b32 v21, v19
	v_add_nc_u32_e32 v19, 4, v19
	v_cmp_eq_u32_e32 vcc_lo, 1, v14
	v_cndmask_b32_e32 v20, v2, v3, vcc_lo
	v_cmp_eq_u32_e32 vcc_lo, 2, v14
	s_delay_alu instid0(VALU_DEP_2) | instskip(SKIP_1) | instid1(VALU_DEP_2)
	v_cndmask_b32_e32 v20, v20, v4, vcc_lo
	v_cmp_eq_u32_e32 vcc_lo, 3, v14
	v_cndmask_b32_e32 v20, v20, v5, vcc_lo
	v_cmp_eq_u32_e32 vcc_lo, 4, v14
	s_delay_alu instid0(VALU_DEP_2) | instskip(SKIP_1) | instid1(VALU_DEP_2)
	v_cndmask_b32_e32 v20, v20, v6, vcc_lo
	;; [unrolled: 5-line block ×4, first 2 shown]
	v_cmp_eq_u32_e32 vcc_lo, 9, v14
	v_cndmask_b32_e32 v20, v20, v11, vcc_lo
	v_cmp_eq_u32_e32 vcc_lo, 10, v14
	s_delay_alu instid0(VALU_DEP_2) | instskip(SKIP_2) | instid1(VALU_DEP_2)
	v_cndmask_b32_e32 v20, v20, v12, vcc_lo
	v_cmp_lt_u32_e32 vcc_lo, 2, v14
	s_wait_dscnt 0x0
	v_fmac_f32_e32 v18, v20, v21
	s_or_b32 s4, vcc_lo, s4
	s_delay_alu instid0(SALU_CYCLE_1)
	s_and_not1_b32 exec_lo, exec_lo, s4
	s_cbranch_execnz .LBB74_173
; %bb.174:
	s_or_b32 exec_lo, exec_lo, s4
.LBB74_175:
	s_delay_alu instid0(SALU_CYCLE_1)
	s_or_b32 exec_lo, exec_lo, s3
	v_mov_b32_e32 v6, 0
	ds_load_b32 v6, v6 offset:16
	s_wait_dscnt 0x0
	v_mul_f32_e32 v6, v18, v6
.LBB74_176:
	s_or_b32 exec_lo, exec_lo, s2
	v_cmp_gt_u32_e64 s2, 5, v0
	ds_store_b32 v13, v7
	s_wait_dscnt 0x0
	s_barrier_signal -1
	s_barrier_wait -1
	s_and_saveexec_b32 s3, s2
	s_cbranch_execz .LBB74_186
; %bb.177:
	v_cmp_ne_u32_e32 vcc_lo, 1, v16
	s_cbranch_vccnz .LBB74_179
; %bb.178:
	v_cmp_eq_u32_e32 vcc_lo, 1, v0
	ds_load_b32 v15, v13
	v_cndmask_b32_e32 v14, v2, v3, vcc_lo
	v_cmp_eq_u32_e32 vcc_lo, 2, v0
	s_delay_alu instid0(VALU_DEP_2) | instskip(SKIP_1) | instid1(VALU_DEP_2)
	v_cndmask_b32_e32 v14, v14, v4, vcc_lo
	v_cmp_eq_u32_e32 vcc_lo, 3, v0
	v_cndmask_b32_e32 v14, v14, v5, vcc_lo
	v_cmp_eq_u32_e32 vcc_lo, 4, v0
	s_delay_alu instid0(VALU_DEP_2) | instskip(SKIP_1) | instid1(VALU_DEP_2)
	v_cndmask_b32_e32 v14, v14, v6, vcc_lo
	v_cmp_eq_u32_e32 vcc_lo, 5, v0
	;; [unrolled: 5-line block ×4, first 2 shown]
	v_cndmask_b32_e32 v14, v14, v11, vcc_lo
	v_cmp_eq_u32_e32 vcc_lo, 10, v0
	s_delay_alu instid0(VALU_DEP_2) | instskip(SKIP_1) | instid1(VALU_DEP_1)
	v_cndmask_b32_e32 v14, v14, v12, vcc_lo
	s_wait_dscnt 0x0
	v_mul_f32_e32 v18, v14, v15
	s_cbranch_execz .LBB74_180
	s_branch .LBB74_181
.LBB74_179:
                                        ; implicit-def: $vgpr18
.LBB74_180:
	ds_load_b32 v18, v13
.LBB74_181:
	s_mov_b32 s4, exec_lo
	v_cmpx_ne_u32_e32 4, v0
	s_cbranch_execz .LBB74_185
; %bb.182:
	v_mov_b64_e32 v[14:15], v[0:1]
	v_lshl_add_u32 v19, v0, 2, 52
	s_mov_b32 s5, 0
.LBB74_183:                             ; =>This Inner Loop Header: Depth=1
	s_delay_alu instid0(VALU_DEP_2)
	v_add_nc_u64_e32 v[14:15], 1, v[14:15]
	ds_load_b32 v21, v19
	v_add_nc_u32_e32 v19, 4, v19
	v_cmp_eq_u32_e32 vcc_lo, 1, v14
	v_cndmask_b32_e32 v20, v2, v3, vcc_lo
	v_cmp_eq_u32_e32 vcc_lo, 2, v14
	s_delay_alu instid0(VALU_DEP_2) | instskip(SKIP_1) | instid1(VALU_DEP_2)
	v_cndmask_b32_e32 v20, v20, v4, vcc_lo
	v_cmp_eq_u32_e32 vcc_lo, 3, v14
	v_cndmask_b32_e32 v20, v20, v5, vcc_lo
	v_cmp_eq_u32_e32 vcc_lo, 4, v14
	s_delay_alu instid0(VALU_DEP_2) | instskip(SKIP_1) | instid1(VALU_DEP_2)
	v_cndmask_b32_e32 v20, v20, v6, vcc_lo
	;; [unrolled: 5-line block ×4, first 2 shown]
	v_cmp_eq_u32_e32 vcc_lo, 9, v14
	v_cndmask_b32_e32 v20, v20, v11, vcc_lo
	v_cmp_eq_u32_e32 vcc_lo, 10, v14
	s_delay_alu instid0(VALU_DEP_2) | instskip(SKIP_2) | instid1(VALU_DEP_2)
	v_cndmask_b32_e32 v20, v20, v12, vcc_lo
	v_cmp_lt_u32_e32 vcc_lo, 3, v14
	s_wait_dscnt 0x0
	v_fmac_f32_e32 v18, v20, v21
	s_or_b32 s5, vcc_lo, s5
	s_delay_alu instid0(SALU_CYCLE_1)
	s_and_not1_b32 exec_lo, exec_lo, s5
	s_cbranch_execnz .LBB74_183
; %bb.184:
	s_or_b32 exec_lo, exec_lo, s5
.LBB74_185:
	s_delay_alu instid0(SALU_CYCLE_1)
	s_or_b32 exec_lo, exec_lo, s4
	v_mov_b32_e32 v7, 0
	ds_load_b32 v7, v7 offset:20
	s_wait_dscnt 0x0
	v_mul_f32_e32 v7, v18, v7
.LBB74_186:
	s_or_b32 exec_lo, exec_lo, s3
	s_delay_alu instid0(SALU_CYCLE_1)
	s_mov_b32 s3, exec_lo
	ds_store_b32 v13, v8
	s_wait_dscnt 0x0
	s_barrier_signal -1
	s_barrier_wait -1
	v_cmpx_gt_u32_e32 6, v0
	s_cbranch_execz .LBB74_196
; %bb.187:
	v_cmp_ne_u32_e32 vcc_lo, 1, v16
	s_cbranch_vccnz .LBB74_189
; %bb.188:
	v_cmp_eq_u32_e32 vcc_lo, 1, v0
	ds_load_b32 v15, v13
	v_cndmask_b32_e32 v14, v2, v3, vcc_lo
	v_cmp_eq_u32_e32 vcc_lo, 2, v0
	s_delay_alu instid0(VALU_DEP_2) | instskip(SKIP_1) | instid1(VALU_DEP_2)
	v_cndmask_b32_e32 v14, v14, v4, vcc_lo
	v_cmp_eq_u32_e32 vcc_lo, 3, v0
	v_cndmask_b32_e32 v14, v14, v5, vcc_lo
	v_cmp_eq_u32_e32 vcc_lo, 4, v0
	s_delay_alu instid0(VALU_DEP_2) | instskip(SKIP_1) | instid1(VALU_DEP_2)
	v_cndmask_b32_e32 v14, v14, v6, vcc_lo
	v_cmp_eq_u32_e32 vcc_lo, 5, v0
	;; [unrolled: 5-line block ×4, first 2 shown]
	v_cndmask_b32_e32 v14, v14, v11, vcc_lo
	v_cmp_eq_u32_e32 vcc_lo, 10, v0
	s_delay_alu instid0(VALU_DEP_2) | instskip(SKIP_1) | instid1(VALU_DEP_1)
	v_cndmask_b32_e32 v14, v14, v12, vcc_lo
	s_wait_dscnt 0x0
	v_mul_f32_e32 v18, v14, v15
	s_cbranch_execz .LBB74_190
	s_branch .LBB74_191
.LBB74_189:
                                        ; implicit-def: $vgpr18
.LBB74_190:
	ds_load_b32 v18, v13
.LBB74_191:
	s_mov_b32 s4, exec_lo
	v_cmpx_ne_u32_e32 5, v0
	s_cbranch_execz .LBB74_195
; %bb.192:
	v_mov_b64_e32 v[14:15], v[0:1]
	v_lshl_add_u32 v19, v0, 2, 52
	s_mov_b32 s5, 0
.LBB74_193:                             ; =>This Inner Loop Header: Depth=1
	s_delay_alu instid0(VALU_DEP_2)
	v_add_nc_u64_e32 v[14:15], 1, v[14:15]
	ds_load_b32 v21, v19
	v_add_nc_u32_e32 v19, 4, v19
	v_cmp_eq_u32_e32 vcc_lo, 1, v14
	v_cndmask_b32_e32 v20, v2, v3, vcc_lo
	v_cmp_eq_u32_e32 vcc_lo, 2, v14
	s_delay_alu instid0(VALU_DEP_2) | instskip(SKIP_1) | instid1(VALU_DEP_2)
	v_cndmask_b32_e32 v20, v20, v4, vcc_lo
	v_cmp_eq_u32_e32 vcc_lo, 3, v14
	v_cndmask_b32_e32 v20, v20, v5, vcc_lo
	v_cmp_eq_u32_e32 vcc_lo, 4, v14
	s_delay_alu instid0(VALU_DEP_2) | instskip(SKIP_1) | instid1(VALU_DEP_2)
	v_cndmask_b32_e32 v20, v20, v6, vcc_lo
	;; [unrolled: 5-line block ×4, first 2 shown]
	v_cmp_eq_u32_e32 vcc_lo, 9, v14
	v_cndmask_b32_e32 v20, v20, v11, vcc_lo
	v_cmp_eq_u32_e32 vcc_lo, 10, v14
	s_delay_alu instid0(VALU_DEP_2) | instskip(SKIP_2) | instid1(VALU_DEP_2)
	v_cndmask_b32_e32 v20, v20, v12, vcc_lo
	v_cmp_lt_u32_e32 vcc_lo, 4, v14
	s_wait_dscnt 0x0
	v_fmac_f32_e32 v18, v20, v21
	s_or_b32 s5, vcc_lo, s5
	s_delay_alu instid0(SALU_CYCLE_1)
	s_and_not1_b32 exec_lo, exec_lo, s5
	s_cbranch_execnz .LBB74_193
; %bb.194:
	s_or_b32 exec_lo, exec_lo, s5
.LBB74_195:
	s_delay_alu instid0(SALU_CYCLE_1)
	s_or_b32 exec_lo, exec_lo, s4
	v_mov_b32_e32 v8, 0
	ds_load_b32 v8, v8 offset:24
	s_wait_dscnt 0x0
	v_mul_f32_e32 v8, v18, v8
.LBB74_196:
	s_or_b32 exec_lo, exec_lo, s3
	v_cmp_gt_u32_e64 s4, 7, v0
	ds_store_b32 v13, v9
	s_wait_dscnt 0x0
	s_barrier_signal -1
	s_barrier_wait -1
	s_and_saveexec_b32 s3, s4
	s_cbranch_execz .LBB74_206
; %bb.197:
	v_cmp_ne_u32_e32 vcc_lo, 1, v16
	s_cbranch_vccnz .LBB74_199
; %bb.198:
	v_cmp_eq_u32_e32 vcc_lo, 1, v0
	ds_load_b32 v15, v13
	v_cndmask_b32_e32 v14, v2, v3, vcc_lo
	v_cmp_eq_u32_e32 vcc_lo, 2, v0
	s_delay_alu instid0(VALU_DEP_2) | instskip(SKIP_1) | instid1(VALU_DEP_2)
	v_cndmask_b32_e32 v14, v14, v4, vcc_lo
	v_cmp_eq_u32_e32 vcc_lo, 3, v0
	v_cndmask_b32_e32 v14, v14, v5, vcc_lo
	v_cmp_eq_u32_e32 vcc_lo, 4, v0
	s_delay_alu instid0(VALU_DEP_2) | instskip(SKIP_1) | instid1(VALU_DEP_2)
	v_cndmask_b32_e32 v14, v14, v6, vcc_lo
	v_cmp_eq_u32_e32 vcc_lo, 5, v0
	;; [unrolled: 5-line block ×4, first 2 shown]
	v_cndmask_b32_e32 v14, v14, v11, vcc_lo
	v_cmp_eq_u32_e32 vcc_lo, 10, v0
	s_delay_alu instid0(VALU_DEP_2) | instskip(SKIP_1) | instid1(VALU_DEP_1)
	v_cndmask_b32_e32 v14, v14, v12, vcc_lo
	s_wait_dscnt 0x0
	v_mul_f32_e32 v18, v14, v15
	s_cbranch_execz .LBB74_200
	s_branch .LBB74_201
.LBB74_199:
                                        ; implicit-def: $vgpr18
.LBB74_200:
	ds_load_b32 v18, v13
.LBB74_201:
	s_mov_b32 s5, exec_lo
	v_cmpx_ne_u32_e32 6, v0
	s_cbranch_execz .LBB74_205
; %bb.202:
	v_mov_b64_e32 v[14:15], v[0:1]
	v_lshl_add_u32 v19, v0, 2, 52
	s_mov_b32 s6, 0
.LBB74_203:                             ; =>This Inner Loop Header: Depth=1
	s_delay_alu instid0(VALU_DEP_2)
	v_add_nc_u64_e32 v[14:15], 1, v[14:15]
	ds_load_b32 v21, v19
	v_add_nc_u32_e32 v19, 4, v19
	v_cmp_eq_u32_e32 vcc_lo, 1, v14
	v_cndmask_b32_e32 v20, v2, v3, vcc_lo
	v_cmp_eq_u32_e32 vcc_lo, 2, v14
	s_delay_alu instid0(VALU_DEP_2) | instskip(SKIP_1) | instid1(VALU_DEP_2)
	v_cndmask_b32_e32 v20, v20, v4, vcc_lo
	v_cmp_eq_u32_e32 vcc_lo, 3, v14
	v_cndmask_b32_e32 v20, v20, v5, vcc_lo
	v_cmp_eq_u32_e32 vcc_lo, 4, v14
	s_delay_alu instid0(VALU_DEP_2) | instskip(SKIP_1) | instid1(VALU_DEP_2)
	v_cndmask_b32_e32 v20, v20, v6, vcc_lo
	;; [unrolled: 5-line block ×4, first 2 shown]
	v_cmp_eq_u32_e32 vcc_lo, 9, v14
	v_cndmask_b32_e32 v20, v20, v11, vcc_lo
	v_cmp_eq_u32_e32 vcc_lo, 10, v14
	s_delay_alu instid0(VALU_DEP_2) | instskip(SKIP_2) | instid1(VALU_DEP_2)
	v_cndmask_b32_e32 v20, v20, v12, vcc_lo
	v_cmp_lt_u32_e32 vcc_lo, 5, v14
	s_wait_dscnt 0x0
	v_fmac_f32_e32 v18, v20, v21
	s_or_b32 s6, vcc_lo, s6
	s_delay_alu instid0(SALU_CYCLE_1)
	s_and_not1_b32 exec_lo, exec_lo, s6
	s_cbranch_execnz .LBB74_203
; %bb.204:
	s_or_b32 exec_lo, exec_lo, s6
.LBB74_205:
	s_delay_alu instid0(SALU_CYCLE_1)
	s_or_b32 exec_lo, exec_lo, s5
	v_mov_b32_e32 v9, 0
	ds_load_b32 v9, v9 offset:28
	s_wait_dscnt 0x0
	v_mul_f32_e32 v9, v18, v9
.LBB74_206:
	s_or_b32 exec_lo, exec_lo, s3
	s_delay_alu instid0(SALU_CYCLE_1)
	s_mov_b32 s3, exec_lo
	ds_store_b32 v13, v10
	s_wait_dscnt 0x0
	s_barrier_signal -1
	s_barrier_wait -1
	v_cmpx_gt_u32_e32 8, v0
	s_cbranch_execz .LBB74_216
; %bb.207:
	v_cmp_ne_u32_e32 vcc_lo, 1, v16
	s_cbranch_vccnz .LBB74_209
; %bb.208:
	v_cmp_eq_u32_e32 vcc_lo, 1, v0
	ds_load_b32 v15, v13
	v_cndmask_b32_e32 v14, v2, v3, vcc_lo
	v_cmp_eq_u32_e32 vcc_lo, 2, v0
	s_delay_alu instid0(VALU_DEP_2) | instskip(SKIP_1) | instid1(VALU_DEP_2)
	v_cndmask_b32_e32 v14, v14, v4, vcc_lo
	v_cmp_eq_u32_e32 vcc_lo, 3, v0
	v_cndmask_b32_e32 v14, v14, v5, vcc_lo
	v_cmp_eq_u32_e32 vcc_lo, 4, v0
	s_delay_alu instid0(VALU_DEP_2) | instskip(SKIP_1) | instid1(VALU_DEP_2)
	v_cndmask_b32_e32 v14, v14, v6, vcc_lo
	v_cmp_eq_u32_e32 vcc_lo, 5, v0
	;; [unrolled: 5-line block ×4, first 2 shown]
	v_cndmask_b32_e32 v14, v14, v11, vcc_lo
	v_cmp_eq_u32_e32 vcc_lo, 10, v0
	s_delay_alu instid0(VALU_DEP_2) | instskip(SKIP_1) | instid1(VALU_DEP_1)
	v_cndmask_b32_e32 v14, v14, v12, vcc_lo
	s_wait_dscnt 0x0
	v_mul_f32_e32 v18, v14, v15
	s_cbranch_execz .LBB74_210
	s_branch .LBB74_211
.LBB74_209:
                                        ; implicit-def: $vgpr18
.LBB74_210:
	ds_load_b32 v18, v13
.LBB74_211:
	s_mov_b32 s5, exec_lo
	v_cmpx_ne_u32_e32 7, v0
	s_cbranch_execz .LBB74_215
; %bb.212:
	v_mov_b64_e32 v[14:15], v[0:1]
	v_lshl_add_u32 v19, v0, 2, 52
	s_mov_b32 s6, 0
.LBB74_213:                             ; =>This Inner Loop Header: Depth=1
	s_delay_alu instid0(VALU_DEP_2)
	v_add_nc_u64_e32 v[14:15], 1, v[14:15]
	ds_load_b32 v21, v19
	v_add_nc_u32_e32 v19, 4, v19
	v_cmp_eq_u32_e32 vcc_lo, 1, v14
	v_cndmask_b32_e32 v20, v2, v3, vcc_lo
	v_cmp_eq_u32_e32 vcc_lo, 2, v14
	s_delay_alu instid0(VALU_DEP_2) | instskip(SKIP_1) | instid1(VALU_DEP_2)
	v_cndmask_b32_e32 v20, v20, v4, vcc_lo
	v_cmp_eq_u32_e32 vcc_lo, 3, v14
	v_cndmask_b32_e32 v20, v20, v5, vcc_lo
	v_cmp_eq_u32_e32 vcc_lo, 4, v14
	s_delay_alu instid0(VALU_DEP_2) | instskip(SKIP_1) | instid1(VALU_DEP_2)
	v_cndmask_b32_e32 v20, v20, v6, vcc_lo
	;; [unrolled: 5-line block ×4, first 2 shown]
	v_cmp_eq_u32_e32 vcc_lo, 9, v14
	v_cndmask_b32_e32 v20, v20, v11, vcc_lo
	v_cmp_eq_u32_e32 vcc_lo, 10, v14
	s_delay_alu instid0(VALU_DEP_2) | instskip(SKIP_2) | instid1(VALU_DEP_2)
	v_cndmask_b32_e32 v20, v20, v12, vcc_lo
	v_cmp_lt_u32_e32 vcc_lo, 6, v14
	s_wait_dscnt 0x0
	v_fmac_f32_e32 v18, v20, v21
	s_or_b32 s6, vcc_lo, s6
	s_delay_alu instid0(SALU_CYCLE_1)
	s_and_not1_b32 exec_lo, exec_lo, s6
	s_cbranch_execnz .LBB74_213
; %bb.214:
	s_or_b32 exec_lo, exec_lo, s6
.LBB74_215:
	s_delay_alu instid0(SALU_CYCLE_1)
	s_or_b32 exec_lo, exec_lo, s5
	v_mov_b32_e32 v10, 0
	ds_load_b32 v10, v10 offset:32
	s_wait_dscnt 0x0
	v_mul_f32_e32 v10, v18, v10
.LBB74_216:
	s_or_b32 exec_lo, exec_lo, s3
	v_cmp_gt_u32_e64 s3, 9, v0
	ds_store_b32 v13, v11
	s_wait_dscnt 0x0
	s_barrier_signal -1
	s_barrier_wait -1
	s_and_saveexec_b32 s5, s3
	s_cbranch_execz .LBB74_238
; %bb.217:
	v_cmp_ne_u32_e32 vcc_lo, 1, v16
	s_cbranch_vccnz .LBB74_219
; %bb.218:
	v_cmp_eq_u32_e32 vcc_lo, 1, v0
	ds_load_b32 v15, v13
	v_cndmask_b32_e32 v14, v2, v3, vcc_lo
	v_cmp_eq_u32_e32 vcc_lo, 2, v0
	s_delay_alu instid0(VALU_DEP_2) | instskip(SKIP_1) | instid1(VALU_DEP_2)
	v_cndmask_b32_e32 v14, v14, v4, vcc_lo
	v_cmp_eq_u32_e32 vcc_lo, 3, v0
	v_cndmask_b32_e32 v14, v14, v5, vcc_lo
	v_cmp_eq_u32_e32 vcc_lo, 4, v0
	s_delay_alu instid0(VALU_DEP_2) | instskip(SKIP_1) | instid1(VALU_DEP_2)
	v_cndmask_b32_e32 v14, v14, v6, vcc_lo
	v_cmp_eq_u32_e32 vcc_lo, 5, v0
	;; [unrolled: 5-line block ×4, first 2 shown]
	v_cndmask_b32_e32 v14, v14, v11, vcc_lo
	v_cmp_eq_u32_e32 vcc_lo, 10, v0
	s_delay_alu instid0(VALU_DEP_2) | instskip(SKIP_1) | instid1(VALU_DEP_1)
	v_cndmask_b32_e32 v14, v14, v12, vcc_lo
	s_wait_dscnt 0x0
	v_mul_f32_e32 v14, v14, v15
	s_cbranch_execz .LBB74_220
	s_branch .LBB74_221
.LBB74_219:
                                        ; implicit-def: $vgpr14
.LBB74_220:
	ds_load_b32 v14, v13
.LBB74_221:
	s_mov_b32 s6, exec_lo
	v_cmpx_ne_u32_e32 8, v0
	s_cbranch_execz .LBB74_237
; %bb.222:
	v_cmp_eq_u32_e32 vcc_lo, 1, v17
	ds_load_b32 v18, v13 offset:4
	v_cndmask_b32_e32 v15, v2, v3, vcc_lo
	v_cmp_eq_u32_e32 vcc_lo, 2, v17
	s_delay_alu instid0(VALU_DEP_2) | instskip(SKIP_1) | instid1(VALU_DEP_2)
	v_cndmask_b32_e32 v15, v15, v4, vcc_lo
	v_cmp_eq_u32_e32 vcc_lo, 3, v17
	v_cndmask_b32_e32 v15, v15, v5, vcc_lo
	v_cmp_eq_u32_e32 vcc_lo, 4, v17
	s_delay_alu instid0(VALU_DEP_2) | instskip(SKIP_1) | instid1(VALU_DEP_2)
	v_cndmask_b32_e32 v15, v15, v6, vcc_lo
	v_cmp_eq_u32_e32 vcc_lo, 5, v17
	;; [unrolled: 5-line block ×4, first 2 shown]
	v_cndmask_b32_e32 v15, v15, v11, vcc_lo
	v_cmp_eq_u32_e32 vcc_lo, 10, v17
	s_delay_alu instid0(VALU_DEP_2) | instskip(SKIP_1) | instid1(VALU_DEP_1)
	v_cndmask_b32_e32 v15, v15, v12, vcc_lo
	s_wait_dscnt 0x0
	v_fmac_f32_e32 v14, v15, v18
	s_and_saveexec_b32 s7, s4
	s_cbranch_execz .LBB74_236
; %bb.223:
	v_add_nc_u32_e32 v15, 2, v0
	ds_load_b32 v18, v13 offset:8
	s_mov_b32 s4, exec_lo
	v_cmp_eq_u32_e32 vcc_lo, 1, v15
	v_cndmask_b32_e32 v17, v2, v3, vcc_lo
	v_cmp_eq_u32_e32 vcc_lo, 2, v15
	s_delay_alu instid0(VALU_DEP_2) | instskip(SKIP_1) | instid1(VALU_DEP_2)
	v_cndmask_b32_e32 v17, v17, v4, vcc_lo
	v_cmp_eq_u32_e32 vcc_lo, 3, v15
	v_cndmask_b32_e32 v17, v17, v5, vcc_lo
	v_cmp_eq_u32_e32 vcc_lo, 4, v15
	s_delay_alu instid0(VALU_DEP_2) | instskip(SKIP_1) | instid1(VALU_DEP_2)
	v_cndmask_b32_e32 v17, v17, v6, vcc_lo
	;; [unrolled: 5-line block ×4, first 2 shown]
	v_cmp_eq_u32_e32 vcc_lo, 9, v15
	v_cndmask_b32_e32 v17, v17, v11, vcc_lo
	v_cmp_eq_u32_e32 vcc_lo, 10, v15
	s_delay_alu instid0(VALU_DEP_2) | instskip(SKIP_1) | instid1(VALU_DEP_1)
	v_cndmask_b32_e32 v15, v17, v12, vcc_lo
	s_wait_dscnt 0x0
	v_fmac_f32_e32 v14, v15, v18
	v_cmpx_ne_u32_e32 6, v0
	s_cbranch_execz .LBB74_235
; %bb.224:
	v_add_nc_u32_e32 v15, 3, v0
	ds_load_b32 v18, v13 offset:12
	v_cmp_eq_u32_e32 vcc_lo, 1, v15
	v_cndmask_b32_e32 v17, v2, v3, vcc_lo
	v_cmp_eq_u32_e32 vcc_lo, 2, v15
	s_delay_alu instid0(VALU_DEP_2) | instskip(SKIP_1) | instid1(VALU_DEP_2)
	v_cndmask_b32_e32 v17, v17, v4, vcc_lo
	v_cmp_eq_u32_e32 vcc_lo, 3, v15
	v_cndmask_b32_e32 v17, v17, v5, vcc_lo
	v_cmp_eq_u32_e32 vcc_lo, 4, v15
	s_delay_alu instid0(VALU_DEP_2) | instskip(SKIP_1) | instid1(VALU_DEP_2)
	v_cndmask_b32_e32 v17, v17, v6, vcc_lo
	;; [unrolled: 5-line block ×4, first 2 shown]
	v_cmp_eq_u32_e32 vcc_lo, 9, v15
	v_cndmask_b32_e32 v17, v17, v11, vcc_lo
	v_cmp_eq_u32_e32 vcc_lo, 10, v15
	s_delay_alu instid0(VALU_DEP_2) | instskip(SKIP_1) | instid1(VALU_DEP_1)
	v_cndmask_b32_e32 v15, v17, v12, vcc_lo
	s_wait_dscnt 0x0
	v_fmac_f32_e32 v14, v15, v18
	s_and_saveexec_b32 s8, s2
	s_cbranch_execz .LBB74_234
; %bb.225:
	v_add_nc_u32_e32 v15, 4, v0
	ds_load_b32 v18, v13 offset:16
	s_mov_b32 s2, exec_lo
	v_cmp_eq_u32_e32 vcc_lo, 1, v15
	v_cndmask_b32_e32 v17, v2, v3, vcc_lo
	v_cmp_eq_u32_e32 vcc_lo, 2, v15
	s_delay_alu instid0(VALU_DEP_2) | instskip(SKIP_1) | instid1(VALU_DEP_2)
	v_cndmask_b32_e32 v17, v17, v4, vcc_lo
	v_cmp_eq_u32_e32 vcc_lo, 3, v15
	v_cndmask_b32_e32 v17, v17, v5, vcc_lo
	v_cmp_eq_u32_e32 vcc_lo, 4, v15
	s_delay_alu instid0(VALU_DEP_2) | instskip(SKIP_1) | instid1(VALU_DEP_2)
	v_cndmask_b32_e32 v17, v17, v6, vcc_lo
	;; [unrolled: 5-line block ×4, first 2 shown]
	v_cmp_eq_u32_e32 vcc_lo, 9, v15
	v_cndmask_b32_e32 v17, v17, v11, vcc_lo
	v_cmp_eq_u32_e32 vcc_lo, 10, v15
	s_delay_alu instid0(VALU_DEP_2) | instskip(SKIP_1) | instid1(VALU_DEP_1)
	v_cndmask_b32_e32 v15, v17, v12, vcc_lo
	s_wait_dscnt 0x0
	v_fmac_f32_e32 v14, v15, v18
	v_cmpx_ne_u32_e32 4, v0
	s_cbranch_execz .LBB74_233
; %bb.226:
	v_add_nc_u32_e32 v15, 5, v0
	ds_load_b32 v18, v13 offset:20
	v_cmp_eq_u32_e32 vcc_lo, 1, v15
	v_cndmask_b32_e32 v17, v2, v3, vcc_lo
	v_cmp_eq_u32_e32 vcc_lo, 2, v15
	s_delay_alu instid0(VALU_DEP_2) | instskip(SKIP_1) | instid1(VALU_DEP_2)
	v_cndmask_b32_e32 v17, v17, v4, vcc_lo
	v_cmp_eq_u32_e32 vcc_lo, 3, v15
	v_cndmask_b32_e32 v17, v17, v5, vcc_lo
	v_cmp_eq_u32_e32 vcc_lo, 4, v15
	s_delay_alu instid0(VALU_DEP_2) | instskip(SKIP_1) | instid1(VALU_DEP_2)
	v_cndmask_b32_e32 v17, v17, v6, vcc_lo
	;; [unrolled: 5-line block ×4, first 2 shown]
	v_cmp_eq_u32_e32 vcc_lo, 9, v15
	v_cndmask_b32_e32 v17, v17, v11, vcc_lo
	v_cmp_eq_u32_e32 vcc_lo, 10, v15
	s_delay_alu instid0(VALU_DEP_2) | instskip(SKIP_1) | instid1(VALU_DEP_1)
	v_cndmask_b32_e32 v15, v17, v12, vcc_lo
	s_wait_dscnt 0x0
	v_fmac_f32_e32 v14, v15, v18
	s_and_saveexec_b32 s9, s1
	s_cbranch_execz .LBB74_232
; %bb.227:
	v_add_nc_u32_e32 v15, 6, v0
	ds_load_b32 v18, v13 offset:24
	s_mov_b32 s1, exec_lo
	v_cmp_eq_u32_e32 vcc_lo, 1, v15
	v_cndmask_b32_e32 v17, v2, v3, vcc_lo
	v_cmp_eq_u32_e32 vcc_lo, 2, v15
	s_delay_alu instid0(VALU_DEP_2) | instskip(SKIP_1) | instid1(VALU_DEP_2)
	v_cndmask_b32_e32 v17, v17, v4, vcc_lo
	v_cmp_eq_u32_e32 vcc_lo, 3, v15
	v_cndmask_b32_e32 v17, v17, v5, vcc_lo
	v_cmp_eq_u32_e32 vcc_lo, 4, v15
	s_delay_alu instid0(VALU_DEP_2) | instskip(SKIP_1) | instid1(VALU_DEP_2)
	v_cndmask_b32_e32 v17, v17, v6, vcc_lo
	;; [unrolled: 5-line block ×4, first 2 shown]
	v_cmp_eq_u32_e32 vcc_lo, 9, v15
	v_cndmask_b32_e32 v17, v17, v11, vcc_lo
	v_cmp_eq_u32_e32 vcc_lo, 10, v15
	s_delay_alu instid0(VALU_DEP_2) | instskip(SKIP_1) | instid1(VALU_DEP_1)
	v_cndmask_b32_e32 v15, v17, v12, vcc_lo
	s_wait_dscnt 0x0
	v_fmac_f32_e32 v14, v15, v18
	v_cmpx_ne_u32_e32 2, v0
	s_cbranch_execz .LBB74_231
; %bb.228:
	v_add_nc_u32_e32 v15, 7, v0
	ds_load_b32 v18, v13 offset:28
	v_cmp_eq_u32_e32 vcc_lo, 1, v15
	v_cndmask_b32_e32 v17, v2, v3, vcc_lo
	v_cmp_eq_u32_e32 vcc_lo, 2, v15
	s_delay_alu instid0(VALU_DEP_2) | instskip(SKIP_1) | instid1(VALU_DEP_2)
	v_cndmask_b32_e32 v17, v17, v4, vcc_lo
	v_cmp_eq_u32_e32 vcc_lo, 3, v15
	v_cndmask_b32_e32 v17, v17, v5, vcc_lo
	v_cmp_eq_u32_e32 vcc_lo, 4, v15
	s_delay_alu instid0(VALU_DEP_2) | instskip(SKIP_1) | instid1(VALU_DEP_2)
	v_cndmask_b32_e32 v17, v17, v6, vcc_lo
	;; [unrolled: 5-line block ×4, first 2 shown]
	v_cmp_eq_u32_e32 vcc_lo, 9, v15
	v_cndmask_b32_e32 v11, v17, v11, vcc_lo
	v_cmp_eq_u32_e32 vcc_lo, 10, v15
	s_delay_alu instid0(VALU_DEP_2) | instskip(SKIP_1) | instid1(VALU_DEP_1)
	v_cndmask_b32_e32 v11, v11, v12, vcc_lo
	s_wait_dscnt 0x0
	v_fmac_f32_e32 v14, v11, v18
	s_and_saveexec_b32 s10, s0
	s_cbranch_execz .LBB74_230
; %bb.229:
	ds_load_b32 v11, v13 offset:32
	s_wait_dscnt 0x0
	v_fmac_f32_e32 v14, v10, v11
.LBB74_230:
	s_or_b32 exec_lo, exec_lo, s10
.LBB74_231:
	s_delay_alu instid0(SALU_CYCLE_1)
	s_or_b32 exec_lo, exec_lo, s1
.LBB74_232:
	s_delay_alu instid0(SALU_CYCLE_1)
	s_or_b32 exec_lo, exec_lo, s9
.LBB74_233:
	s_delay_alu instid0(SALU_CYCLE_1)
	s_or_b32 exec_lo, exec_lo, s2
.LBB74_234:
	s_delay_alu instid0(SALU_CYCLE_1)
	s_or_b32 exec_lo, exec_lo, s8
.LBB74_235:
	s_delay_alu instid0(SALU_CYCLE_1)
	s_or_b32 exec_lo, exec_lo, s4
.LBB74_236:
	s_delay_alu instid0(SALU_CYCLE_1)
	s_or_b32 exec_lo, exec_lo, s7
.LBB74_237:
	s_delay_alu instid0(SALU_CYCLE_1)
	s_or_b32 exec_lo, exec_lo, s6
	v_mov_b32_e32 v11, 0
	ds_load_b32 v11, v11 offset:36
	s_wait_dscnt 0x0
	v_mul_f32_e32 v11, v14, v11
.LBB74_238:
	s_or_b32 exec_lo, exec_lo, s5
	s_delay_alu instid0(SALU_CYCLE_1)
	s_mov_b32 s0, exec_lo
	ds_store_b32 v13, v12
	s_wait_dscnt 0x0
	s_barrier_signal -1
	s_barrier_wait -1
	v_cmpx_ne_u32_e32 10, v0
	s_cbranch_execz .LBB74_248
; %bb.239:
	v_cmp_ne_u32_e32 vcc_lo, 1, v16
	s_cbranch_vccnz .LBB74_241
; %bb.240:
	v_cmp_eq_u32_e32 vcc_lo, 1, v0
	ds_load_b32 v15, v13
	v_cndmask_b32_e32 v14, v2, v3, vcc_lo
	v_cmp_eq_u32_e32 vcc_lo, 2, v0
	s_delay_alu instid0(VALU_DEP_2) | instskip(SKIP_1) | instid1(VALU_DEP_2)
	v_cndmask_b32_e32 v14, v14, v4, vcc_lo
	v_cmp_eq_u32_e32 vcc_lo, 3, v0
	v_cndmask_b32_e32 v14, v14, v5, vcc_lo
	v_cmp_eq_u32_e32 vcc_lo, 4, v0
	s_delay_alu instid0(VALU_DEP_2) | instskip(SKIP_1) | instid1(VALU_DEP_2)
	v_cndmask_b32_e32 v14, v14, v6, vcc_lo
	v_cmp_eq_u32_e32 vcc_lo, 5, v0
	;; [unrolled: 5-line block ×4, first 2 shown]
	v_cndmask_b32_e32 v14, v14, v11, vcc_lo
	v_cmp_eq_u32_e32 vcc_lo, 10, v0
	s_delay_alu instid0(VALU_DEP_2) | instskip(SKIP_1) | instid1(VALU_DEP_1)
	v_cndmask_b32_e32 v14, v14, v12, vcc_lo
	s_wait_dscnt 0x0
	v_mul_f32_e32 v14, v14, v15
	s_cbranch_execz .LBB74_242
	s_branch .LBB74_243
.LBB74_241:
                                        ; implicit-def: $vgpr14
.LBB74_242:
	ds_load_b32 v14, v13
.LBB74_243:
	s_and_saveexec_b32 s1, s3
	s_cbranch_execz .LBB74_247
; %bb.244:
	v_lshl_add_u32 v13, v0, 2, 52
	s_mov_b32 s2, 0
.LBB74_245:                             ; =>This Inner Loop Header: Depth=1
	v_add_nc_u64_e32 v[0:1], 1, v[0:1]
	ds_load_b32 v16, v13
	v_add_nc_u32_e32 v13, 4, v13
	v_cmp_eq_u32_e32 vcc_lo, 1, v0
	v_cndmask_b32_e32 v15, v2, v3, vcc_lo
	v_cmp_eq_u32_e32 vcc_lo, 2, v0
	s_delay_alu instid0(VALU_DEP_2) | instskip(SKIP_1) | instid1(VALU_DEP_2)
	v_cndmask_b32_e32 v15, v15, v4, vcc_lo
	v_cmp_eq_u32_e32 vcc_lo, 3, v0
	v_cndmask_b32_e32 v15, v15, v5, vcc_lo
	v_cmp_eq_u32_e32 vcc_lo, 4, v0
	s_delay_alu instid0(VALU_DEP_2) | instskip(SKIP_1) | instid1(VALU_DEP_2)
	v_cndmask_b32_e32 v15, v15, v6, vcc_lo
	;; [unrolled: 5-line block ×4, first 2 shown]
	v_cmp_eq_u32_e32 vcc_lo, 9, v0
	v_cndmask_b32_e32 v15, v15, v11, vcc_lo
	v_cmp_eq_u32_e32 vcc_lo, 10, v0
	s_delay_alu instid0(VALU_DEP_2) | instskip(SKIP_2) | instid1(VALU_DEP_2)
	v_cndmask_b32_e32 v15, v15, v12, vcc_lo
	v_cmp_lt_u32_e32 vcc_lo, 8, v0
	s_wait_dscnt 0x0
	v_fmac_f32_e32 v14, v15, v16
	s_or_b32 s2, vcc_lo, s2
	s_delay_alu instid0(SALU_CYCLE_1)
	s_and_not1_b32 exec_lo, exec_lo, s2
	s_cbranch_execnz .LBB74_245
; %bb.246:
	s_or_b32 exec_lo, exec_lo, s2
.LBB74_247:
	s_delay_alu instid0(SALU_CYCLE_1)
	s_or_b32 exec_lo, exec_lo, s1
	v_mov_b32_e32 v0, 0
	ds_load_b32 v0, v0 offset:40
	s_wait_dscnt 0x0
	v_mul_f32_e32 v12, v14, v0
.LBB74_248:
	s_or_b32 exec_lo, exec_lo, s0
	s_delay_alu instid0(VALU_DEP_1)
	v_dual_mov_b32 v24, v12 :: v_dual_mov_b32 v23, v11
	v_dual_mov_b32 v22, v10 :: v_dual_mov_b32 v21, v9
	;; [unrolled: 1-line block ×5, first 2 shown]
	v_mov_b32_e32 v14, v2
.LBB74_249:
	s_wait_xcnt 0x2
	v_lshl_add_u64 v[0:1], v[26:27], 2, s[14:15]
	s_wait_loadcnt_dscnt 0x203
	v_lshl_add_u64 v[2:3], v[28:29], 2, s[14:15]
	v_lshl_add_u64 v[4:5], v[30:31], 2, s[14:15]
	;; [unrolled: 1-line block ×4, first 2 shown]
	s_wait_loadcnt_dscnt 0x102
	v_lshl_add_u64 v[10:11], v[38:39], 2, s[14:15]
	s_wait_loadcnt_dscnt 0x1
	v_lshl_add_u64 v[12:13], v[42:43], 2, s[14:15]
	v_lshl_add_u64 v[26:27], v[44:45], 2, s[14:15]
	;; [unrolled: 1-line block ×3, first 2 shown]
	s_clause 0xa
	flat_store_b32 v[36:37], v14
	flat_store_b32 v[40:41], v15
	;; [unrolled: 1-line block ×11, first 2 shown]
.LBB74_250:
	s_endpgm
	.section	.rodata,"a",@progbits
	.p2align	6, 0x0
	.amdhsa_kernel _ZN9rocsolver6v33100L18trti2_kernel_smallILi11EfPKPfEEv13rocblas_fill_17rocblas_diagonal_T1_iil
		.amdhsa_group_segment_fixed_size 92
		.amdhsa_private_segment_fixed_size 0
		.amdhsa_kernarg_size 32
		.amdhsa_user_sgpr_count 2
		.amdhsa_user_sgpr_dispatch_ptr 0
		.amdhsa_user_sgpr_queue_ptr 0
		.amdhsa_user_sgpr_kernarg_segment_ptr 1
		.amdhsa_user_sgpr_dispatch_id 0
		.amdhsa_user_sgpr_kernarg_preload_length 0
		.amdhsa_user_sgpr_kernarg_preload_offset 0
		.amdhsa_user_sgpr_private_segment_size 0
		.amdhsa_wavefront_size32 1
		.amdhsa_uses_dynamic_stack 0
		.amdhsa_enable_private_segment 0
		.amdhsa_system_sgpr_workgroup_id_x 1
		.amdhsa_system_sgpr_workgroup_id_y 0
		.amdhsa_system_sgpr_workgroup_id_z 0
		.amdhsa_system_sgpr_workgroup_info 0
		.amdhsa_system_vgpr_workitem_id 0
		.amdhsa_next_free_vgpr 61
		.amdhsa_next_free_sgpr 16
		.amdhsa_named_barrier_count 0
		.amdhsa_reserve_vcc 1
		.amdhsa_float_round_mode_32 0
		.amdhsa_float_round_mode_16_64 0
		.amdhsa_float_denorm_mode_32 3
		.amdhsa_float_denorm_mode_16_64 3
		.amdhsa_fp16_overflow 0
		.amdhsa_memory_ordered 1
		.amdhsa_forward_progress 1
		.amdhsa_inst_pref_size 89
		.amdhsa_round_robin_scheduling 0
		.amdhsa_exception_fp_ieee_invalid_op 0
		.amdhsa_exception_fp_denorm_src 0
		.amdhsa_exception_fp_ieee_div_zero 0
		.amdhsa_exception_fp_ieee_overflow 0
		.amdhsa_exception_fp_ieee_underflow 0
		.amdhsa_exception_fp_ieee_inexact 0
		.amdhsa_exception_int_div_zero 0
	.end_amdhsa_kernel
	.section	.text._ZN9rocsolver6v33100L18trti2_kernel_smallILi11EfPKPfEEv13rocblas_fill_17rocblas_diagonal_T1_iil,"axG",@progbits,_ZN9rocsolver6v33100L18trti2_kernel_smallILi11EfPKPfEEv13rocblas_fill_17rocblas_diagonal_T1_iil,comdat
.Lfunc_end74:
	.size	_ZN9rocsolver6v33100L18trti2_kernel_smallILi11EfPKPfEEv13rocblas_fill_17rocblas_diagonal_T1_iil, .Lfunc_end74-_ZN9rocsolver6v33100L18trti2_kernel_smallILi11EfPKPfEEv13rocblas_fill_17rocblas_diagonal_T1_iil
                                        ; -- End function
	.set _ZN9rocsolver6v33100L18trti2_kernel_smallILi11EfPKPfEEv13rocblas_fill_17rocblas_diagonal_T1_iil.num_vgpr, 61
	.set _ZN9rocsolver6v33100L18trti2_kernel_smallILi11EfPKPfEEv13rocblas_fill_17rocblas_diagonal_T1_iil.num_agpr, 0
	.set _ZN9rocsolver6v33100L18trti2_kernel_smallILi11EfPKPfEEv13rocblas_fill_17rocblas_diagonal_T1_iil.numbered_sgpr, 16
	.set _ZN9rocsolver6v33100L18trti2_kernel_smallILi11EfPKPfEEv13rocblas_fill_17rocblas_diagonal_T1_iil.num_named_barrier, 0
	.set _ZN9rocsolver6v33100L18trti2_kernel_smallILi11EfPKPfEEv13rocblas_fill_17rocblas_diagonal_T1_iil.private_seg_size, 0
	.set _ZN9rocsolver6v33100L18trti2_kernel_smallILi11EfPKPfEEv13rocblas_fill_17rocblas_diagonal_T1_iil.uses_vcc, 1
	.set _ZN9rocsolver6v33100L18trti2_kernel_smallILi11EfPKPfEEv13rocblas_fill_17rocblas_diagonal_T1_iil.uses_flat_scratch, 1
	.set _ZN9rocsolver6v33100L18trti2_kernel_smallILi11EfPKPfEEv13rocblas_fill_17rocblas_diagonal_T1_iil.has_dyn_sized_stack, 0
	.set _ZN9rocsolver6v33100L18trti2_kernel_smallILi11EfPKPfEEv13rocblas_fill_17rocblas_diagonal_T1_iil.has_recursion, 0
	.set _ZN9rocsolver6v33100L18trti2_kernel_smallILi11EfPKPfEEv13rocblas_fill_17rocblas_diagonal_T1_iil.has_indirect_call, 0
	.section	.AMDGPU.csdata,"",@progbits
; Kernel info:
; codeLenInByte = 11312
; TotalNumSgprs: 18
; NumVgprs: 61
; ScratchSize: 0
; MemoryBound: 0
; FloatMode: 240
; IeeeMode: 1
; LDSByteSize: 92 bytes/workgroup (compile time only)
; SGPRBlocks: 0
; VGPRBlocks: 3
; NumSGPRsForWavesPerEU: 18
; NumVGPRsForWavesPerEU: 61
; NamedBarCnt: 0
; Occupancy: 16
; WaveLimiterHint : 1
; COMPUTE_PGM_RSRC2:SCRATCH_EN: 0
; COMPUTE_PGM_RSRC2:USER_SGPR: 2
; COMPUTE_PGM_RSRC2:TRAP_HANDLER: 0
; COMPUTE_PGM_RSRC2:TGID_X_EN: 1
; COMPUTE_PGM_RSRC2:TGID_Y_EN: 0
; COMPUTE_PGM_RSRC2:TGID_Z_EN: 0
; COMPUTE_PGM_RSRC2:TIDIG_COMP_CNT: 0
	.section	.text._ZN9rocsolver6v33100L18trti2_kernel_smallILi12EfPKPfEEv13rocblas_fill_17rocblas_diagonal_T1_iil,"axG",@progbits,_ZN9rocsolver6v33100L18trti2_kernel_smallILi12EfPKPfEEv13rocblas_fill_17rocblas_diagonal_T1_iil,comdat
	.globl	_ZN9rocsolver6v33100L18trti2_kernel_smallILi12EfPKPfEEv13rocblas_fill_17rocblas_diagonal_T1_iil ; -- Begin function _ZN9rocsolver6v33100L18trti2_kernel_smallILi12EfPKPfEEv13rocblas_fill_17rocblas_diagonal_T1_iil
	.p2align	8
	.type	_ZN9rocsolver6v33100L18trti2_kernel_smallILi12EfPKPfEEv13rocblas_fill_17rocblas_diagonal_T1_iil,@function
_ZN9rocsolver6v33100L18trti2_kernel_smallILi12EfPKPfEEv13rocblas_fill_17rocblas_diagonal_T1_iil: ; @_ZN9rocsolver6v33100L18trti2_kernel_smallILi12EfPKPfEEv13rocblas_fill_17rocblas_diagonal_T1_iil
; %bb.0:
	s_mov_b32 s2, exec_lo
	v_cmpx_gt_u32_e32 12, v0
	s_cbranch_execz .LBB75_276
; %bb.1:
	s_clause 0x1
	s_load_b64 s[2:3], s[0:1], 0x10
	s_load_b128 s[12:15], s[0:1], 0x0
	s_wait_xcnt 0x0
	s_bfe_u32 s0, ttmp6, 0x4000c
	s_and_b32 s1, ttmp6, 15
	s_add_co_i32 s0, s0, 1
	s_getreg_b32 s4, hwreg(HW_REG_IB_STS2, 6, 4)
	s_mul_i32 s0, ttmp9, s0
	v_mov_b32_e32 v1, 0
	s_add_co_i32 s0, s1, s0
	s_delay_alu instid0(VALU_DEP_1)
	v_dual_mov_b32 v15, v1 :: v_dual_lshlrev_b32 v14, 2, v0
	s_wait_kmcnt 0x0
	s_ashr_i32 s1, s2, 31
	v_add3_u32 v26, s3, s3, v0
	s_cmp_eq_u32 s4, 0
	s_cselect_b32 s4, ttmp9, s0
	s_mov_b32 s0, s2
	s_ashr_i32 s5, s4, 31
	v_add_nc_u32_e32 v28, s3, v26
	s_lshl_b64 s[4:5], s[4:5], 3
	s_lshl_b64 s[0:1], s[0:1], 2
	s_add_nc_u64 s[4:5], s[14:15], s[4:5]
	s_delay_alu instid0(VALU_DEP_1) | instskip(SKIP_1) | instid1(VALU_DEP_1)
	v_add_nc_u32_e32 v30, s3, v28
	s_load_b64 s[4:5], s[4:5], 0x0
	v_add_nc_u32_e32 v32, s3, v30
	s_delay_alu instid0(VALU_DEP_1) | instskip(NEXT) | instid1(VALU_DEP_1)
	v_add_nc_u32_e32 v34, s3, v32
	v_add_nc_u32_e32 v36, s3, v34
	s_delay_alu instid0(VALU_DEP_1)
	v_add_nc_u32_e32 v40, s3, v36
	s_wait_kmcnt 0x0
	s_add_nc_u64 s[14:15], s[4:5], s[0:1]
	s_mov_b32 s0, s3
	v_add_nc_u64_e32 v[38:39], s[14:15], v[14:15]
	s_ashr_i32 s1, s3, 31
	v_dual_mov_b32 v15, -1.0 :: v_dual_add_nc_u32 v44, s3, v40
	s_cmp_lg_u32 s13, 0x84
	s_cselect_b32 s16, -1, 0
	s_delay_alu instid0(VALU_DEP_1) | instskip(NEXT) | instid1(VALU_DEP_3)
	v_add_nc_u32_e32 v46, s3, v44
	v_lshl_add_u64 v[42:43], s[0:1], 2, v[38:39]
	v_cmp_eq_u32_e64 s0, 0, v0
	s_cmp_eq_u32 s13, 0x84
	v_add_nc_u32_e32 v48, s3, v46
	s_clause 0xb
	flat_load_b32 v3, v[42:43]
	flat_load_b32 v4, v26, s[14:15] scale_offset
	flat_load_b32 v5, v28, s[14:15] scale_offset
	;; [unrolled: 1-line block ×11, first 2 shown]
	s_cbranch_scc1 .LBB75_3
; %bb.2:
	v_cmp_eq_u32_e64 s1, 1, v0
	v_cmp_eq_u32_e64 s2, 2, v0
	v_cmp_eq_u32_e64 s3, 3, v0
	v_cmp_eq_u32_e64 s4, 4, v0
	v_cmp_eq_u32_e64 s5, 5, v0
	s_wait_loadcnt_dscnt 0x303
	v_cndmask_b32_e64 v15, v2, v3, s1
	v_cmp_eq_u32_e64 s6, 6, v0
	v_cmp_eq_u32_e64 s7, 7, v0
	;; [unrolled: 1-line block ×4, first 2 shown]
	v_cndmask_b32_e64 v15, v15, v4, s2
	v_cmp_eq_u32_e64 s10, 10, v0
	v_cmp_eq_u32_e64 s11, 11, v0
	s_delay_alu instid0(VALU_DEP_3) | instskip(NEXT) | instid1(VALU_DEP_1)
	v_cndmask_b32_e64 v15, v15, v5, s3
	v_cndmask_b32_e64 v15, v15, v6, s4
	s_delay_alu instid0(VALU_DEP_1) | instskip(NEXT) | instid1(VALU_DEP_1)
	v_cndmask_b32_e64 v15, v15, v7, s5
	v_cndmask_b32_e64 v15, v15, v8, s6
	s_delay_alu instid0(VALU_DEP_1) | instskip(NEXT) | instid1(VALU_DEP_1)
	v_cndmask_b32_e64 v15, v15, v9, s7
	v_cndmask_b32_e64 v15, v15, v10, s8
	s_wait_loadcnt_dscnt 0x202
	s_delay_alu instid0(VALU_DEP_1) | instskip(SKIP_1) | instid1(VALU_DEP_1)
	v_cndmask_b32_e64 v15, v15, v11, s9
	s_wait_loadcnt_dscnt 0x101
	v_cndmask_b32_e64 v15, v15, v12, s10
	s_wait_loadcnt_dscnt 0x0
	s_delay_alu instid0(VALU_DEP_1) | instskip(NEXT) | instid1(VALU_DEP_1)
	v_cndmask_b32_e64 v15, v15, v13, s11
	v_div_scale_f32 v16, null, v15, v15, 1.0
	v_div_scale_f32 v19, vcc_lo, 1.0, v15, 1.0
	s_delay_alu instid0(VALU_DEP_2) | instskip(SKIP_1) | instid1(TRANS32_DEP_1)
	v_rcp_f32_e32 v17, v16
	v_nop
	v_fma_f32 v18, -v16, v17, 1.0
	s_delay_alu instid0(VALU_DEP_1) | instskip(NEXT) | instid1(VALU_DEP_1)
	v_fmac_f32_e32 v17, v18, v17
	v_mul_f32_e32 v18, v19, v17
	s_delay_alu instid0(VALU_DEP_1) | instskip(NEXT) | instid1(VALU_DEP_1)
	v_fma_f32 v20, -v16, v18, v19
	v_fmac_f32_e32 v18, v20, v17
	s_delay_alu instid0(VALU_DEP_1) | instskip(NEXT) | instid1(VALU_DEP_1)
	v_fma_f32 v16, -v16, v18, v19
	v_div_fmas_f32 v16, v16, v17, v18
	s_delay_alu instid0(VALU_DEP_1) | instskip(NEXT) | instid1(VALU_DEP_1)
	v_div_fixup_f32 v15, v16, v15, 1.0
	v_dual_cndmask_b32 v13, v13, v15, s11 :: v_dual_cndmask_b32 v12, v12, v15, s10
	v_dual_cndmask_b32 v11, v11, v15, s9 :: v_dual_cndmask_b32 v10, v10, v15, s8
	v_dual_cndmask_b32 v9, v9, v15, s7 :: v_dual_cndmask_b32 v8, v8, v15, s6
	v_dual_cndmask_b32 v7, v7, v15, s5 :: v_dual_cndmask_b32 v6, v6, v15, s4
	v_dual_cndmask_b32 v5, v5, v15, s3 :: v_dual_cndmask_b32 v4, v4, v15, s2
	v_dual_cndmask_b32 v3, v3, v15, s1 :: v_dual_cndmask_b32 v2, v2, v15, s0
	v_xor_b32_e32 v15, 0x80000000, v15
.LBB75_3:
	v_dual_ashrrev_i32 v27, 31, v26 :: v_dual_ashrrev_i32 v29, 31, v28
	v_dual_ashrrev_i32 v31, 31, v30 :: v_dual_ashrrev_i32 v33, 31, v32
	;; [unrolled: 1-line block ×4, first 2 shown]
	v_dual_ashrrev_i32 v45, 31, v44 :: v_dual_add_nc_u32 v54, 48, v14
	v_ashrrev_i32_e32 v49, 31, v48
	s_cmp_eq_u32 s12, 0x79
	ds_store_b32 v14, v15
	s_cbranch_scc1 .LBB75_7
; %bb.4:
	s_wait_loadcnt_dscnt 0x1
	v_mov_b64_e32 v[24:25], v[12:13]
	v_mov_b64_e32 v[22:23], v[10:11]
	;; [unrolled: 1-line block ×6, first 2 shown]
	v_cmp_eq_u32_e64 s0, 11, v0
	ds_store_b32 v54, v12
	s_wait_dscnt 0x0
	s_barrier_signal -1
	s_barrier_wait -1
	s_and_saveexec_b32 s1, s0
	s_cbranch_execz .LBB75_11
; %bb.5:
	s_and_b32 vcc_lo, exec_lo, s16
	s_cbranch_vccz .LBB75_8
; %bb.6:
	v_cmp_eq_u32_e32 vcc_lo, 1, v0
	ds_load_b32 v15, v54
	v_cndmask_b32_e32 v14, v2, v3, vcc_lo
	v_cmp_eq_u32_e32 vcc_lo, 2, v0
	s_delay_alu instid0(VALU_DEP_2) | instskip(SKIP_1) | instid1(VALU_DEP_2)
	v_cndmask_b32_e32 v14, v14, v4, vcc_lo
	v_cmp_eq_u32_e32 vcc_lo, 3, v0
	v_cndmask_b32_e32 v14, v14, v5, vcc_lo
	v_cmp_eq_u32_e32 vcc_lo, 4, v0
	s_delay_alu instid0(VALU_DEP_2) | instskip(SKIP_1) | instid1(VALU_DEP_2)
	v_cndmask_b32_e32 v14, v14, v6, vcc_lo
	v_cmp_eq_u32_e32 vcc_lo, 5, v0
	;; [unrolled: 5-line block ×5, first 2 shown]
	v_cndmask_b32_e32 v14, v14, v13, vcc_lo
	s_wait_dscnt 0x0
	s_delay_alu instid0(VALU_DEP_1)
	v_mul_f32_e32 v14, v14, v15
	s_cbranch_execz .LBB75_9
	s_branch .LBB75_10
.LBB75_7:
                                        ; implicit-def: $vgpr14_vgpr15_vgpr16_vgpr17_vgpr18_vgpr19_vgpr20_vgpr21_vgpr22_vgpr23_vgpr24_vgpr25
	s_cbranch_execnz .LBB75_162
	s_branch .LBB75_275
.LBB75_8:
                                        ; implicit-def: $vgpr14
.LBB75_9:
	ds_load_b32 v14, v54
.LBB75_10:
	v_mov_b32_e32 v15, 0
	ds_load_b32 v15, v15 offset:40
	s_wait_dscnt 0x0
	v_mul_f32_e32 v50, v14, v15
	v_mov_b64_e32 v[24:25], v[12:13]
	v_mov_b64_e32 v[22:23], v[10:11]
	;; [unrolled: 1-line block ×6, first 2 shown]
	v_mov_b32_e32 v24, v50
.LBB75_11:
	s_or_b32 exec_lo, exec_lo, s1
	v_cmp_lt_u32_e64 s1, 9, v0
	ds_store_b32 v54, v23
	s_wait_dscnt 0x0
	s_barrier_signal -1
	s_barrier_wait -1
	s_and_saveexec_b32 s2, s1
	s_cbranch_execz .LBB75_17
; %bb.12:
	s_and_not1_b32 vcc_lo, exec_lo, s16
	s_cbranch_vccnz .LBB75_14
; %bb.13:
	v_cmp_eq_u32_e32 vcc_lo, 1, v0
	ds_load_b32 v51, v54
	v_cndmask_b32_e32 v50, v14, v15, vcc_lo
	v_cmp_eq_u32_e32 vcc_lo, 2, v0
	s_delay_alu instid0(VALU_DEP_2) | instskip(SKIP_1) | instid1(VALU_DEP_2)
	v_cndmask_b32_e32 v50, v50, v16, vcc_lo
	v_cmp_eq_u32_e32 vcc_lo, 3, v0
	v_cndmask_b32_e32 v50, v50, v17, vcc_lo
	v_cmp_eq_u32_e32 vcc_lo, 4, v0
	s_delay_alu instid0(VALU_DEP_2) | instskip(SKIP_1) | instid1(VALU_DEP_2)
	v_cndmask_b32_e32 v50, v50, v18, vcc_lo
	v_cmp_eq_u32_e32 vcc_lo, 5, v0
	;; [unrolled: 5-line block ×5, first 2 shown]
	v_cndmask_b32_e32 v23, v23, v25, vcc_lo
	s_wait_dscnt 0x0
	s_delay_alu instid0(VALU_DEP_1)
	v_mul_f32_e32 v23, v23, v51
	s_cbranch_execz .LBB75_15
	s_branch .LBB75_16
.LBB75_14:
                                        ; implicit-def: $vgpr23
.LBB75_15:
	ds_load_b32 v23, v54
.LBB75_16:
	v_mov_b32_e32 v50, 0
	ds_load_2addr_b32 v[50:51], v50 offset0:9 offset1:22
	s_wait_dscnt 0x0
	v_fma_f32 v51, v24, v51, v23
	s_delay_alu instid0(VALU_DEP_1) | instskip(NEXT) | instid1(VALU_DEP_1)
	v_cndmask_b32_e64 v23, v23, v51, s0
	v_mul_f32_e32 v23, v23, v50
.LBB75_17:
	s_or_b32 exec_lo, exec_lo, s2
	v_cmp_lt_u32_e64 s0, 8, v0
	ds_store_b32 v54, v22
	s_wait_dscnt 0x0
	s_barrier_signal -1
	s_barrier_wait -1
	s_and_saveexec_b32 s4, s0
	s_cbranch_execz .LBB75_33
; %bb.18:
	s_and_not1_b32 vcc_lo, exec_lo, s16
	s_cbranch_vccnz .LBB75_20
; %bb.19:
	v_cmp_eq_u32_e32 vcc_lo, 1, v0
	ds_load_b32 v51, v54
	v_cndmask_b32_e32 v50, v14, v15, vcc_lo
	v_cmp_eq_u32_e32 vcc_lo, 2, v0
	s_delay_alu instid0(VALU_DEP_2) | instskip(SKIP_1) | instid1(VALU_DEP_2)
	v_cndmask_b32_e32 v50, v50, v16, vcc_lo
	v_cmp_eq_u32_e32 vcc_lo, 3, v0
	v_cndmask_b32_e32 v50, v50, v17, vcc_lo
	v_cmp_eq_u32_e32 vcc_lo, 4, v0
	s_delay_alu instid0(VALU_DEP_2) | instskip(SKIP_1) | instid1(VALU_DEP_2)
	v_cndmask_b32_e32 v50, v50, v18, vcc_lo
	v_cmp_eq_u32_e32 vcc_lo, 5, v0
	;; [unrolled: 5-line block ×5, first 2 shown]
	v_cndmask_b32_e32 v50, v50, v25, vcc_lo
	s_wait_dscnt 0x0
	s_delay_alu instid0(VALU_DEP_1)
	v_mul_f32_e32 v53, v50, v51
	s_cbranch_execz .LBB75_21
	s_branch .LBB75_22
.LBB75_20:
                                        ; implicit-def: $vgpr53
.LBB75_21:
	ds_load_b32 v53, v54
.LBB75_22:
	s_and_saveexec_b32 s5, s1
	s_cbranch_execz .LBB75_32
; %bb.23:
	v_dual_add_nc_u32 v50, -10, v0 :: v_dual_add_nc_u32 v51, -9, v0
	s_delay_alu instid0(VALU_DEP_1)
	v_cmp_lt_u32_e32 vcc_lo, 6, v50
	v_mov_b32_e32 v50, 9
	s_and_saveexec_b32 s1, vcc_lo
	s_cbranch_execz .LBB75_27
; %bb.24:
	v_and_b32_e32 v50, -8, v51
	s_mov_b32 s6, 0
	s_mov_b64 s[2:3], 16
	s_movk_i32 s7, 0x54
	s_delay_alu instid0(VALU_DEP_1)
	v_sub_nc_u32_e32 v52, 0, v50
.LBB75_25:                              ; =>This Inner Loop Header: Depth=1
	s_add_co_i32 m0, s2, -7
	v_movrels_b32_e32 v55, v14
	v_mov_b32_e32 v50, s7
	s_add_co_i32 m0, s2, -6
	s_add_co_i32 s7, s7, 32
	v_movrels_b32_e32 v64, v14
	ds_load_2addr_b32 v[56:57], v50 offset1:1
	ds_load_2addr_b32 v[58:59], v50 offset0:2 offset1:3
	s_add_co_i32 m0, s2, -5
	s_wait_dscnt 0x1
	v_fmac_f32_e32 v53, v55, v56
	ds_load_2addr_b32 v[60:61], v50 offset0:4 offset1:5
	ds_load_2addr_b32 v[62:63], v50 offset0:6 offset1:7
	v_movrels_b32_e32 v50, v14
	s_add_co_i32 m0, s2, -4
	v_fmac_f32_e32 v53, v64, v57
	v_movrels_b32_e32 v55, v14
	s_add_co_i32 m0, s2, -3
	s_wait_dscnt 0x2
	s_delay_alu instid0(VALU_DEP_2) | instskip(SKIP_2) | instid1(VALU_DEP_2)
	v_fmac_f32_e32 v53, v50, v58
	v_movrels_b32_e32 v50, v14
	s_add_co_i32 m0, s2, -2
	v_fmac_f32_e32 v53, v55, v59
	v_movrels_b32_e32 v55, v14
	s_add_co_i32 m0, s2, -1
	s_wait_dscnt 0x1
	s_delay_alu instid0(VALU_DEP_2)
	v_fmac_f32_e32 v53, v50, v60
	v_movrels_b32_e32 v50, v14
	s_mov_b32 m0, s2
	s_add_nc_u64 s[2:3], s[2:3], 8
	v_movrels_b32_e32 v56, v14
	v_dual_fmac_f32 v53, v55, v61 :: v_dual_add_nc_u32 v55, s2, v52
	s_add_co_i32 s8, s2, -7
	s_wait_dscnt 0x0
	s_delay_alu instid0(VALU_DEP_1) | instskip(NEXT) | instid1(VALU_DEP_2)
	v_fmac_f32_e32 v53, v50, v62
	v_cmp_eq_u32_e32 vcc_lo, 16, v55
	s_delay_alu instid0(VALU_DEP_2) | instskip(SKIP_1) | instid1(SALU_CYCLE_1)
	v_dual_mov_b32 v50, s8 :: v_dual_fmac_f32 v53, v56, v63
	s_or_b32 s6, vcc_lo, s6
	s_and_not1_b32 exec_lo, exec_lo, s6
	s_cbranch_execnz .LBB75_25
; %bb.26:
	s_or_b32 exec_lo, exec_lo, s6
.LBB75_27:
	s_delay_alu instid0(SALU_CYCLE_1) | instskip(SKIP_3) | instid1(VALU_DEP_1)
	s_or_b32 exec_lo, exec_lo, s1
	v_and_b32_e32 v52, 7, v51
	s_mov_b32 s2, 0
	s_mov_b32 s1, exec_lo
	v_cmpx_ne_u32_e32 0, v52
	s_cbranch_execz .LBB75_31
; %bb.28:
	v_lshl_add_u32 v55, v50, 2, 48
	v_mov_b32_e32 v51, 0
.LBB75_29:                              ; =>This Inner Loop Header: Depth=1
	v_cmp_eq_u32_e32 vcc_lo, 1, v50
	ds_load_b32 v57, v55
	v_dual_add_nc_u32 v52, -1, v52 :: v_dual_add_nc_u32 v55, 4, v55
	v_cndmask_b32_e32 v56, v14, v15, vcc_lo
	v_cmp_eq_u32_e32 vcc_lo, 2, v50
	s_delay_alu instid0(VALU_DEP_2) | instskip(SKIP_1) | instid1(VALU_DEP_2)
	v_cndmask_b32_e32 v56, v56, v16, vcc_lo
	v_cmp_eq_u32_e32 vcc_lo, 3, v50
	v_cndmask_b32_e32 v56, v56, v17, vcc_lo
	v_cmp_eq_u32_e32 vcc_lo, 4, v50
	s_delay_alu instid0(VALU_DEP_2) | instskip(SKIP_1) | instid1(VALU_DEP_2)
	v_cndmask_b32_e32 v56, v56, v18, vcc_lo
	v_cmp_eq_u32_e32 vcc_lo, 5, v50
	;; [unrolled: 5-line block ×4, first 2 shown]
	v_cndmask_b32_e32 v56, v56, v23, vcc_lo
	v_cmp_eq_u32_e32 vcc_lo, 10, v50
	s_delay_alu instid0(VALU_DEP_2) | instskip(SKIP_2) | instid1(VALU_DEP_3)
	v_cndmask_b32_e32 v56, v56, v24, vcc_lo
	v_cmp_eq_u32_e32 vcc_lo, 11, v50
	v_add_nc_u64_e32 v[50:51], 1, v[50:51]
	v_cndmask_b32_e32 v56, v56, v25, vcc_lo
	v_cmp_eq_u32_e32 vcc_lo, 0, v52
	s_wait_dscnt 0x0
	s_delay_alu instid0(VALU_DEP_2) | instskip(SKIP_1) | instid1(SALU_CYCLE_1)
	v_fmac_f32_e32 v53, v56, v57
	s_or_b32 s2, vcc_lo, s2
	s_and_not1_b32 exec_lo, exec_lo, s2
	s_cbranch_execnz .LBB75_29
; %bb.30:
	s_or_b32 exec_lo, exec_lo, s2
.LBB75_31:
	s_delay_alu instid0(SALU_CYCLE_1)
	s_or_b32 exec_lo, exec_lo, s1
.LBB75_32:
	s_delay_alu instid0(SALU_CYCLE_1)
	s_or_b32 exec_lo, exec_lo, s5
	v_mov_b32_e32 v22, 0
	ds_load_b32 v22, v22 offset:32
	s_wait_dscnt 0x0
	v_mul_f32_e32 v22, v53, v22
.LBB75_33:
	s_or_b32 exec_lo, exec_lo, s4
	v_cmp_lt_u32_e64 s1, 7, v0
	ds_store_b32 v54, v21
	s_wait_dscnt 0x0
	s_barrier_signal -1
	s_barrier_wait -1
	s_and_saveexec_b32 s4, s1
	s_cbranch_execz .LBB75_49
; %bb.34:
	s_and_not1_b32 vcc_lo, exec_lo, s16
	s_cbranch_vccnz .LBB75_36
; %bb.35:
	v_cmp_eq_u32_e32 vcc_lo, 1, v0
	ds_load_b32 v51, v54
	v_cndmask_b32_e32 v50, v14, v15, vcc_lo
	v_cmp_eq_u32_e32 vcc_lo, 2, v0
	s_delay_alu instid0(VALU_DEP_2) | instskip(SKIP_1) | instid1(VALU_DEP_2)
	v_cndmask_b32_e32 v50, v50, v16, vcc_lo
	v_cmp_eq_u32_e32 vcc_lo, 3, v0
	v_cndmask_b32_e32 v50, v50, v17, vcc_lo
	v_cmp_eq_u32_e32 vcc_lo, 4, v0
	s_delay_alu instid0(VALU_DEP_2) | instskip(SKIP_1) | instid1(VALU_DEP_2)
	v_cndmask_b32_e32 v50, v50, v18, vcc_lo
	v_cmp_eq_u32_e32 vcc_lo, 5, v0
	;; [unrolled: 5-line block ×5, first 2 shown]
	v_cndmask_b32_e32 v50, v50, v25, vcc_lo
	s_wait_dscnt 0x0
	s_delay_alu instid0(VALU_DEP_1)
	v_mul_f32_e32 v55, v50, v51
	s_cbranch_execz .LBB75_37
	s_branch .LBB75_38
.LBB75_36:
                                        ; implicit-def: $vgpr55
.LBB75_37:
	ds_load_b32 v55, v54
.LBB75_38:
	s_and_saveexec_b32 s5, s0
	s_cbranch_execz .LBB75_48
; %bb.39:
	v_add_nc_u32_e32 v50, -9, v0
	s_delay_alu instid0(VALU_DEP_1)
	v_cmp_lt_u32_e32 vcc_lo, 6, v50
	v_mov_b32_e32 v50, 8
	s_and_saveexec_b32 s0, vcc_lo
	s_cbranch_execz .LBB75_43
; %bb.40:
	v_bfe_u32 v50, v0, 3, 1
	v_mov_b32_e32 v51, 0
	s_mov_b64 s[2:3], 0xfffffff8
	s_movk_i32 s7, 0x50
	s_mov_b32 s6, 0
	s_delay_alu instid0(VALU_DEP_1)
	v_mul_u64_e32 v[52:53], s[2:3], v[50:51]
	s_mov_b64 s[2:3], 15
.LBB75_41:                              ; =>This Inner Loop Header: Depth=1
	s_delay_alu instid0(SALU_CYCLE_1)
	s_add_co_i32 m0, s2, -7
	v_movrels_b32_e32 v51, v14
	v_mov_b32_e32 v50, s7
	s_add_co_i32 m0, s2, -6
	s_add_co_i32 s7, s7, 32
	v_movrels_b32_e32 v53, v14
	s_add_co_i32 m0, s2, -5
	ds_load_b128 v[56:59], v50
	ds_load_b128 v[60:63], v50 offset:16
	v_movrels_b32_e32 v50, v14
	s_add_co_i32 m0, s2, -4
	s_wait_dscnt 0x1
	v_fmac_f32_e32 v55, v51, v56
	v_movrels_b32_e32 v51, v14
	s_add_co_i32 m0, s2, -3
	s_delay_alu instid0(VALU_DEP_2) | instskip(NEXT) | instid1(VALU_DEP_1)
	v_fmac_f32_e32 v55, v53, v57
	v_fmac_f32_e32 v55, v50, v58
	v_movrels_b32_e32 v50, v14
	s_add_co_i32 m0, s2, -2
	s_delay_alu instid0(VALU_DEP_2) | instskip(SKIP_3) | instid1(VALU_DEP_2)
	v_fmac_f32_e32 v55, v51, v59
	v_movrels_b32_e32 v51, v14
	s_add_co_i32 m0, s2, -1
	s_wait_dscnt 0x0
	v_fmac_f32_e32 v55, v50, v60
	v_movrels_b32_e32 v50, v14
	s_mov_b32 m0, s2
	s_add_nc_u64 s[2:3], s[2:3], 8
	v_movrels_b32_e32 v53, v14
	v_dual_fmac_f32 v55, v51, v61 :: v_dual_add_nc_u32 v51, s2, v52
	s_add_co_i32 s8, s2, -7
	s_delay_alu instid0(VALU_DEP_1) | instskip(NEXT) | instid1(VALU_DEP_2)
	v_fmac_f32_e32 v55, v50, v62
	v_cmp_eq_u32_e32 vcc_lo, 7, v51
	s_delay_alu instid0(VALU_DEP_2) | instskip(SKIP_1) | instid1(SALU_CYCLE_1)
	v_dual_mov_b32 v50, s8 :: v_dual_fmac_f32 v55, v53, v63
	s_or_b32 s6, vcc_lo, s6
	s_and_not1_b32 exec_lo, exec_lo, s6
	s_cbranch_execnz .LBB75_41
; %bb.42:
	s_or_b32 exec_lo, exec_lo, s6
.LBB75_43:
	s_delay_alu instid0(SALU_CYCLE_1) | instskip(SKIP_3) | instid1(VALU_DEP_1)
	s_or_b32 exec_lo, exec_lo, s0
	v_and_b32_e32 v52, 7, v0
	s_mov_b32 s2, 0
	s_mov_b32 s0, exec_lo
	v_cmpx_ne_u32_e32 0, v52
	s_cbranch_execz .LBB75_47
; %bb.44:
	v_lshl_add_u32 v53, v50, 2, 48
	v_mov_b32_e32 v51, 0
.LBB75_45:                              ; =>This Inner Loop Header: Depth=1
	v_cmp_eq_u32_e32 vcc_lo, 1, v50
	ds_load_b32 v57, v53
	v_dual_add_nc_u32 v52, -1, v52 :: v_dual_add_nc_u32 v53, 4, v53
	v_cndmask_b32_e32 v56, v14, v15, vcc_lo
	v_cmp_eq_u32_e32 vcc_lo, 2, v50
	s_delay_alu instid0(VALU_DEP_2) | instskip(SKIP_1) | instid1(VALU_DEP_2)
	v_cndmask_b32_e32 v56, v56, v16, vcc_lo
	v_cmp_eq_u32_e32 vcc_lo, 3, v50
	v_cndmask_b32_e32 v56, v56, v17, vcc_lo
	v_cmp_eq_u32_e32 vcc_lo, 4, v50
	s_delay_alu instid0(VALU_DEP_2) | instskip(SKIP_1) | instid1(VALU_DEP_2)
	v_cndmask_b32_e32 v56, v56, v18, vcc_lo
	v_cmp_eq_u32_e32 vcc_lo, 5, v50
	;; [unrolled: 5-line block ×4, first 2 shown]
	v_cndmask_b32_e32 v56, v56, v23, vcc_lo
	v_cmp_eq_u32_e32 vcc_lo, 10, v50
	s_delay_alu instid0(VALU_DEP_2) | instskip(SKIP_2) | instid1(VALU_DEP_3)
	v_cndmask_b32_e32 v56, v56, v24, vcc_lo
	v_cmp_eq_u32_e32 vcc_lo, 11, v50
	v_add_nc_u64_e32 v[50:51], 1, v[50:51]
	v_cndmask_b32_e32 v56, v56, v25, vcc_lo
	v_cmp_eq_u32_e32 vcc_lo, 0, v52
	s_wait_dscnt 0x0
	s_delay_alu instid0(VALU_DEP_2) | instskip(SKIP_1) | instid1(SALU_CYCLE_1)
	v_fmac_f32_e32 v55, v56, v57
	s_or_b32 s2, vcc_lo, s2
	s_and_not1_b32 exec_lo, exec_lo, s2
	s_cbranch_execnz .LBB75_45
; %bb.46:
	s_or_b32 exec_lo, exec_lo, s2
.LBB75_47:
	s_delay_alu instid0(SALU_CYCLE_1)
	s_or_b32 exec_lo, exec_lo, s0
.LBB75_48:
	s_delay_alu instid0(SALU_CYCLE_1)
	s_or_b32 exec_lo, exec_lo, s5
	v_mov_b32_e32 v21, 0
	ds_load_b32 v21, v21 offset:28
	s_wait_dscnt 0x0
	v_mul_f32_e32 v21, v55, v21
.LBB75_49:
	s_or_b32 exec_lo, exec_lo, s4
	v_cmp_lt_u32_e64 s0, 6, v0
	ds_store_b32 v54, v20
	s_wait_dscnt 0x0
	s_barrier_signal -1
	s_barrier_wait -1
	s_and_saveexec_b32 s4, s0
	s_cbranch_execz .LBB75_65
; %bb.50:
	s_and_not1_b32 vcc_lo, exec_lo, s16
	s_cbranch_vccnz .LBB75_52
; %bb.51:
	v_cmp_eq_u32_e32 vcc_lo, 1, v0
	ds_load_b32 v51, v54
	v_cndmask_b32_e32 v50, v14, v15, vcc_lo
	v_cmp_eq_u32_e32 vcc_lo, 2, v0
	s_delay_alu instid0(VALU_DEP_2) | instskip(SKIP_1) | instid1(VALU_DEP_2)
	v_cndmask_b32_e32 v50, v50, v16, vcc_lo
	v_cmp_eq_u32_e32 vcc_lo, 3, v0
	v_cndmask_b32_e32 v50, v50, v17, vcc_lo
	v_cmp_eq_u32_e32 vcc_lo, 4, v0
	s_delay_alu instid0(VALU_DEP_2) | instskip(SKIP_1) | instid1(VALU_DEP_2)
	v_cndmask_b32_e32 v50, v50, v18, vcc_lo
	v_cmp_eq_u32_e32 vcc_lo, 5, v0
	v_cndmask_b32_e32 v50, v50, v19, vcc_lo
	v_cmp_eq_u32_e32 vcc_lo, 6, v0
	s_delay_alu instid0(VALU_DEP_2) | instskip(SKIP_1) | instid1(VALU_DEP_2)
	v_cndmask_b32_e32 v50, v50, v20, vcc_lo
	v_cmp_eq_u32_e32 vcc_lo, 7, v0
	v_cndmask_b32_e32 v50, v50, v21, vcc_lo
	v_cmp_eq_u32_e32 vcc_lo, 8, v0
	s_delay_alu instid0(VALU_DEP_2) | instskip(SKIP_1) | instid1(VALU_DEP_2)
	v_cndmask_b32_e32 v50, v50, v22, vcc_lo
	v_cmp_eq_u32_e32 vcc_lo, 9, v0
	v_cndmask_b32_e32 v50, v50, v23, vcc_lo
	v_cmp_eq_u32_e32 vcc_lo, 10, v0
	s_delay_alu instid0(VALU_DEP_2) | instskip(SKIP_1) | instid1(VALU_DEP_2)
	v_cndmask_b32_e32 v50, v50, v24, vcc_lo
	v_cmp_eq_u32_e32 vcc_lo, 11, v0
	v_cndmask_b32_e32 v50, v50, v25, vcc_lo
	s_wait_dscnt 0x0
	s_delay_alu instid0(VALU_DEP_1)
	v_mul_f32_e32 v53, v50, v51
	s_cbranch_execz .LBB75_53
	s_branch .LBB75_54
.LBB75_52:
                                        ; implicit-def: $vgpr53
.LBB75_53:
	ds_load_b32 v53, v54
.LBB75_54:
	s_and_saveexec_b32 s5, s1
	s_cbranch_execz .LBB75_64
; %bb.55:
	v_dual_add_nc_u32 v50, -8, v0 :: v_dual_add_nc_u32 v51, -7, v0
	s_delay_alu instid0(VALU_DEP_1)
	v_cmp_lt_u32_e32 vcc_lo, 6, v50
	v_mov_b32_e32 v50, 7
	s_and_saveexec_b32 s1, vcc_lo
	s_cbranch_execz .LBB75_59
; %bb.56:
	v_and_b32_e32 v50, -8, v51
	s_mov_b32 s6, 0
	s_mov_b64 s[2:3], 14
	s_movk_i32 s7, 0x4c
	s_delay_alu instid0(VALU_DEP_1)
	v_sub_nc_u32_e32 v52, 0, v50
.LBB75_57:                              ; =>This Inner Loop Header: Depth=1
	s_add_co_i32 m0, s2, -7
	v_movrels_b32_e32 v55, v14
	v_mov_b32_e32 v50, s7
	s_add_co_i32 m0, s2, -6
	s_add_co_i32 s7, s7, 32
	v_movrels_b32_e32 v64, v14
	ds_load_2addr_b32 v[56:57], v50 offset1:1
	ds_load_2addr_b32 v[58:59], v50 offset0:2 offset1:3
	s_add_co_i32 m0, s2, -5
	s_wait_dscnt 0x1
	v_fmac_f32_e32 v53, v55, v56
	ds_load_2addr_b32 v[60:61], v50 offset0:4 offset1:5
	ds_load_2addr_b32 v[62:63], v50 offset0:6 offset1:7
	v_movrels_b32_e32 v50, v14
	s_add_co_i32 m0, s2, -4
	v_fmac_f32_e32 v53, v64, v57
	v_movrels_b32_e32 v55, v14
	s_add_co_i32 m0, s2, -3
	s_wait_dscnt 0x2
	s_delay_alu instid0(VALU_DEP_2) | instskip(SKIP_2) | instid1(VALU_DEP_2)
	v_fmac_f32_e32 v53, v50, v58
	v_movrels_b32_e32 v50, v14
	s_add_co_i32 m0, s2, -2
	v_fmac_f32_e32 v53, v55, v59
	v_movrels_b32_e32 v55, v14
	s_add_co_i32 m0, s2, -1
	s_wait_dscnt 0x1
	s_delay_alu instid0(VALU_DEP_2)
	v_fmac_f32_e32 v53, v50, v60
	v_movrels_b32_e32 v50, v14
	s_mov_b32 m0, s2
	s_add_nc_u64 s[2:3], s[2:3], 8
	v_movrels_b32_e32 v56, v14
	v_dual_fmac_f32 v53, v55, v61 :: v_dual_add_nc_u32 v55, s2, v52
	s_add_co_i32 s8, s2, -7
	s_wait_dscnt 0x0
	s_delay_alu instid0(VALU_DEP_1) | instskip(NEXT) | instid1(VALU_DEP_2)
	v_fmac_f32_e32 v53, v50, v62
	v_cmp_eq_u32_e32 vcc_lo, 14, v55
	s_delay_alu instid0(VALU_DEP_2) | instskip(SKIP_1) | instid1(SALU_CYCLE_1)
	v_dual_mov_b32 v50, s8 :: v_dual_fmac_f32 v53, v56, v63
	s_or_b32 s6, vcc_lo, s6
	s_and_not1_b32 exec_lo, exec_lo, s6
	s_cbranch_execnz .LBB75_57
; %bb.58:
	s_or_b32 exec_lo, exec_lo, s6
.LBB75_59:
	s_delay_alu instid0(SALU_CYCLE_1) | instskip(SKIP_3) | instid1(VALU_DEP_1)
	s_or_b32 exec_lo, exec_lo, s1
	v_and_b32_e32 v52, 7, v51
	s_mov_b32 s2, 0
	s_mov_b32 s1, exec_lo
	v_cmpx_ne_u32_e32 0, v52
	s_cbranch_execz .LBB75_63
; %bb.60:
	v_lshl_add_u32 v55, v50, 2, 48
	v_mov_b32_e32 v51, 0
.LBB75_61:                              ; =>This Inner Loop Header: Depth=1
	v_cmp_eq_u32_e32 vcc_lo, 1, v50
	ds_load_b32 v57, v55
	v_dual_add_nc_u32 v52, -1, v52 :: v_dual_add_nc_u32 v55, 4, v55
	v_cndmask_b32_e32 v56, v14, v15, vcc_lo
	v_cmp_eq_u32_e32 vcc_lo, 2, v50
	s_delay_alu instid0(VALU_DEP_2) | instskip(SKIP_1) | instid1(VALU_DEP_2)
	v_cndmask_b32_e32 v56, v56, v16, vcc_lo
	v_cmp_eq_u32_e32 vcc_lo, 3, v50
	v_cndmask_b32_e32 v56, v56, v17, vcc_lo
	v_cmp_eq_u32_e32 vcc_lo, 4, v50
	s_delay_alu instid0(VALU_DEP_2) | instskip(SKIP_1) | instid1(VALU_DEP_2)
	v_cndmask_b32_e32 v56, v56, v18, vcc_lo
	v_cmp_eq_u32_e32 vcc_lo, 5, v50
	;; [unrolled: 5-line block ×4, first 2 shown]
	v_cndmask_b32_e32 v56, v56, v23, vcc_lo
	v_cmp_eq_u32_e32 vcc_lo, 10, v50
	s_delay_alu instid0(VALU_DEP_2) | instskip(SKIP_2) | instid1(VALU_DEP_3)
	v_cndmask_b32_e32 v56, v56, v24, vcc_lo
	v_cmp_eq_u32_e32 vcc_lo, 11, v50
	v_add_nc_u64_e32 v[50:51], 1, v[50:51]
	v_cndmask_b32_e32 v56, v56, v25, vcc_lo
	v_cmp_eq_u32_e32 vcc_lo, 0, v52
	s_wait_dscnt 0x0
	s_delay_alu instid0(VALU_DEP_2) | instskip(SKIP_1) | instid1(SALU_CYCLE_1)
	v_fmac_f32_e32 v53, v56, v57
	s_or_b32 s2, vcc_lo, s2
	s_and_not1_b32 exec_lo, exec_lo, s2
	s_cbranch_execnz .LBB75_61
; %bb.62:
	s_or_b32 exec_lo, exec_lo, s2
.LBB75_63:
	s_delay_alu instid0(SALU_CYCLE_1)
	s_or_b32 exec_lo, exec_lo, s1
.LBB75_64:
	s_delay_alu instid0(SALU_CYCLE_1)
	s_or_b32 exec_lo, exec_lo, s5
	v_mov_b32_e32 v20, 0
	ds_load_b32 v20, v20 offset:24
	s_wait_dscnt 0x0
	v_mul_f32_e32 v20, v53, v20
.LBB75_65:
	s_or_b32 exec_lo, exec_lo, s4
	v_cmp_lt_u32_e64 s1, 5, v0
	ds_store_b32 v54, v19
	s_wait_dscnt 0x0
	s_barrier_signal -1
	s_barrier_wait -1
	s_and_saveexec_b32 s4, s1
	s_cbranch_execz .LBB75_81
; %bb.66:
	s_and_not1_b32 vcc_lo, exec_lo, s16
	s_cbranch_vccnz .LBB75_68
; %bb.67:
	v_cmp_eq_u32_e32 vcc_lo, 1, v0
	ds_load_b32 v51, v54
	v_cndmask_b32_e32 v50, v14, v15, vcc_lo
	v_cmp_eq_u32_e32 vcc_lo, 2, v0
	s_delay_alu instid0(VALU_DEP_2) | instskip(SKIP_1) | instid1(VALU_DEP_2)
	v_cndmask_b32_e32 v50, v50, v16, vcc_lo
	v_cmp_eq_u32_e32 vcc_lo, 3, v0
	v_cndmask_b32_e32 v50, v50, v17, vcc_lo
	v_cmp_eq_u32_e32 vcc_lo, 4, v0
	s_delay_alu instid0(VALU_DEP_2) | instskip(SKIP_1) | instid1(VALU_DEP_2)
	v_cndmask_b32_e32 v50, v50, v18, vcc_lo
	v_cmp_eq_u32_e32 vcc_lo, 5, v0
	;; [unrolled: 5-line block ×5, first 2 shown]
	v_cndmask_b32_e32 v50, v50, v25, vcc_lo
	s_wait_dscnt 0x0
	s_delay_alu instid0(VALU_DEP_1)
	v_mul_f32_e32 v53, v50, v51
	s_cbranch_execz .LBB75_69
	s_branch .LBB75_70
.LBB75_68:
                                        ; implicit-def: $vgpr53
.LBB75_69:
	ds_load_b32 v53, v54
.LBB75_70:
	s_and_saveexec_b32 s5, s0
	s_cbranch_execz .LBB75_80
; %bb.71:
	v_dual_add_nc_u32 v52, -7, v0 :: v_dual_add_nc_u32 v51, -6, v0
	v_mov_b32_e32 v50, 6
	s_mov_b32 s0, exec_lo
	s_delay_alu instid0(VALU_DEP_2)
	v_cmpx_lt_u32_e32 6, v52
	s_cbranch_execz .LBB75_75
; %bb.72:
	v_and_b32_e32 v50, -8, v51
	s_mov_b32 s6, 0
	s_mov_b64 s[2:3], 13
	s_movk_i32 s7, 0x48
	s_delay_alu instid0(VALU_DEP_1)
	v_sub_nc_u32_e32 v52, 0, v50
.LBB75_73:                              ; =>This Inner Loop Header: Depth=1
	s_add_co_i32 m0, s2, -7
	v_movrels_b32_e32 v55, v14
	v_mov_b32_e32 v50, s7
	s_add_co_i32 m0, s2, -6
	s_add_co_i32 s7, s7, 32
	v_movrels_b32_e32 v64, v14
	s_add_co_i32 m0, s2, -5
	ds_load_2addr_b64 v[56:59], v50 offset1:1
	ds_load_2addr_b64 v[60:63], v50 offset0:2 offset1:3
	v_movrels_b32_e32 v50, v14
	s_add_co_i32 m0, s2, -4
	s_wait_dscnt 0x1
	v_fmac_f32_e32 v53, v55, v56
	v_movrels_b32_e32 v55, v14
	s_add_co_i32 m0, s2, -3
	s_delay_alu instid0(VALU_DEP_2) | instskip(NEXT) | instid1(VALU_DEP_1)
	v_fmac_f32_e32 v53, v64, v57
	v_fmac_f32_e32 v53, v50, v58
	v_movrels_b32_e32 v50, v14
	s_add_co_i32 m0, s2, -2
	s_delay_alu instid0(VALU_DEP_2) | instskip(SKIP_3) | instid1(VALU_DEP_2)
	v_fmac_f32_e32 v53, v55, v59
	v_movrels_b32_e32 v55, v14
	s_add_co_i32 m0, s2, -1
	s_wait_dscnt 0x0
	v_fmac_f32_e32 v53, v50, v60
	v_movrels_b32_e32 v50, v14
	s_mov_b32 m0, s2
	s_add_nc_u64 s[2:3], s[2:3], 8
	v_movrels_b32_e32 v56, v14
	v_dual_fmac_f32 v53, v55, v61 :: v_dual_add_nc_u32 v55, s2, v52
	s_add_co_i32 s8, s2, -7
	s_delay_alu instid0(VALU_DEP_1) | instskip(NEXT) | instid1(VALU_DEP_2)
	v_fmac_f32_e32 v53, v50, v62
	v_cmp_eq_u32_e32 vcc_lo, 13, v55
	s_delay_alu instid0(VALU_DEP_2) | instskip(SKIP_1) | instid1(SALU_CYCLE_1)
	v_dual_mov_b32 v50, s8 :: v_dual_fmac_f32 v53, v56, v63
	s_or_b32 s6, vcc_lo, s6
	s_and_not1_b32 exec_lo, exec_lo, s6
	s_cbranch_execnz .LBB75_73
; %bb.74:
	s_or_b32 exec_lo, exec_lo, s6
.LBB75_75:
	s_delay_alu instid0(SALU_CYCLE_1) | instskip(SKIP_3) | instid1(VALU_DEP_1)
	s_or_b32 exec_lo, exec_lo, s0
	v_and_b32_e32 v52, 7, v51
	s_mov_b32 s2, 0
	s_mov_b32 s0, exec_lo
	v_cmpx_ne_u32_e32 0, v52
	s_cbranch_execz .LBB75_79
; %bb.76:
	v_lshl_add_u32 v55, v50, 2, 48
	v_mov_b32_e32 v51, 0
.LBB75_77:                              ; =>This Inner Loop Header: Depth=1
	v_cmp_eq_u32_e32 vcc_lo, 1, v50
	ds_load_b32 v57, v55
	v_dual_add_nc_u32 v52, -1, v52 :: v_dual_add_nc_u32 v55, 4, v55
	v_cndmask_b32_e32 v56, v14, v15, vcc_lo
	v_cmp_eq_u32_e32 vcc_lo, 2, v50
	s_delay_alu instid0(VALU_DEP_2) | instskip(SKIP_1) | instid1(VALU_DEP_2)
	v_cndmask_b32_e32 v56, v56, v16, vcc_lo
	v_cmp_eq_u32_e32 vcc_lo, 3, v50
	v_cndmask_b32_e32 v56, v56, v17, vcc_lo
	v_cmp_eq_u32_e32 vcc_lo, 4, v50
	s_delay_alu instid0(VALU_DEP_2) | instskip(SKIP_1) | instid1(VALU_DEP_2)
	v_cndmask_b32_e32 v56, v56, v18, vcc_lo
	v_cmp_eq_u32_e32 vcc_lo, 5, v50
	;; [unrolled: 5-line block ×4, first 2 shown]
	v_cndmask_b32_e32 v56, v56, v23, vcc_lo
	v_cmp_eq_u32_e32 vcc_lo, 10, v50
	s_delay_alu instid0(VALU_DEP_2) | instskip(SKIP_2) | instid1(VALU_DEP_3)
	v_cndmask_b32_e32 v56, v56, v24, vcc_lo
	v_cmp_eq_u32_e32 vcc_lo, 11, v50
	v_add_nc_u64_e32 v[50:51], 1, v[50:51]
	v_cndmask_b32_e32 v56, v56, v25, vcc_lo
	v_cmp_eq_u32_e32 vcc_lo, 0, v52
	s_wait_dscnt 0x0
	s_delay_alu instid0(VALU_DEP_2) | instskip(SKIP_1) | instid1(SALU_CYCLE_1)
	v_fmac_f32_e32 v53, v56, v57
	s_or_b32 s2, vcc_lo, s2
	s_and_not1_b32 exec_lo, exec_lo, s2
	s_cbranch_execnz .LBB75_77
; %bb.78:
	s_or_b32 exec_lo, exec_lo, s2
.LBB75_79:
	s_delay_alu instid0(SALU_CYCLE_1)
	s_or_b32 exec_lo, exec_lo, s0
.LBB75_80:
	s_delay_alu instid0(SALU_CYCLE_1)
	s_or_b32 exec_lo, exec_lo, s5
	v_mov_b32_e32 v19, 0
	ds_load_b32 v19, v19 offset:20
	s_wait_dscnt 0x0
	v_mul_f32_e32 v19, v53, v19
.LBB75_81:
	s_or_b32 exec_lo, exec_lo, s4
	v_cmp_lt_u32_e64 s0, 4, v0
	ds_store_b32 v54, v18
	s_wait_dscnt 0x0
	s_barrier_signal -1
	s_barrier_wait -1
	s_and_saveexec_b32 s4, s0
	s_cbranch_execz .LBB75_97
; %bb.82:
	s_and_not1_b32 vcc_lo, exec_lo, s16
	s_cbranch_vccnz .LBB75_84
; %bb.83:
	v_cmp_eq_u32_e32 vcc_lo, 1, v0
	ds_load_b32 v51, v54
	v_cndmask_b32_e32 v50, v14, v15, vcc_lo
	v_cmp_eq_u32_e32 vcc_lo, 2, v0
	s_delay_alu instid0(VALU_DEP_2) | instskip(SKIP_1) | instid1(VALU_DEP_2)
	v_cndmask_b32_e32 v50, v50, v16, vcc_lo
	v_cmp_eq_u32_e32 vcc_lo, 3, v0
	v_cndmask_b32_e32 v50, v50, v17, vcc_lo
	v_cmp_eq_u32_e32 vcc_lo, 4, v0
	s_delay_alu instid0(VALU_DEP_2) | instskip(SKIP_1) | instid1(VALU_DEP_2)
	v_cndmask_b32_e32 v50, v50, v18, vcc_lo
	v_cmp_eq_u32_e32 vcc_lo, 5, v0
	;; [unrolled: 5-line block ×5, first 2 shown]
	v_cndmask_b32_e32 v50, v50, v25, vcc_lo
	s_wait_dscnt 0x0
	s_delay_alu instid0(VALU_DEP_1)
	v_mul_f32_e32 v53, v50, v51
	s_cbranch_execz .LBB75_85
	s_branch .LBB75_86
.LBB75_84:
                                        ; implicit-def: $vgpr53
.LBB75_85:
	ds_load_b32 v53, v54
.LBB75_86:
	s_and_saveexec_b32 s5, s1
	s_cbranch_execz .LBB75_96
; %bb.87:
	v_dual_add_nc_u32 v50, -6, v0 :: v_dual_add_nc_u32 v51, -5, v0
	s_delay_alu instid0(VALU_DEP_1)
	v_cmp_lt_u32_e32 vcc_lo, 6, v50
	v_mov_b32_e32 v50, 5
	s_and_saveexec_b32 s1, vcc_lo
	s_cbranch_execz .LBB75_91
; %bb.88:
	v_and_b32_e32 v50, -8, v51
	s_mov_b32 s6, 0
	s_mov_b64 s[2:3], 12
	s_movk_i32 s7, 0x44
	s_delay_alu instid0(VALU_DEP_1)
	v_sub_nc_u32_e32 v52, 0, v50
.LBB75_89:                              ; =>This Inner Loop Header: Depth=1
	s_add_co_i32 m0, s2, -7
	v_movrels_b32_e32 v55, v14
	v_mov_b32_e32 v50, s7
	s_add_co_i32 m0, s2, -6
	s_add_co_i32 s7, s7, 32
	v_movrels_b32_e32 v64, v14
	ds_load_2addr_b32 v[56:57], v50 offset1:1
	ds_load_2addr_b32 v[58:59], v50 offset0:2 offset1:3
	s_add_co_i32 m0, s2, -5
	s_wait_dscnt 0x1
	v_fmac_f32_e32 v53, v55, v56
	ds_load_2addr_b32 v[60:61], v50 offset0:4 offset1:5
	ds_load_2addr_b32 v[62:63], v50 offset0:6 offset1:7
	v_movrels_b32_e32 v50, v14
	s_add_co_i32 m0, s2, -4
	v_fmac_f32_e32 v53, v64, v57
	v_movrels_b32_e32 v55, v14
	s_add_co_i32 m0, s2, -3
	s_wait_dscnt 0x2
	s_delay_alu instid0(VALU_DEP_2) | instskip(SKIP_2) | instid1(VALU_DEP_2)
	v_fmac_f32_e32 v53, v50, v58
	v_movrels_b32_e32 v50, v14
	s_add_co_i32 m0, s2, -2
	v_fmac_f32_e32 v53, v55, v59
	v_movrels_b32_e32 v55, v14
	s_add_co_i32 m0, s2, -1
	s_wait_dscnt 0x1
	s_delay_alu instid0(VALU_DEP_2)
	v_fmac_f32_e32 v53, v50, v60
	v_movrels_b32_e32 v50, v14
	s_mov_b32 m0, s2
	s_add_nc_u64 s[2:3], s[2:3], 8
	v_movrels_b32_e32 v56, v14
	v_dual_fmac_f32 v53, v55, v61 :: v_dual_add_nc_u32 v55, s2, v52
	s_add_co_i32 s8, s2, -7
	s_wait_dscnt 0x0
	s_delay_alu instid0(VALU_DEP_1) | instskip(NEXT) | instid1(VALU_DEP_2)
	v_fmac_f32_e32 v53, v50, v62
	v_cmp_eq_u32_e32 vcc_lo, 12, v55
	s_delay_alu instid0(VALU_DEP_2) | instskip(SKIP_1) | instid1(SALU_CYCLE_1)
	v_dual_mov_b32 v50, s8 :: v_dual_fmac_f32 v53, v56, v63
	s_or_b32 s6, vcc_lo, s6
	s_and_not1_b32 exec_lo, exec_lo, s6
	s_cbranch_execnz .LBB75_89
; %bb.90:
	s_or_b32 exec_lo, exec_lo, s6
.LBB75_91:
	s_delay_alu instid0(SALU_CYCLE_1) | instskip(SKIP_3) | instid1(VALU_DEP_1)
	s_or_b32 exec_lo, exec_lo, s1
	v_and_b32_e32 v52, 7, v51
	s_mov_b32 s2, 0
	s_mov_b32 s1, exec_lo
	v_cmpx_ne_u32_e32 0, v52
	s_cbranch_execz .LBB75_95
; %bb.92:
	v_lshl_add_u32 v55, v50, 2, 48
	v_mov_b32_e32 v51, 0
.LBB75_93:                              ; =>This Inner Loop Header: Depth=1
	v_cmp_eq_u32_e32 vcc_lo, 1, v50
	ds_load_b32 v57, v55
	v_dual_add_nc_u32 v52, -1, v52 :: v_dual_add_nc_u32 v55, 4, v55
	v_cndmask_b32_e32 v56, v14, v15, vcc_lo
	v_cmp_eq_u32_e32 vcc_lo, 2, v50
	s_delay_alu instid0(VALU_DEP_2) | instskip(SKIP_1) | instid1(VALU_DEP_2)
	v_cndmask_b32_e32 v56, v56, v16, vcc_lo
	v_cmp_eq_u32_e32 vcc_lo, 3, v50
	v_cndmask_b32_e32 v56, v56, v17, vcc_lo
	v_cmp_eq_u32_e32 vcc_lo, 4, v50
	s_delay_alu instid0(VALU_DEP_2) | instskip(SKIP_1) | instid1(VALU_DEP_2)
	v_cndmask_b32_e32 v56, v56, v18, vcc_lo
	v_cmp_eq_u32_e32 vcc_lo, 5, v50
	;; [unrolled: 5-line block ×4, first 2 shown]
	v_cndmask_b32_e32 v56, v56, v23, vcc_lo
	v_cmp_eq_u32_e32 vcc_lo, 10, v50
	s_delay_alu instid0(VALU_DEP_2) | instskip(SKIP_2) | instid1(VALU_DEP_3)
	v_cndmask_b32_e32 v56, v56, v24, vcc_lo
	v_cmp_eq_u32_e32 vcc_lo, 11, v50
	v_add_nc_u64_e32 v[50:51], 1, v[50:51]
	v_cndmask_b32_e32 v56, v56, v25, vcc_lo
	v_cmp_eq_u32_e32 vcc_lo, 0, v52
	s_wait_dscnt 0x0
	s_delay_alu instid0(VALU_DEP_2) | instskip(SKIP_1) | instid1(SALU_CYCLE_1)
	v_fmac_f32_e32 v53, v56, v57
	s_or_b32 s2, vcc_lo, s2
	s_and_not1_b32 exec_lo, exec_lo, s2
	s_cbranch_execnz .LBB75_93
; %bb.94:
	s_or_b32 exec_lo, exec_lo, s2
.LBB75_95:
	s_delay_alu instid0(SALU_CYCLE_1)
	s_or_b32 exec_lo, exec_lo, s1
.LBB75_96:
	s_delay_alu instid0(SALU_CYCLE_1)
	s_or_b32 exec_lo, exec_lo, s5
	v_mov_b32_e32 v18, 0
	ds_load_b32 v18, v18 offset:16
	s_wait_dscnt 0x0
	v_mul_f32_e32 v18, v53, v18
.LBB75_97:
	s_or_b32 exec_lo, exec_lo, s4
	v_cmp_lt_u32_e64 s1, 3, v0
	ds_store_b32 v54, v17
	s_wait_dscnt 0x0
	s_barrier_signal -1
	s_barrier_wait -1
	s_and_saveexec_b32 s4, s1
	s_cbranch_execz .LBB75_113
; %bb.98:
	s_and_not1_b32 vcc_lo, exec_lo, s16
	s_cbranch_vccnz .LBB75_100
; %bb.99:
	v_cmp_eq_u32_e32 vcc_lo, 1, v0
	ds_load_b32 v51, v54
	v_cndmask_b32_e32 v50, v14, v15, vcc_lo
	v_cmp_eq_u32_e32 vcc_lo, 2, v0
	s_delay_alu instid0(VALU_DEP_2) | instskip(SKIP_1) | instid1(VALU_DEP_2)
	v_cndmask_b32_e32 v50, v50, v16, vcc_lo
	v_cmp_eq_u32_e32 vcc_lo, 3, v0
	v_cndmask_b32_e32 v50, v50, v17, vcc_lo
	v_cmp_eq_u32_e32 vcc_lo, 4, v0
	s_delay_alu instid0(VALU_DEP_2) | instskip(SKIP_1) | instid1(VALU_DEP_2)
	v_cndmask_b32_e32 v50, v50, v18, vcc_lo
	v_cmp_eq_u32_e32 vcc_lo, 5, v0
	v_cndmask_b32_e32 v50, v50, v19, vcc_lo
	v_cmp_eq_u32_e32 vcc_lo, 6, v0
	s_delay_alu instid0(VALU_DEP_2) | instskip(SKIP_1) | instid1(VALU_DEP_2)
	v_cndmask_b32_e32 v50, v50, v20, vcc_lo
	v_cmp_eq_u32_e32 vcc_lo, 7, v0
	v_cndmask_b32_e32 v50, v50, v21, vcc_lo
	v_cmp_eq_u32_e32 vcc_lo, 8, v0
	s_delay_alu instid0(VALU_DEP_2) | instskip(SKIP_1) | instid1(VALU_DEP_2)
	v_cndmask_b32_e32 v50, v50, v22, vcc_lo
	v_cmp_eq_u32_e32 vcc_lo, 9, v0
	v_cndmask_b32_e32 v50, v50, v23, vcc_lo
	v_cmp_eq_u32_e32 vcc_lo, 10, v0
	s_delay_alu instid0(VALU_DEP_2) | instskip(SKIP_1) | instid1(VALU_DEP_2)
	v_cndmask_b32_e32 v50, v50, v24, vcc_lo
	v_cmp_eq_u32_e32 vcc_lo, 11, v0
	v_cndmask_b32_e32 v50, v50, v25, vcc_lo
	s_wait_dscnt 0x0
	s_delay_alu instid0(VALU_DEP_1)
	v_mul_f32_e32 v53, v50, v51
	s_cbranch_execz .LBB75_101
	s_branch .LBB75_102
.LBB75_100:
                                        ; implicit-def: $vgpr53
.LBB75_101:
	ds_load_b32 v53, v54
.LBB75_102:
	s_and_saveexec_b32 s5, s0
	s_cbranch_execz .LBB75_112
; %bb.103:
	v_dual_add_nc_u32 v50, -5, v0 :: v_dual_add_nc_u32 v51, -4, v0
	s_delay_alu instid0(VALU_DEP_1)
	v_cmp_lt_u32_e32 vcc_lo, 6, v50
	v_mov_b32_e32 v50, 4
	s_and_saveexec_b32 s0, vcc_lo
	s_cbranch_execz .LBB75_107
; %bb.104:
	v_and_b32_e32 v50, -8, v51
	s_mov_b32 s6, 0
	s_mov_b64 s[2:3], 5
	s_mov_b32 s7, 64
	s_delay_alu instid0(VALU_DEP_1)
	v_sub_nc_u32_e32 v52, 0, v50
.LBB75_105:                             ; =>This Inner Loop Header: Depth=1
	s_add_co_i32 m0, s2, -1
	v_movrels_b32_e32 v55, v14
	v_mov_b32_e32 v50, s7
	s_mov_b32 m0, s2
	s_add_co_i32 s7, s7, 32
	v_movrels_b32_e32 v64, v14
	s_add_co_i32 m0, s2, 1
	ds_load_b128 v[56:59], v50
	ds_load_b128 v[60:63], v50 offset:16
	v_movrels_b32_e32 v50, v14
	s_add_co_i32 m0, s2, 2
	s_wait_dscnt 0x1
	v_fmac_f32_e32 v53, v55, v56
	v_movrels_b32_e32 v55, v14
	s_add_co_i32 m0, s2, 3
	s_delay_alu instid0(VALU_DEP_2) | instskip(NEXT) | instid1(VALU_DEP_1)
	v_fmac_f32_e32 v53, v64, v57
	v_fmac_f32_e32 v53, v50, v58
	v_movrels_b32_e32 v50, v14
	s_add_co_i32 m0, s2, 4
	s_delay_alu instid0(VALU_DEP_2) | instskip(SKIP_3) | instid1(VALU_DEP_2)
	v_fmac_f32_e32 v53, v55, v59
	v_movrels_b32_e32 v55, v14
	s_add_co_i32 m0, s2, 5
	s_wait_dscnt 0x0
	v_fmac_f32_e32 v53, v50, v60
	v_movrels_b32_e32 v50, v14
	s_add_co_i32 m0, s2, 6
	s_add_nc_u64 s[2:3], s[2:3], 8
	v_movrels_b32_e32 v56, v14
	v_dual_fmac_f32 v53, v55, v61 :: v_dual_add_nc_u32 v55, s2, v52
	s_add_co_i32 s8, s2, -1
	s_delay_alu instid0(VALU_DEP_1) | instskip(NEXT) | instid1(VALU_DEP_2)
	v_fmac_f32_e32 v53, v50, v62
	v_cmp_eq_u32_e32 vcc_lo, 5, v55
	s_delay_alu instid0(VALU_DEP_2) | instskip(SKIP_1) | instid1(SALU_CYCLE_1)
	v_dual_mov_b32 v50, s8 :: v_dual_fmac_f32 v53, v56, v63
	s_or_b32 s6, vcc_lo, s6
	s_and_not1_b32 exec_lo, exec_lo, s6
	s_cbranch_execnz .LBB75_105
; %bb.106:
	s_or_b32 exec_lo, exec_lo, s6
.LBB75_107:
	s_delay_alu instid0(SALU_CYCLE_1) | instskip(SKIP_3) | instid1(VALU_DEP_1)
	s_or_b32 exec_lo, exec_lo, s0
	v_and_b32_e32 v52, 7, v51
	s_mov_b32 s2, 0
	s_mov_b32 s0, exec_lo
	v_cmpx_ne_u32_e32 0, v52
	s_cbranch_execz .LBB75_111
; %bb.108:
	v_lshl_add_u32 v55, v50, 2, 48
	v_mov_b32_e32 v51, 0
.LBB75_109:                             ; =>This Inner Loop Header: Depth=1
	v_cmp_eq_u32_e32 vcc_lo, 1, v50
	ds_load_b32 v57, v55
	v_dual_add_nc_u32 v52, -1, v52 :: v_dual_add_nc_u32 v55, 4, v55
	v_cndmask_b32_e32 v56, v14, v15, vcc_lo
	v_cmp_eq_u32_e32 vcc_lo, 2, v50
	s_delay_alu instid0(VALU_DEP_2) | instskip(SKIP_1) | instid1(VALU_DEP_2)
	v_cndmask_b32_e32 v56, v56, v16, vcc_lo
	v_cmp_eq_u32_e32 vcc_lo, 3, v50
	v_cndmask_b32_e32 v56, v56, v17, vcc_lo
	v_cmp_eq_u32_e32 vcc_lo, 4, v50
	s_delay_alu instid0(VALU_DEP_2) | instskip(SKIP_1) | instid1(VALU_DEP_2)
	v_cndmask_b32_e32 v56, v56, v18, vcc_lo
	v_cmp_eq_u32_e32 vcc_lo, 5, v50
	;; [unrolled: 5-line block ×4, first 2 shown]
	v_cndmask_b32_e32 v56, v56, v23, vcc_lo
	v_cmp_eq_u32_e32 vcc_lo, 10, v50
	s_delay_alu instid0(VALU_DEP_2) | instskip(SKIP_2) | instid1(VALU_DEP_3)
	v_cndmask_b32_e32 v56, v56, v24, vcc_lo
	v_cmp_eq_u32_e32 vcc_lo, 11, v50
	v_add_nc_u64_e32 v[50:51], 1, v[50:51]
	v_cndmask_b32_e32 v56, v56, v25, vcc_lo
	v_cmp_eq_u32_e32 vcc_lo, 0, v52
	s_wait_dscnt 0x0
	s_delay_alu instid0(VALU_DEP_2) | instskip(SKIP_1) | instid1(SALU_CYCLE_1)
	v_fmac_f32_e32 v53, v56, v57
	s_or_b32 s2, vcc_lo, s2
	s_and_not1_b32 exec_lo, exec_lo, s2
	s_cbranch_execnz .LBB75_109
; %bb.110:
	s_or_b32 exec_lo, exec_lo, s2
.LBB75_111:
	s_delay_alu instid0(SALU_CYCLE_1)
	s_or_b32 exec_lo, exec_lo, s0
.LBB75_112:
	s_delay_alu instid0(SALU_CYCLE_1)
	s_or_b32 exec_lo, exec_lo, s5
	v_mov_b32_e32 v17, 0
	ds_load_b32 v17, v17 offset:12
	s_wait_dscnt 0x0
	v_mul_f32_e32 v17, v53, v17
.LBB75_113:
	s_or_b32 exec_lo, exec_lo, s4
	v_cmp_lt_u32_e64 s0, 2, v0
	ds_store_b32 v54, v16
	s_wait_dscnt 0x0
	s_barrier_signal -1
	s_barrier_wait -1
	s_and_saveexec_b32 s4, s0
	s_cbranch_execz .LBB75_129
; %bb.114:
	s_and_not1_b32 vcc_lo, exec_lo, s16
	s_cbranch_vccnz .LBB75_116
; %bb.115:
	v_cmp_eq_u32_e32 vcc_lo, 1, v0
	ds_load_b32 v51, v54
	v_cndmask_b32_e32 v50, v14, v15, vcc_lo
	v_cmp_eq_u32_e32 vcc_lo, 2, v0
	s_delay_alu instid0(VALU_DEP_2) | instskip(SKIP_1) | instid1(VALU_DEP_2)
	v_cndmask_b32_e32 v50, v50, v16, vcc_lo
	v_cmp_eq_u32_e32 vcc_lo, 3, v0
	v_cndmask_b32_e32 v50, v50, v17, vcc_lo
	v_cmp_eq_u32_e32 vcc_lo, 4, v0
	s_delay_alu instid0(VALU_DEP_2) | instskip(SKIP_1) | instid1(VALU_DEP_2)
	v_cndmask_b32_e32 v50, v50, v18, vcc_lo
	v_cmp_eq_u32_e32 vcc_lo, 5, v0
	;; [unrolled: 5-line block ×5, first 2 shown]
	v_cndmask_b32_e32 v50, v50, v25, vcc_lo
	s_wait_dscnt 0x0
	s_delay_alu instid0(VALU_DEP_1)
	v_mul_f32_e32 v53, v50, v51
	s_cbranch_execz .LBB75_117
	s_branch .LBB75_118
.LBB75_116:
                                        ; implicit-def: $vgpr53
.LBB75_117:
	ds_load_b32 v53, v54
.LBB75_118:
	s_and_saveexec_b32 s5, s1
	s_cbranch_execz .LBB75_128
; %bb.119:
	v_dual_add_nc_u32 v50, -4, v0 :: v_dual_add_nc_u32 v51, -3, v0
	s_delay_alu instid0(VALU_DEP_1)
	v_cmp_lt_u32_e32 vcc_lo, 6, v50
	v_mov_b32_e32 v50, 3
	s_and_saveexec_b32 s1, vcc_lo
	s_cbranch_execz .LBB75_123
; %bb.120:
	v_and_b32_e32 v50, -8, v51
	s_mov_b32 s6, 0
	s_mov_b64 s[2:3], 10
	s_mov_b32 s7, 60
	s_delay_alu instid0(VALU_DEP_1)
	v_sub_nc_u32_e32 v52, 0, v50
.LBB75_121:                             ; =>This Inner Loop Header: Depth=1
	s_add_co_i32 m0, s2, -7
	v_movrels_b32_e32 v55, v14
	v_mov_b32_e32 v50, s7
	s_add_co_i32 m0, s2, -6
	s_add_co_i32 s7, s7, 32
	v_movrels_b32_e32 v64, v14
	ds_load_2addr_b32 v[56:57], v50 offset1:1
	ds_load_2addr_b32 v[58:59], v50 offset0:2 offset1:3
	s_add_co_i32 m0, s2, -5
	s_wait_dscnt 0x1
	v_fmac_f32_e32 v53, v55, v56
	ds_load_2addr_b32 v[60:61], v50 offset0:4 offset1:5
	ds_load_2addr_b32 v[62:63], v50 offset0:6 offset1:7
	v_movrels_b32_e32 v50, v14
	s_add_co_i32 m0, s2, -4
	v_fmac_f32_e32 v53, v64, v57
	v_movrels_b32_e32 v55, v14
	s_add_co_i32 m0, s2, -3
	s_wait_dscnt 0x2
	s_delay_alu instid0(VALU_DEP_2) | instskip(SKIP_2) | instid1(VALU_DEP_2)
	v_fmac_f32_e32 v53, v50, v58
	v_movrels_b32_e32 v50, v14
	s_add_co_i32 m0, s2, -2
	v_fmac_f32_e32 v53, v55, v59
	v_movrels_b32_e32 v55, v14
	s_add_co_i32 m0, s2, -1
	s_wait_dscnt 0x1
	s_delay_alu instid0(VALU_DEP_2)
	v_fmac_f32_e32 v53, v50, v60
	v_movrels_b32_e32 v50, v14
	s_mov_b32 m0, s2
	s_add_nc_u64 s[2:3], s[2:3], 8
	v_movrels_b32_e32 v56, v14
	v_dual_fmac_f32 v53, v55, v61 :: v_dual_add_nc_u32 v55, s2, v52
	s_add_co_i32 s8, s2, -7
	s_wait_dscnt 0x0
	s_delay_alu instid0(VALU_DEP_1) | instskip(NEXT) | instid1(VALU_DEP_2)
	v_fmac_f32_e32 v53, v50, v62
	v_cmp_eq_u32_e32 vcc_lo, 10, v55
	s_delay_alu instid0(VALU_DEP_2) | instskip(SKIP_1) | instid1(SALU_CYCLE_1)
	v_dual_mov_b32 v50, s8 :: v_dual_fmac_f32 v53, v56, v63
	s_or_b32 s6, vcc_lo, s6
	s_and_not1_b32 exec_lo, exec_lo, s6
	s_cbranch_execnz .LBB75_121
; %bb.122:
	s_or_b32 exec_lo, exec_lo, s6
.LBB75_123:
	s_delay_alu instid0(SALU_CYCLE_1) | instskip(SKIP_3) | instid1(VALU_DEP_1)
	s_or_b32 exec_lo, exec_lo, s1
	v_and_b32_e32 v52, 7, v51
	s_mov_b32 s2, 0
	s_mov_b32 s1, exec_lo
	v_cmpx_ne_u32_e32 0, v52
	s_cbranch_execz .LBB75_127
; %bb.124:
	v_lshl_add_u32 v55, v50, 2, 48
	v_mov_b32_e32 v51, 0
.LBB75_125:                             ; =>This Inner Loop Header: Depth=1
	v_cmp_eq_u32_e32 vcc_lo, 1, v50
	ds_load_b32 v57, v55
	v_dual_add_nc_u32 v52, -1, v52 :: v_dual_add_nc_u32 v55, 4, v55
	v_cndmask_b32_e32 v56, v14, v15, vcc_lo
	v_cmp_eq_u32_e32 vcc_lo, 2, v50
	s_delay_alu instid0(VALU_DEP_2) | instskip(SKIP_1) | instid1(VALU_DEP_2)
	v_cndmask_b32_e32 v56, v56, v16, vcc_lo
	v_cmp_eq_u32_e32 vcc_lo, 3, v50
	v_cndmask_b32_e32 v56, v56, v17, vcc_lo
	v_cmp_eq_u32_e32 vcc_lo, 4, v50
	s_delay_alu instid0(VALU_DEP_2) | instskip(SKIP_1) | instid1(VALU_DEP_2)
	v_cndmask_b32_e32 v56, v56, v18, vcc_lo
	v_cmp_eq_u32_e32 vcc_lo, 5, v50
	;; [unrolled: 5-line block ×4, first 2 shown]
	v_cndmask_b32_e32 v56, v56, v23, vcc_lo
	v_cmp_eq_u32_e32 vcc_lo, 10, v50
	s_delay_alu instid0(VALU_DEP_2) | instskip(SKIP_2) | instid1(VALU_DEP_3)
	v_cndmask_b32_e32 v56, v56, v24, vcc_lo
	v_cmp_eq_u32_e32 vcc_lo, 11, v50
	v_add_nc_u64_e32 v[50:51], 1, v[50:51]
	v_cndmask_b32_e32 v56, v56, v25, vcc_lo
	v_cmp_eq_u32_e32 vcc_lo, 0, v52
	s_wait_dscnt 0x0
	s_delay_alu instid0(VALU_DEP_2) | instskip(SKIP_1) | instid1(SALU_CYCLE_1)
	v_fmac_f32_e32 v53, v56, v57
	s_or_b32 s2, vcc_lo, s2
	s_and_not1_b32 exec_lo, exec_lo, s2
	s_cbranch_execnz .LBB75_125
; %bb.126:
	s_or_b32 exec_lo, exec_lo, s2
.LBB75_127:
	s_delay_alu instid0(SALU_CYCLE_1)
	s_or_b32 exec_lo, exec_lo, s1
.LBB75_128:
	s_delay_alu instid0(SALU_CYCLE_1)
	s_or_b32 exec_lo, exec_lo, s5
	v_mov_b32_e32 v16, 0
	ds_load_b32 v16, v16 offset:8
	s_wait_dscnt 0x0
	v_mul_f32_e32 v16, v53, v16
.LBB75_129:
	s_or_b32 exec_lo, exec_lo, s4
	v_cmp_lt_u32_e64 s1, 1, v0
	ds_store_b32 v54, v15
	s_wait_dscnt 0x0
	s_barrier_signal -1
	s_barrier_wait -1
	s_and_saveexec_b32 s4, s1
	s_cbranch_execz .LBB75_145
; %bb.130:
	s_and_not1_b32 vcc_lo, exec_lo, s16
	s_cbranch_vccnz .LBB75_132
; %bb.131:
	v_cmp_eq_u32_e32 vcc_lo, 1, v0
	ds_load_b32 v51, v54
	v_cndmask_b32_e32 v50, v14, v15, vcc_lo
	v_cmp_eq_u32_e32 vcc_lo, 2, v0
	s_delay_alu instid0(VALU_DEP_2) | instskip(SKIP_1) | instid1(VALU_DEP_2)
	v_cndmask_b32_e32 v50, v50, v16, vcc_lo
	v_cmp_eq_u32_e32 vcc_lo, 3, v0
	v_cndmask_b32_e32 v50, v50, v17, vcc_lo
	v_cmp_eq_u32_e32 vcc_lo, 4, v0
	s_delay_alu instid0(VALU_DEP_2) | instskip(SKIP_1) | instid1(VALU_DEP_2)
	v_cndmask_b32_e32 v50, v50, v18, vcc_lo
	v_cmp_eq_u32_e32 vcc_lo, 5, v0
	v_cndmask_b32_e32 v50, v50, v19, vcc_lo
	v_cmp_eq_u32_e32 vcc_lo, 6, v0
	s_delay_alu instid0(VALU_DEP_2) | instskip(SKIP_1) | instid1(VALU_DEP_2)
	v_cndmask_b32_e32 v50, v50, v20, vcc_lo
	v_cmp_eq_u32_e32 vcc_lo, 7, v0
	v_cndmask_b32_e32 v50, v50, v21, vcc_lo
	v_cmp_eq_u32_e32 vcc_lo, 8, v0
	s_delay_alu instid0(VALU_DEP_2) | instskip(SKIP_1) | instid1(VALU_DEP_2)
	v_cndmask_b32_e32 v50, v50, v22, vcc_lo
	v_cmp_eq_u32_e32 vcc_lo, 9, v0
	v_cndmask_b32_e32 v50, v50, v23, vcc_lo
	v_cmp_eq_u32_e32 vcc_lo, 10, v0
	s_delay_alu instid0(VALU_DEP_2) | instskip(SKIP_1) | instid1(VALU_DEP_2)
	v_cndmask_b32_e32 v50, v50, v24, vcc_lo
	v_cmp_eq_u32_e32 vcc_lo, 11, v0
	v_cndmask_b32_e32 v50, v50, v25, vcc_lo
	s_wait_dscnt 0x0
	s_delay_alu instid0(VALU_DEP_1)
	v_mul_f32_e32 v53, v50, v51
	s_cbranch_execz .LBB75_133
	s_branch .LBB75_134
.LBB75_132:
                                        ; implicit-def: $vgpr53
.LBB75_133:
	ds_load_b32 v53, v54
.LBB75_134:
	s_and_saveexec_b32 s5, s0
	s_cbranch_execz .LBB75_144
; %bb.135:
	v_dual_add_nc_u32 v50, -3, v0 :: v_dual_add_nc_u32 v51, -2, v0
	s_delay_alu instid0(VALU_DEP_1)
	v_cmp_lt_u32_e32 vcc_lo, 6, v50
	v_mov_b32_e32 v50, 2
	s_and_saveexec_b32 s0, vcc_lo
	s_cbranch_execz .LBB75_139
; %bb.136:
	v_and_b32_e32 v50, -8, v51
	s_mov_b32 s6, 0
	s_mov_b64 s[2:3], 9
	s_mov_b32 s7, 56
	s_delay_alu instid0(VALU_DEP_1)
	v_sub_nc_u32_e32 v52, 0, v50
.LBB75_137:                             ; =>This Inner Loop Header: Depth=1
	s_add_co_i32 m0, s2, -7
	v_movrels_b32_e32 v55, v14
	v_mov_b32_e32 v50, s7
	s_add_co_i32 m0, s2, -6
	s_add_co_i32 s7, s7, 32
	v_movrels_b32_e32 v64, v14
	s_add_co_i32 m0, s2, -5
	ds_load_2addr_b64 v[56:59], v50 offset1:1
	ds_load_2addr_b64 v[60:63], v50 offset0:2 offset1:3
	v_movrels_b32_e32 v50, v14
	s_add_co_i32 m0, s2, -4
	s_wait_dscnt 0x1
	v_fmac_f32_e32 v53, v55, v56
	v_movrels_b32_e32 v55, v14
	s_add_co_i32 m0, s2, -3
	s_delay_alu instid0(VALU_DEP_2) | instskip(NEXT) | instid1(VALU_DEP_1)
	v_fmac_f32_e32 v53, v64, v57
	v_fmac_f32_e32 v53, v50, v58
	v_movrels_b32_e32 v50, v14
	s_add_co_i32 m0, s2, -2
	s_delay_alu instid0(VALU_DEP_2) | instskip(SKIP_3) | instid1(VALU_DEP_2)
	v_fmac_f32_e32 v53, v55, v59
	v_movrels_b32_e32 v55, v14
	s_add_co_i32 m0, s2, -1
	s_wait_dscnt 0x0
	v_fmac_f32_e32 v53, v50, v60
	v_movrels_b32_e32 v50, v14
	s_mov_b32 m0, s2
	s_add_nc_u64 s[2:3], s[2:3], 8
	v_movrels_b32_e32 v56, v14
	v_dual_fmac_f32 v53, v55, v61 :: v_dual_add_nc_u32 v55, s2, v52
	s_add_co_i32 s8, s2, -7
	s_delay_alu instid0(VALU_DEP_1) | instskip(NEXT) | instid1(VALU_DEP_2)
	v_fmac_f32_e32 v53, v50, v62
	v_cmp_eq_u32_e32 vcc_lo, 9, v55
	s_delay_alu instid0(VALU_DEP_2) | instskip(SKIP_1) | instid1(SALU_CYCLE_1)
	v_dual_mov_b32 v50, s8 :: v_dual_fmac_f32 v53, v56, v63
	s_or_b32 s6, vcc_lo, s6
	s_and_not1_b32 exec_lo, exec_lo, s6
	s_cbranch_execnz .LBB75_137
; %bb.138:
	s_or_b32 exec_lo, exec_lo, s6
.LBB75_139:
	s_delay_alu instid0(SALU_CYCLE_1) | instskip(SKIP_3) | instid1(VALU_DEP_1)
	s_or_b32 exec_lo, exec_lo, s0
	v_and_b32_e32 v52, 7, v51
	s_mov_b32 s2, 0
	s_mov_b32 s0, exec_lo
	v_cmpx_ne_u32_e32 0, v52
	s_cbranch_execz .LBB75_143
; %bb.140:
	v_lshl_add_u32 v55, v50, 2, 48
	v_mov_b32_e32 v51, 0
.LBB75_141:                             ; =>This Inner Loop Header: Depth=1
	v_cmp_eq_u32_e32 vcc_lo, 1, v50
	ds_load_b32 v57, v55
	v_dual_add_nc_u32 v52, -1, v52 :: v_dual_add_nc_u32 v55, 4, v55
	v_cndmask_b32_e32 v56, v14, v15, vcc_lo
	v_cmp_eq_u32_e32 vcc_lo, 2, v50
	s_delay_alu instid0(VALU_DEP_2) | instskip(SKIP_1) | instid1(VALU_DEP_2)
	v_cndmask_b32_e32 v56, v56, v16, vcc_lo
	v_cmp_eq_u32_e32 vcc_lo, 3, v50
	v_cndmask_b32_e32 v56, v56, v17, vcc_lo
	v_cmp_eq_u32_e32 vcc_lo, 4, v50
	s_delay_alu instid0(VALU_DEP_2) | instskip(SKIP_1) | instid1(VALU_DEP_2)
	v_cndmask_b32_e32 v56, v56, v18, vcc_lo
	v_cmp_eq_u32_e32 vcc_lo, 5, v50
	;; [unrolled: 5-line block ×4, first 2 shown]
	v_cndmask_b32_e32 v56, v56, v23, vcc_lo
	v_cmp_eq_u32_e32 vcc_lo, 10, v50
	s_delay_alu instid0(VALU_DEP_2) | instskip(SKIP_2) | instid1(VALU_DEP_3)
	v_cndmask_b32_e32 v56, v56, v24, vcc_lo
	v_cmp_eq_u32_e32 vcc_lo, 11, v50
	v_add_nc_u64_e32 v[50:51], 1, v[50:51]
	v_cndmask_b32_e32 v56, v56, v25, vcc_lo
	v_cmp_eq_u32_e32 vcc_lo, 0, v52
	s_wait_dscnt 0x0
	s_delay_alu instid0(VALU_DEP_2) | instskip(SKIP_1) | instid1(SALU_CYCLE_1)
	v_fmac_f32_e32 v53, v56, v57
	s_or_b32 s2, vcc_lo, s2
	s_and_not1_b32 exec_lo, exec_lo, s2
	s_cbranch_execnz .LBB75_141
; %bb.142:
	s_or_b32 exec_lo, exec_lo, s2
.LBB75_143:
	s_delay_alu instid0(SALU_CYCLE_1)
	s_or_b32 exec_lo, exec_lo, s0
.LBB75_144:
	s_delay_alu instid0(SALU_CYCLE_1)
	s_or_b32 exec_lo, exec_lo, s5
	v_mov_b32_e32 v15, 0
	ds_load_b32 v15, v15 offset:4
	s_wait_dscnt 0x0
	v_mul_f32_e32 v15, v53, v15
.LBB75_145:
	s_or_b32 exec_lo, exec_lo, s4
	s_mov_b32 s2, 0
	s_mov_b32 s3, exec_lo
	ds_store_b32 v54, v14
	s_wait_dscnt 0x0
	s_barrier_signal -1
	s_barrier_wait -1
	v_cmpx_ne_u32_e32 0, v0
	s_cbranch_execz .LBB75_161
; %bb.146:
	s_and_not1_b32 vcc_lo, exec_lo, s16
	s_cbranch_vccnz .LBB75_148
; %bb.147:
	v_cmp_eq_u32_e32 vcc_lo, 1, v0
	ds_load_b32 v51, v54
	v_cndmask_b32_e32 v50, v14, v15, vcc_lo
	v_cmp_eq_u32_e32 vcc_lo, 2, v0
	s_delay_alu instid0(VALU_DEP_2) | instskip(SKIP_1) | instid1(VALU_DEP_2)
	v_cndmask_b32_e32 v50, v50, v16, vcc_lo
	v_cmp_eq_u32_e32 vcc_lo, 3, v0
	v_cndmask_b32_e32 v50, v50, v17, vcc_lo
	v_cmp_eq_u32_e32 vcc_lo, 4, v0
	s_delay_alu instid0(VALU_DEP_2) | instskip(SKIP_1) | instid1(VALU_DEP_2)
	v_cndmask_b32_e32 v50, v50, v18, vcc_lo
	v_cmp_eq_u32_e32 vcc_lo, 5, v0
	;; [unrolled: 5-line block ×5, first 2 shown]
	v_cndmask_b32_e32 v50, v50, v25, vcc_lo
	s_wait_dscnt 0x0
	s_delay_alu instid0(VALU_DEP_1)
	v_mul_f32_e32 v53, v50, v51
	s_cbranch_execz .LBB75_149
	s_branch .LBB75_150
.LBB75_148:
                                        ; implicit-def: $vgpr53
.LBB75_149:
	ds_load_b32 v53, v54
.LBB75_150:
	s_and_saveexec_b32 s4, s1
	s_cbranch_execz .LBB75_160
; %bb.151:
	v_dual_add_nc_u32 v50, -2, v0 :: v_dual_add_nc_u32 v51, -1, v0
	s_delay_alu instid0(VALU_DEP_1)
	v_cmp_lt_u32_e32 vcc_lo, 6, v50
	v_mov_b32_e32 v50, 1
	s_and_saveexec_b32 s5, vcc_lo
	s_cbranch_execz .LBB75_155
; %bb.152:
	v_and_b32_e32 v50, -8, v51
	s_mov_b32 s6, 0
	s_mov_b64 s[0:1], 8
	s_mov_b32 s7, 52
	s_delay_alu instid0(VALU_DEP_1)
	v_sub_nc_u32_e32 v52, 0, v50
.LBB75_153:                             ; =>This Inner Loop Header: Depth=1
	s_add_co_i32 m0, s0, -7
	v_movrels_b32_e32 v55, v14
	v_mov_b32_e32 v50, s7
	s_add_co_i32 m0, s0, -6
	s_add_co_i32 s7, s7, 32
	v_movrels_b32_e32 v64, v14
	ds_load_2addr_b32 v[56:57], v50 offset1:1
	ds_load_2addr_b32 v[58:59], v50 offset0:2 offset1:3
	s_add_co_i32 m0, s0, -5
	s_wait_dscnt 0x1
	v_fmac_f32_e32 v53, v55, v56
	ds_load_2addr_b32 v[60:61], v50 offset0:4 offset1:5
	ds_load_2addr_b32 v[62:63], v50 offset0:6 offset1:7
	v_movrels_b32_e32 v50, v14
	s_add_co_i32 m0, s0, -4
	v_fmac_f32_e32 v53, v64, v57
	v_movrels_b32_e32 v55, v14
	s_add_co_i32 m0, s0, -3
	s_wait_dscnt 0x2
	s_delay_alu instid0(VALU_DEP_2) | instskip(SKIP_2) | instid1(VALU_DEP_2)
	v_fmac_f32_e32 v53, v50, v58
	v_movrels_b32_e32 v50, v14
	s_add_co_i32 m0, s0, -2
	v_fmac_f32_e32 v53, v55, v59
	v_movrels_b32_e32 v55, v14
	s_add_co_i32 m0, s0, -1
	s_wait_dscnt 0x1
	s_delay_alu instid0(VALU_DEP_2)
	v_fmac_f32_e32 v53, v50, v60
	v_movrels_b32_e32 v50, v14
	s_mov_b32 m0, s0
	s_add_nc_u64 s[0:1], s[0:1], 8
	v_movrels_b32_e32 v56, v14
	v_dual_fmac_f32 v53, v55, v61 :: v_dual_add_nc_u32 v55, s0, v52
	s_add_co_i32 s8, s0, -7
	s_wait_dscnt 0x0
	s_delay_alu instid0(VALU_DEP_1) | instskip(NEXT) | instid1(VALU_DEP_2)
	v_fmac_f32_e32 v53, v50, v62
	v_cmp_eq_u32_e32 vcc_lo, 8, v55
	s_delay_alu instid0(VALU_DEP_2) | instskip(SKIP_1) | instid1(SALU_CYCLE_1)
	v_dual_mov_b32 v50, s8 :: v_dual_fmac_f32 v53, v56, v63
	s_or_b32 s6, vcc_lo, s6
	s_and_not1_b32 exec_lo, exec_lo, s6
	s_cbranch_execnz .LBB75_153
; %bb.154:
	s_or_b32 exec_lo, exec_lo, s6
.LBB75_155:
	s_delay_alu instid0(SALU_CYCLE_1) | instskip(SKIP_3) | instid1(VALU_DEP_1)
	s_or_b32 exec_lo, exec_lo, s5
	v_and_b32_e32 v52, 7, v51
	s_mov_b32 s1, 0
	s_mov_b32 s0, exec_lo
	v_cmpx_ne_u32_e32 0, v52
	s_cbranch_execz .LBB75_159
; %bb.156:
	v_lshl_add_u32 v55, v50, 2, 48
	v_mov_b32_e32 v51, 0
.LBB75_157:                             ; =>This Inner Loop Header: Depth=1
	v_cmp_eq_u32_e32 vcc_lo, 1, v50
	ds_load_b32 v57, v55
	v_dual_add_nc_u32 v52, -1, v52 :: v_dual_add_nc_u32 v55, 4, v55
	v_cndmask_b32_e32 v56, v14, v15, vcc_lo
	v_cmp_eq_u32_e32 vcc_lo, 2, v50
	s_delay_alu instid0(VALU_DEP_2) | instskip(SKIP_1) | instid1(VALU_DEP_2)
	v_cndmask_b32_e32 v56, v56, v16, vcc_lo
	v_cmp_eq_u32_e32 vcc_lo, 3, v50
	v_cndmask_b32_e32 v56, v56, v17, vcc_lo
	v_cmp_eq_u32_e32 vcc_lo, 4, v50
	s_delay_alu instid0(VALU_DEP_2) | instskip(SKIP_1) | instid1(VALU_DEP_2)
	v_cndmask_b32_e32 v56, v56, v18, vcc_lo
	v_cmp_eq_u32_e32 vcc_lo, 5, v50
	v_cndmask_b32_e32 v56, v56, v19, vcc_lo
	v_cmp_eq_u32_e32 vcc_lo, 6, v50
	s_delay_alu instid0(VALU_DEP_2) | instskip(SKIP_1) | instid1(VALU_DEP_2)
	v_cndmask_b32_e32 v56, v56, v20, vcc_lo
	v_cmp_eq_u32_e32 vcc_lo, 7, v50
	v_cndmask_b32_e32 v56, v56, v21, vcc_lo
	v_cmp_eq_u32_e32 vcc_lo, 8, v50
	s_delay_alu instid0(VALU_DEP_2) | instskip(SKIP_1) | instid1(VALU_DEP_2)
	v_cndmask_b32_e32 v56, v56, v22, vcc_lo
	v_cmp_eq_u32_e32 vcc_lo, 9, v50
	v_cndmask_b32_e32 v56, v56, v23, vcc_lo
	v_cmp_eq_u32_e32 vcc_lo, 10, v50
	s_delay_alu instid0(VALU_DEP_2) | instskip(SKIP_2) | instid1(VALU_DEP_3)
	v_cndmask_b32_e32 v56, v56, v24, vcc_lo
	v_cmp_eq_u32_e32 vcc_lo, 11, v50
	v_add_nc_u64_e32 v[50:51], 1, v[50:51]
	v_cndmask_b32_e32 v56, v56, v25, vcc_lo
	v_cmp_eq_u32_e32 vcc_lo, 0, v52
	s_wait_dscnt 0x0
	s_delay_alu instid0(VALU_DEP_2) | instskip(SKIP_1) | instid1(SALU_CYCLE_1)
	v_fmac_f32_e32 v53, v56, v57
	s_or_b32 s1, vcc_lo, s1
	s_and_not1_b32 exec_lo, exec_lo, s1
	s_cbranch_execnz .LBB75_157
; %bb.158:
	s_or_b32 exec_lo, exec_lo, s1
.LBB75_159:
	s_delay_alu instid0(SALU_CYCLE_1)
	s_or_b32 exec_lo, exec_lo, s0
.LBB75_160:
	s_delay_alu instid0(SALU_CYCLE_1)
	s_or_b32 exec_lo, exec_lo, s4
	v_mov_b32_e32 v14, 0
	ds_load_b32 v14, v14
	s_wait_dscnt 0x0
	v_mul_f32_e32 v14, v53, v14
.LBB75_161:
	s_or_b32 exec_lo, exec_lo, s3
	s_delay_alu instid0(SALU_CYCLE_1)
	s_and_b32 vcc_lo, exec_lo, s2
	s_cbranch_vccz .LBB75_275
.LBB75_162:
	v_cmp_eq_u32_e64 s0, 0, v0
	s_wait_loadcnt_dscnt 0xb0c
	ds_store_b32 v54, v3
	s_wait_loadcnt_dscnt 0x0
	s_barrier_signal -1
	s_barrier_wait -1
	s_and_saveexec_b32 s1, s0
	s_cbranch_execz .LBB75_168
; %bb.163:
	s_and_b32 vcc_lo, exec_lo, s16
	s_cbranch_vccz .LBB75_165
; %bb.164:
	v_cmp_eq_u32_e32 vcc_lo, 1, v0
	ds_load_b32 v14, v54
	v_cndmask_b32_e32 v3, v2, v3, vcc_lo
	v_cmp_eq_u32_e32 vcc_lo, 2, v0
	s_delay_alu instid0(VALU_DEP_2) | instskip(SKIP_1) | instid1(VALU_DEP_2)
	v_cndmask_b32_e32 v3, v3, v4, vcc_lo
	v_cmp_eq_u32_e32 vcc_lo, 3, v0
	v_cndmask_b32_e32 v3, v3, v5, vcc_lo
	v_cmp_eq_u32_e32 vcc_lo, 4, v0
	s_delay_alu instid0(VALU_DEP_2) | instskip(SKIP_1) | instid1(VALU_DEP_2)
	v_cndmask_b32_e32 v3, v3, v6, vcc_lo
	v_cmp_eq_u32_e32 vcc_lo, 5, v0
	;; [unrolled: 5-line block ×5, first 2 shown]
	v_cndmask_b32_e32 v3, v3, v13, vcc_lo
	s_wait_dscnt 0x0
	s_delay_alu instid0(VALU_DEP_1)
	v_mul_f32_e32 v3, v3, v14
	s_cbranch_execz .LBB75_166
	s_branch .LBB75_167
.LBB75_165:
                                        ; implicit-def: $vgpr3
.LBB75_166:
	ds_load_b32 v3, v54
.LBB75_167:
	v_mov_b32_e32 v14, 0
	ds_load_b32 v14, v14 offset:4
	s_wait_dscnt 0x0
	v_mul_f32_e32 v3, v3, v14
.LBB75_168:
	s_or_b32 exec_lo, exec_lo, s1
	v_cndmask_b32_e64 v16, 0, 1, s16
	s_mov_b32 s1, exec_lo
	ds_store_b32 v54, v4
	s_wait_dscnt 0x0
	s_barrier_signal -1
	s_barrier_wait -1
	v_cmpx_gt_u32_e32 2, v0
	s_cbranch_execz .LBB75_174
; %bb.169:
	s_and_not1_b32 vcc_lo, exec_lo, s16
	s_cbranch_vccnz .LBB75_171
; %bb.170:
	v_cmp_eq_u32_e32 vcc_lo, 1, v0
	v_cndmask_b32_e32 v14, v2, v3, vcc_lo
	v_cmp_eq_u32_e32 vcc_lo, 2, v0
	s_delay_alu instid0(VALU_DEP_2) | instskip(SKIP_4) | instid1(VALU_DEP_2)
	v_cndmask_b32_e32 v4, v14, v4, vcc_lo
	v_cmp_eq_u32_e32 vcc_lo, 3, v0
	ds_load_b32 v14, v54
	v_cndmask_b32_e32 v4, v4, v5, vcc_lo
	v_cmp_eq_u32_e32 vcc_lo, 4, v0
	v_cndmask_b32_e32 v4, v4, v6, vcc_lo
	v_cmp_eq_u32_e32 vcc_lo, 5, v0
	s_delay_alu instid0(VALU_DEP_2) | instskip(SKIP_1) | instid1(VALU_DEP_2)
	v_cndmask_b32_e32 v4, v4, v7, vcc_lo
	v_cmp_eq_u32_e32 vcc_lo, 6, v0
	v_cndmask_b32_e32 v4, v4, v8, vcc_lo
	v_cmp_eq_u32_e32 vcc_lo, 7, v0
	s_delay_alu instid0(VALU_DEP_2) | instskip(SKIP_1) | instid1(VALU_DEP_2)
	;; [unrolled: 5-line block ×3, first 2 shown]
	v_cndmask_b32_e32 v4, v4, v11, vcc_lo
	v_cmp_eq_u32_e32 vcc_lo, 10, v0
	v_cndmask_b32_e32 v4, v4, v12, vcc_lo
	v_cmp_eq_u32_e32 vcc_lo, 11, v0
	s_delay_alu instid0(VALU_DEP_2) | instskip(SKIP_1) | instid1(VALU_DEP_1)
	v_cndmask_b32_e32 v4, v4, v13, vcc_lo
	s_wait_dscnt 0x0
	v_mul_f32_e32 v4, v4, v14
	s_cbranch_execz .LBB75_172
	s_branch .LBB75_173
.LBB75_171:
                                        ; implicit-def: $vgpr4
.LBB75_172:
	ds_load_b32 v4, v54
.LBB75_173:
	v_mov_b32_e32 v14, 0
	ds_load_2addr_b32 v[14:15], v14 offset0:2 offset1:13
	s_wait_dscnt 0x0
	v_fma_f32 v15, v3, v15, v4
	s_delay_alu instid0(VALU_DEP_1) | instskip(NEXT) | instid1(VALU_DEP_1)
	v_cndmask_b32_e64 v4, v4, v15, s0
	v_mul_f32_e32 v4, v4, v14
.LBB75_174:
	s_or_b32 exec_lo, exec_lo, s1
	v_add_nc_u32_e32 v17, 1, v0
	v_cmp_gt_u32_e64 s1, 3, v0
	ds_store_b32 v54, v5
	s_wait_dscnt 0x0
	s_barrier_signal -1
	s_barrier_wait -1
	s_and_saveexec_b32 s2, s1
	s_cbranch_execz .LBB75_182
; %bb.175:
	v_cmp_ne_u32_e32 vcc_lo, 1, v16
	s_cbranch_vccnz .LBB75_177
; %bb.176:
	v_cmp_eq_u32_e32 vcc_lo, 1, v0
	ds_load_b32 v15, v54
	v_cndmask_b32_e32 v14, v2, v3, vcc_lo
	v_cmp_eq_u32_e32 vcc_lo, 2, v0
	s_delay_alu instid0(VALU_DEP_2) | instskip(SKIP_1) | instid1(VALU_DEP_2)
	v_cndmask_b32_e32 v14, v14, v4, vcc_lo
	v_cmp_eq_u32_e32 vcc_lo, 3, v0
	v_cndmask_b32_e32 v14, v14, v5, vcc_lo
	v_cmp_eq_u32_e32 vcc_lo, 4, v0
	s_delay_alu instid0(VALU_DEP_2) | instskip(SKIP_1) | instid1(VALU_DEP_2)
	v_cndmask_b32_e32 v14, v14, v6, vcc_lo
	v_cmp_eq_u32_e32 vcc_lo, 5, v0
	;; [unrolled: 5-line block ×5, first 2 shown]
	v_cndmask_b32_e32 v14, v14, v13, vcc_lo
	s_wait_dscnt 0x0
	s_delay_alu instid0(VALU_DEP_1)
	v_mul_f32_e32 v14, v14, v15
	s_cbranch_execz .LBB75_178
	s_branch .LBB75_179
.LBB75_177:
                                        ; implicit-def: $vgpr14
.LBB75_178:
	ds_load_b32 v14, v54
.LBB75_179:
	s_mov_b32 s3, exec_lo
	v_cmpx_ne_u32_e32 2, v0
	s_cbranch_execz .LBB75_181
; %bb.180:
	v_cmp_eq_u32_e32 vcc_lo, 1, v17
	v_dual_mov_b32 v18, 0 :: v_dual_cndmask_b32 v15, v2, v3
	v_cmp_eq_u32_e32 vcc_lo, 2, v17
	ds_load_b32 v18, v18 offset:56
	v_cndmask_b32_e32 v15, v15, v4, vcc_lo
	v_cmp_eq_u32_e32 vcc_lo, 3, v17
	s_delay_alu instid0(VALU_DEP_2) | instskip(SKIP_4) | instid1(VALU_DEP_2)
	v_cndmask_b32_e32 v5, v15, v5, vcc_lo
	v_cmp_eq_u32_e32 vcc_lo, 4, v17
	ds_load_b32 v15, v54 offset:4
	v_cndmask_b32_e32 v5, v5, v6, vcc_lo
	v_cmp_eq_u32_e32 vcc_lo, 5, v17
	v_cndmask_b32_e32 v5, v5, v7, vcc_lo
	v_cmp_eq_u32_e32 vcc_lo, 6, v17
	s_delay_alu instid0(VALU_DEP_2) | instskip(SKIP_1) | instid1(VALU_DEP_2)
	v_cndmask_b32_e32 v5, v5, v8, vcc_lo
	v_cmp_eq_u32_e32 vcc_lo, 7, v17
	v_cndmask_b32_e32 v5, v5, v9, vcc_lo
	v_cmp_eq_u32_e32 vcc_lo, 8, v17
	s_delay_alu instid0(VALU_DEP_2) | instskip(SKIP_1) | instid1(VALU_DEP_2)
	;; [unrolled: 5-line block ×3, first 2 shown]
	v_cndmask_b32_e32 v5, v5, v12, vcc_lo
	v_cmp_eq_u32_e32 vcc_lo, 11, v17
	v_cndmask_b32_e32 v5, v5, v13, vcc_lo
	s_wait_dscnt 0x0
	s_delay_alu instid0(VALU_DEP_1) | instskip(NEXT) | instid1(VALU_DEP_1)
	v_fmac_f32_e32 v14, v5, v15
	v_fma_f32 v5, v4, v18, v14
	s_delay_alu instid0(VALU_DEP_1)
	v_cndmask_b32_e64 v14, v14, v5, s0
.LBB75_181:
	s_or_b32 exec_lo, exec_lo, s3
	v_mov_b32_e32 v5, 0
	ds_load_b32 v5, v5 offset:12
	s_wait_dscnt 0x0
	v_mul_f32_e32 v5, v14, v5
.LBB75_182:
	s_or_b32 exec_lo, exec_lo, s2
	s_delay_alu instid0(SALU_CYCLE_1)
	s_mov_b32 s2, exec_lo
	ds_store_b32 v54, v6
	s_wait_dscnt 0x0
	s_barrier_signal -1
	s_barrier_wait -1
	v_cmpx_gt_u32_e32 4, v0
	s_cbranch_execz .LBB75_192
; %bb.183:
	v_cmp_ne_u32_e32 vcc_lo, 1, v16
	s_cbranch_vccnz .LBB75_185
; %bb.184:
	v_cmp_eq_u32_e32 vcc_lo, 1, v0
	ds_load_b32 v15, v54
	v_cndmask_b32_e32 v14, v2, v3, vcc_lo
	v_cmp_eq_u32_e32 vcc_lo, 2, v0
	s_delay_alu instid0(VALU_DEP_2) | instskip(SKIP_1) | instid1(VALU_DEP_2)
	v_cndmask_b32_e32 v14, v14, v4, vcc_lo
	v_cmp_eq_u32_e32 vcc_lo, 3, v0
	v_cndmask_b32_e32 v14, v14, v5, vcc_lo
	v_cmp_eq_u32_e32 vcc_lo, 4, v0
	s_delay_alu instid0(VALU_DEP_2) | instskip(SKIP_1) | instid1(VALU_DEP_2)
	v_cndmask_b32_e32 v14, v14, v6, vcc_lo
	v_cmp_eq_u32_e32 vcc_lo, 5, v0
	;; [unrolled: 5-line block ×5, first 2 shown]
	v_cndmask_b32_e32 v14, v14, v13, vcc_lo
	s_wait_dscnt 0x0
	s_delay_alu instid0(VALU_DEP_1)
	v_mul_f32_e32 v18, v14, v15
	s_cbranch_execz .LBB75_186
	s_branch .LBB75_187
.LBB75_185:
                                        ; implicit-def: $vgpr18
.LBB75_186:
	ds_load_b32 v18, v54
.LBB75_187:
	s_mov_b32 s3, exec_lo
	v_cmpx_ne_u32_e32 3, v0
	s_cbranch_execz .LBB75_191
; %bb.188:
	v_mov_b64_e32 v[14:15], v[0:1]
	v_lshl_add_u32 v19, v0, 2, 52
	s_mov_b32 s4, 0
.LBB75_189:                             ; =>This Inner Loop Header: Depth=1
	s_delay_alu instid0(VALU_DEP_2)
	v_add_nc_u64_e32 v[14:15], 1, v[14:15]
	ds_load_b32 v21, v19
	v_add_nc_u32_e32 v19, 4, v19
	v_cmp_eq_u32_e32 vcc_lo, 1, v14
	v_cndmask_b32_e32 v20, v2, v3, vcc_lo
	v_cmp_eq_u32_e32 vcc_lo, 2, v14
	s_delay_alu instid0(VALU_DEP_2) | instskip(SKIP_1) | instid1(VALU_DEP_2)
	v_cndmask_b32_e32 v20, v20, v4, vcc_lo
	v_cmp_eq_u32_e32 vcc_lo, 3, v14
	v_cndmask_b32_e32 v20, v20, v5, vcc_lo
	v_cmp_eq_u32_e32 vcc_lo, 4, v14
	s_delay_alu instid0(VALU_DEP_2) | instskip(SKIP_1) | instid1(VALU_DEP_2)
	v_cndmask_b32_e32 v20, v20, v6, vcc_lo
	;; [unrolled: 5-line block ×5, first 2 shown]
	v_cmp_eq_u32_e32 vcc_lo, 11, v14
	v_cndmask_b32_e32 v20, v20, v13, vcc_lo
	v_cmp_lt_u32_e32 vcc_lo, 2, v14
	s_wait_dscnt 0x0
	s_delay_alu instid0(VALU_DEP_2) | instskip(SKIP_1) | instid1(SALU_CYCLE_1)
	v_fmac_f32_e32 v18, v20, v21
	s_or_b32 s4, vcc_lo, s4
	s_and_not1_b32 exec_lo, exec_lo, s4
	s_cbranch_execnz .LBB75_189
; %bb.190:
	s_or_b32 exec_lo, exec_lo, s4
.LBB75_191:
	s_delay_alu instid0(SALU_CYCLE_1)
	s_or_b32 exec_lo, exec_lo, s3
	v_mov_b32_e32 v6, 0
	ds_load_b32 v6, v6 offset:16
	s_wait_dscnt 0x0
	v_mul_f32_e32 v6, v18, v6
.LBB75_192:
	s_or_b32 exec_lo, exec_lo, s2
	v_cmp_gt_u32_e64 s2, 5, v0
	ds_store_b32 v54, v7
	s_wait_dscnt 0x0
	s_barrier_signal -1
	s_barrier_wait -1
	s_and_saveexec_b32 s3, s2
	s_cbranch_execz .LBB75_202
; %bb.193:
	v_cmp_ne_u32_e32 vcc_lo, 1, v16
	s_cbranch_vccnz .LBB75_195
; %bb.194:
	v_cmp_eq_u32_e32 vcc_lo, 1, v0
	ds_load_b32 v15, v54
	v_cndmask_b32_e32 v14, v2, v3, vcc_lo
	v_cmp_eq_u32_e32 vcc_lo, 2, v0
	s_delay_alu instid0(VALU_DEP_2) | instskip(SKIP_1) | instid1(VALU_DEP_2)
	v_cndmask_b32_e32 v14, v14, v4, vcc_lo
	v_cmp_eq_u32_e32 vcc_lo, 3, v0
	v_cndmask_b32_e32 v14, v14, v5, vcc_lo
	v_cmp_eq_u32_e32 vcc_lo, 4, v0
	s_delay_alu instid0(VALU_DEP_2) | instskip(SKIP_1) | instid1(VALU_DEP_2)
	v_cndmask_b32_e32 v14, v14, v6, vcc_lo
	v_cmp_eq_u32_e32 vcc_lo, 5, v0
	;; [unrolled: 5-line block ×5, first 2 shown]
	v_cndmask_b32_e32 v14, v14, v13, vcc_lo
	s_wait_dscnt 0x0
	s_delay_alu instid0(VALU_DEP_1)
	v_mul_f32_e32 v18, v14, v15
	s_cbranch_execz .LBB75_196
	s_branch .LBB75_197
.LBB75_195:
                                        ; implicit-def: $vgpr18
.LBB75_196:
	ds_load_b32 v18, v54
.LBB75_197:
	s_mov_b32 s4, exec_lo
	v_cmpx_ne_u32_e32 4, v0
	s_cbranch_execz .LBB75_201
; %bb.198:
	v_mov_b64_e32 v[14:15], v[0:1]
	v_lshl_add_u32 v19, v0, 2, 52
	s_mov_b32 s5, 0
.LBB75_199:                             ; =>This Inner Loop Header: Depth=1
	s_delay_alu instid0(VALU_DEP_2)
	v_add_nc_u64_e32 v[14:15], 1, v[14:15]
	ds_load_b32 v21, v19
	v_add_nc_u32_e32 v19, 4, v19
	v_cmp_eq_u32_e32 vcc_lo, 1, v14
	v_cndmask_b32_e32 v20, v2, v3, vcc_lo
	v_cmp_eq_u32_e32 vcc_lo, 2, v14
	s_delay_alu instid0(VALU_DEP_2) | instskip(SKIP_1) | instid1(VALU_DEP_2)
	v_cndmask_b32_e32 v20, v20, v4, vcc_lo
	v_cmp_eq_u32_e32 vcc_lo, 3, v14
	v_cndmask_b32_e32 v20, v20, v5, vcc_lo
	v_cmp_eq_u32_e32 vcc_lo, 4, v14
	s_delay_alu instid0(VALU_DEP_2) | instskip(SKIP_1) | instid1(VALU_DEP_2)
	v_cndmask_b32_e32 v20, v20, v6, vcc_lo
	;; [unrolled: 5-line block ×5, first 2 shown]
	v_cmp_eq_u32_e32 vcc_lo, 11, v14
	v_cndmask_b32_e32 v20, v20, v13, vcc_lo
	v_cmp_lt_u32_e32 vcc_lo, 3, v14
	s_wait_dscnt 0x0
	s_delay_alu instid0(VALU_DEP_2) | instskip(SKIP_1) | instid1(SALU_CYCLE_1)
	v_fmac_f32_e32 v18, v20, v21
	s_or_b32 s5, vcc_lo, s5
	s_and_not1_b32 exec_lo, exec_lo, s5
	s_cbranch_execnz .LBB75_199
; %bb.200:
	s_or_b32 exec_lo, exec_lo, s5
.LBB75_201:
	s_delay_alu instid0(SALU_CYCLE_1)
	s_or_b32 exec_lo, exec_lo, s4
	v_mov_b32_e32 v7, 0
	ds_load_b32 v7, v7 offset:20
	s_wait_dscnt 0x0
	v_mul_f32_e32 v7, v18, v7
.LBB75_202:
	s_or_b32 exec_lo, exec_lo, s3
	s_delay_alu instid0(SALU_CYCLE_1)
	s_mov_b32 s3, exec_lo
	ds_store_b32 v54, v8
	s_wait_dscnt 0x0
	s_barrier_signal -1
	s_barrier_wait -1
	v_cmpx_gt_u32_e32 6, v0
	s_cbranch_execz .LBB75_212
; %bb.203:
	v_cmp_ne_u32_e32 vcc_lo, 1, v16
	s_cbranch_vccnz .LBB75_205
; %bb.204:
	v_cmp_eq_u32_e32 vcc_lo, 1, v0
	ds_load_b32 v15, v54
	v_cndmask_b32_e32 v14, v2, v3, vcc_lo
	v_cmp_eq_u32_e32 vcc_lo, 2, v0
	s_delay_alu instid0(VALU_DEP_2) | instskip(SKIP_1) | instid1(VALU_DEP_2)
	v_cndmask_b32_e32 v14, v14, v4, vcc_lo
	v_cmp_eq_u32_e32 vcc_lo, 3, v0
	v_cndmask_b32_e32 v14, v14, v5, vcc_lo
	v_cmp_eq_u32_e32 vcc_lo, 4, v0
	s_delay_alu instid0(VALU_DEP_2) | instskip(SKIP_1) | instid1(VALU_DEP_2)
	v_cndmask_b32_e32 v14, v14, v6, vcc_lo
	v_cmp_eq_u32_e32 vcc_lo, 5, v0
	;; [unrolled: 5-line block ×5, first 2 shown]
	v_cndmask_b32_e32 v14, v14, v13, vcc_lo
	s_wait_dscnt 0x0
	s_delay_alu instid0(VALU_DEP_1)
	v_mul_f32_e32 v18, v14, v15
	s_cbranch_execz .LBB75_206
	s_branch .LBB75_207
.LBB75_205:
                                        ; implicit-def: $vgpr18
.LBB75_206:
	ds_load_b32 v18, v54
.LBB75_207:
	s_mov_b32 s4, exec_lo
	v_cmpx_ne_u32_e32 5, v0
	s_cbranch_execz .LBB75_211
; %bb.208:
	v_mov_b64_e32 v[14:15], v[0:1]
	v_lshl_add_u32 v19, v0, 2, 52
	s_mov_b32 s5, 0
.LBB75_209:                             ; =>This Inner Loop Header: Depth=1
	s_delay_alu instid0(VALU_DEP_2)
	v_add_nc_u64_e32 v[14:15], 1, v[14:15]
	ds_load_b32 v21, v19
	v_add_nc_u32_e32 v19, 4, v19
	v_cmp_eq_u32_e32 vcc_lo, 1, v14
	v_cndmask_b32_e32 v20, v2, v3, vcc_lo
	v_cmp_eq_u32_e32 vcc_lo, 2, v14
	s_delay_alu instid0(VALU_DEP_2) | instskip(SKIP_1) | instid1(VALU_DEP_2)
	v_cndmask_b32_e32 v20, v20, v4, vcc_lo
	v_cmp_eq_u32_e32 vcc_lo, 3, v14
	v_cndmask_b32_e32 v20, v20, v5, vcc_lo
	v_cmp_eq_u32_e32 vcc_lo, 4, v14
	s_delay_alu instid0(VALU_DEP_2) | instskip(SKIP_1) | instid1(VALU_DEP_2)
	v_cndmask_b32_e32 v20, v20, v6, vcc_lo
	;; [unrolled: 5-line block ×5, first 2 shown]
	v_cmp_eq_u32_e32 vcc_lo, 11, v14
	v_cndmask_b32_e32 v20, v20, v13, vcc_lo
	v_cmp_lt_u32_e32 vcc_lo, 4, v14
	s_wait_dscnt 0x0
	s_delay_alu instid0(VALU_DEP_2) | instskip(SKIP_1) | instid1(SALU_CYCLE_1)
	v_fmac_f32_e32 v18, v20, v21
	s_or_b32 s5, vcc_lo, s5
	s_and_not1_b32 exec_lo, exec_lo, s5
	s_cbranch_execnz .LBB75_209
; %bb.210:
	s_or_b32 exec_lo, exec_lo, s5
.LBB75_211:
	s_delay_alu instid0(SALU_CYCLE_1)
	s_or_b32 exec_lo, exec_lo, s4
	v_mov_b32_e32 v8, 0
	ds_load_b32 v8, v8 offset:24
	s_wait_dscnt 0x0
	v_mul_f32_e32 v8, v18, v8
.LBB75_212:
	s_or_b32 exec_lo, exec_lo, s3
	v_cmp_gt_u32_e64 s3, 7, v0
	ds_store_b32 v54, v9
	s_wait_dscnt 0x0
	s_barrier_signal -1
	s_barrier_wait -1
	s_and_saveexec_b32 s4, s3
	s_cbranch_execz .LBB75_222
; %bb.213:
	v_cmp_ne_u32_e32 vcc_lo, 1, v16
	s_cbranch_vccnz .LBB75_215
; %bb.214:
	v_cmp_eq_u32_e32 vcc_lo, 1, v0
	ds_load_b32 v15, v54
	v_cndmask_b32_e32 v14, v2, v3, vcc_lo
	v_cmp_eq_u32_e32 vcc_lo, 2, v0
	s_delay_alu instid0(VALU_DEP_2) | instskip(SKIP_1) | instid1(VALU_DEP_2)
	v_cndmask_b32_e32 v14, v14, v4, vcc_lo
	v_cmp_eq_u32_e32 vcc_lo, 3, v0
	v_cndmask_b32_e32 v14, v14, v5, vcc_lo
	v_cmp_eq_u32_e32 vcc_lo, 4, v0
	s_delay_alu instid0(VALU_DEP_2) | instskip(SKIP_1) | instid1(VALU_DEP_2)
	v_cndmask_b32_e32 v14, v14, v6, vcc_lo
	v_cmp_eq_u32_e32 vcc_lo, 5, v0
	;; [unrolled: 5-line block ×5, first 2 shown]
	v_cndmask_b32_e32 v14, v14, v13, vcc_lo
	s_wait_dscnt 0x0
	s_delay_alu instid0(VALU_DEP_1)
	v_mul_f32_e32 v18, v14, v15
	s_cbranch_execz .LBB75_216
	s_branch .LBB75_217
.LBB75_215:
                                        ; implicit-def: $vgpr18
.LBB75_216:
	ds_load_b32 v18, v54
.LBB75_217:
	s_mov_b32 s5, exec_lo
	v_cmpx_ne_u32_e32 6, v0
	s_cbranch_execz .LBB75_221
; %bb.218:
	v_mov_b64_e32 v[14:15], v[0:1]
	v_lshl_add_u32 v19, v0, 2, 52
	s_mov_b32 s6, 0
.LBB75_219:                             ; =>This Inner Loop Header: Depth=1
	s_delay_alu instid0(VALU_DEP_2)
	v_add_nc_u64_e32 v[14:15], 1, v[14:15]
	ds_load_b32 v21, v19
	v_add_nc_u32_e32 v19, 4, v19
	v_cmp_eq_u32_e32 vcc_lo, 1, v14
	v_cndmask_b32_e32 v20, v2, v3, vcc_lo
	v_cmp_eq_u32_e32 vcc_lo, 2, v14
	s_delay_alu instid0(VALU_DEP_2) | instskip(SKIP_1) | instid1(VALU_DEP_2)
	v_cndmask_b32_e32 v20, v20, v4, vcc_lo
	v_cmp_eq_u32_e32 vcc_lo, 3, v14
	v_cndmask_b32_e32 v20, v20, v5, vcc_lo
	v_cmp_eq_u32_e32 vcc_lo, 4, v14
	s_delay_alu instid0(VALU_DEP_2) | instskip(SKIP_1) | instid1(VALU_DEP_2)
	v_cndmask_b32_e32 v20, v20, v6, vcc_lo
	v_cmp_eq_u32_e32 vcc_lo, 5, v14
	v_cndmask_b32_e32 v20, v20, v7, vcc_lo
	v_cmp_eq_u32_e32 vcc_lo, 6, v14
	s_delay_alu instid0(VALU_DEP_2) | instskip(SKIP_1) | instid1(VALU_DEP_2)
	v_cndmask_b32_e32 v20, v20, v8, vcc_lo
	v_cmp_eq_u32_e32 vcc_lo, 7, v14
	v_cndmask_b32_e32 v20, v20, v9, vcc_lo
	v_cmp_eq_u32_e32 vcc_lo, 8, v14
	s_delay_alu instid0(VALU_DEP_2) | instskip(SKIP_1) | instid1(VALU_DEP_2)
	v_cndmask_b32_e32 v20, v20, v10, vcc_lo
	v_cmp_eq_u32_e32 vcc_lo, 9, v14
	v_cndmask_b32_e32 v20, v20, v11, vcc_lo
	v_cmp_eq_u32_e32 vcc_lo, 10, v14
	s_delay_alu instid0(VALU_DEP_2) | instskip(SKIP_1) | instid1(VALU_DEP_2)
	v_cndmask_b32_e32 v20, v20, v12, vcc_lo
	v_cmp_eq_u32_e32 vcc_lo, 11, v14
	v_cndmask_b32_e32 v20, v20, v13, vcc_lo
	v_cmp_lt_u32_e32 vcc_lo, 5, v14
	s_wait_dscnt 0x0
	s_delay_alu instid0(VALU_DEP_2) | instskip(SKIP_1) | instid1(SALU_CYCLE_1)
	v_fmac_f32_e32 v18, v20, v21
	s_or_b32 s6, vcc_lo, s6
	s_and_not1_b32 exec_lo, exec_lo, s6
	s_cbranch_execnz .LBB75_219
; %bb.220:
	s_or_b32 exec_lo, exec_lo, s6
.LBB75_221:
	s_delay_alu instid0(SALU_CYCLE_1)
	s_or_b32 exec_lo, exec_lo, s5
	v_mov_b32_e32 v9, 0
	ds_load_b32 v9, v9 offset:28
	s_wait_dscnt 0x0
	v_mul_f32_e32 v9, v18, v9
.LBB75_222:
	s_or_b32 exec_lo, exec_lo, s4
	s_delay_alu instid0(SALU_CYCLE_1)
	s_mov_b32 s4, exec_lo
	ds_store_b32 v54, v10
	s_wait_dscnt 0x0
	s_barrier_signal -1
	s_barrier_wait -1
	v_cmpx_gt_u32_e32 8, v0
	s_cbranch_execz .LBB75_232
; %bb.223:
	v_cmp_ne_u32_e32 vcc_lo, 1, v16
	s_cbranch_vccnz .LBB75_225
; %bb.224:
	v_cmp_eq_u32_e32 vcc_lo, 1, v0
	ds_load_b32 v15, v54
	v_cndmask_b32_e32 v14, v2, v3, vcc_lo
	v_cmp_eq_u32_e32 vcc_lo, 2, v0
	s_delay_alu instid0(VALU_DEP_2) | instskip(SKIP_1) | instid1(VALU_DEP_2)
	v_cndmask_b32_e32 v14, v14, v4, vcc_lo
	v_cmp_eq_u32_e32 vcc_lo, 3, v0
	v_cndmask_b32_e32 v14, v14, v5, vcc_lo
	v_cmp_eq_u32_e32 vcc_lo, 4, v0
	s_delay_alu instid0(VALU_DEP_2) | instskip(SKIP_1) | instid1(VALU_DEP_2)
	v_cndmask_b32_e32 v14, v14, v6, vcc_lo
	v_cmp_eq_u32_e32 vcc_lo, 5, v0
	;; [unrolled: 5-line block ×5, first 2 shown]
	v_cndmask_b32_e32 v14, v14, v13, vcc_lo
	s_wait_dscnt 0x0
	s_delay_alu instid0(VALU_DEP_1)
	v_mul_f32_e32 v18, v14, v15
	s_cbranch_execz .LBB75_226
	s_branch .LBB75_227
.LBB75_225:
                                        ; implicit-def: $vgpr18
.LBB75_226:
	ds_load_b32 v18, v54
.LBB75_227:
	s_mov_b32 s5, exec_lo
	v_cmpx_ne_u32_e32 7, v0
	s_cbranch_execz .LBB75_231
; %bb.228:
	v_mov_b64_e32 v[14:15], v[0:1]
	v_lshl_add_u32 v19, v0, 2, 52
	s_mov_b32 s6, 0
.LBB75_229:                             ; =>This Inner Loop Header: Depth=1
	s_delay_alu instid0(VALU_DEP_2)
	v_add_nc_u64_e32 v[14:15], 1, v[14:15]
	ds_load_b32 v21, v19
	v_add_nc_u32_e32 v19, 4, v19
	v_cmp_eq_u32_e32 vcc_lo, 1, v14
	v_cndmask_b32_e32 v20, v2, v3, vcc_lo
	v_cmp_eq_u32_e32 vcc_lo, 2, v14
	s_delay_alu instid0(VALU_DEP_2) | instskip(SKIP_1) | instid1(VALU_DEP_2)
	v_cndmask_b32_e32 v20, v20, v4, vcc_lo
	v_cmp_eq_u32_e32 vcc_lo, 3, v14
	v_cndmask_b32_e32 v20, v20, v5, vcc_lo
	v_cmp_eq_u32_e32 vcc_lo, 4, v14
	s_delay_alu instid0(VALU_DEP_2) | instskip(SKIP_1) | instid1(VALU_DEP_2)
	v_cndmask_b32_e32 v20, v20, v6, vcc_lo
	;; [unrolled: 5-line block ×5, first 2 shown]
	v_cmp_eq_u32_e32 vcc_lo, 11, v14
	v_cndmask_b32_e32 v20, v20, v13, vcc_lo
	v_cmp_lt_u32_e32 vcc_lo, 6, v14
	s_wait_dscnt 0x0
	s_delay_alu instid0(VALU_DEP_2) | instskip(SKIP_1) | instid1(SALU_CYCLE_1)
	v_fmac_f32_e32 v18, v20, v21
	s_or_b32 s6, vcc_lo, s6
	s_and_not1_b32 exec_lo, exec_lo, s6
	s_cbranch_execnz .LBB75_229
; %bb.230:
	s_or_b32 exec_lo, exec_lo, s6
.LBB75_231:
	s_delay_alu instid0(SALU_CYCLE_1)
	s_or_b32 exec_lo, exec_lo, s5
	v_mov_b32_e32 v10, 0
	ds_load_b32 v10, v10 offset:32
	s_wait_dscnt 0x0
	v_mul_f32_e32 v10, v18, v10
.LBB75_232:
	s_or_b32 exec_lo, exec_lo, s4
	s_delay_alu instid0(SALU_CYCLE_1)
	s_mov_b32 s4, exec_lo
	ds_store_b32 v54, v11
	s_wait_dscnt 0x0
	s_barrier_signal -1
	s_barrier_wait -1
	v_cmpx_gt_u32_e32 9, v0
	s_cbranch_execz .LBB75_254
; %bb.233:
	v_cmp_ne_u32_e32 vcc_lo, 1, v16
	s_cbranch_vccnz .LBB75_235
; %bb.234:
	v_cmp_eq_u32_e32 vcc_lo, 1, v0
	ds_load_b32 v15, v54
	v_cndmask_b32_e32 v14, v2, v3, vcc_lo
	v_cmp_eq_u32_e32 vcc_lo, 2, v0
	s_delay_alu instid0(VALU_DEP_2) | instskip(SKIP_1) | instid1(VALU_DEP_2)
	v_cndmask_b32_e32 v14, v14, v4, vcc_lo
	v_cmp_eq_u32_e32 vcc_lo, 3, v0
	v_cndmask_b32_e32 v14, v14, v5, vcc_lo
	v_cmp_eq_u32_e32 vcc_lo, 4, v0
	s_delay_alu instid0(VALU_DEP_2) | instskip(SKIP_1) | instid1(VALU_DEP_2)
	v_cndmask_b32_e32 v14, v14, v6, vcc_lo
	v_cmp_eq_u32_e32 vcc_lo, 5, v0
	;; [unrolled: 5-line block ×5, first 2 shown]
	v_cndmask_b32_e32 v14, v14, v13, vcc_lo
	s_wait_dscnt 0x0
	s_delay_alu instid0(VALU_DEP_1)
	v_mul_f32_e32 v14, v14, v15
	s_cbranch_execz .LBB75_236
	s_branch .LBB75_237
.LBB75_235:
                                        ; implicit-def: $vgpr14
.LBB75_236:
	ds_load_b32 v14, v54
.LBB75_237:
	s_mov_b32 s5, exec_lo
	v_cmpx_ne_u32_e32 8, v0
	s_cbranch_execz .LBB75_253
; %bb.238:
	v_cmp_eq_u32_e32 vcc_lo, 1, v17
	ds_load_b32 v18, v54 offset:4
	v_cndmask_b32_e32 v15, v2, v3, vcc_lo
	v_cmp_eq_u32_e32 vcc_lo, 2, v17
	s_delay_alu instid0(VALU_DEP_2) | instskip(SKIP_1) | instid1(VALU_DEP_2)
	v_cndmask_b32_e32 v15, v15, v4, vcc_lo
	v_cmp_eq_u32_e32 vcc_lo, 3, v17
	v_cndmask_b32_e32 v15, v15, v5, vcc_lo
	v_cmp_eq_u32_e32 vcc_lo, 4, v17
	s_delay_alu instid0(VALU_DEP_2) | instskip(SKIP_1) | instid1(VALU_DEP_2)
	v_cndmask_b32_e32 v15, v15, v6, vcc_lo
	v_cmp_eq_u32_e32 vcc_lo, 5, v17
	;; [unrolled: 5-line block ×5, first 2 shown]
	v_cndmask_b32_e32 v15, v15, v13, vcc_lo
	s_wait_dscnt 0x0
	s_delay_alu instid0(VALU_DEP_1)
	v_fmac_f32_e32 v14, v15, v18
	s_and_saveexec_b32 s6, s3
	s_cbranch_execz .LBB75_252
; %bb.239:
	v_add_nc_u32_e32 v15, 2, v0
	ds_load_b32 v18, v54 offset:8
	s_mov_b32 s3, exec_lo
	v_cmp_eq_u32_e32 vcc_lo, 1, v15
	v_cndmask_b32_e32 v17, v2, v3, vcc_lo
	v_cmp_eq_u32_e32 vcc_lo, 2, v15
	s_delay_alu instid0(VALU_DEP_2) | instskip(SKIP_1) | instid1(VALU_DEP_2)
	v_cndmask_b32_e32 v17, v17, v4, vcc_lo
	v_cmp_eq_u32_e32 vcc_lo, 3, v15
	v_cndmask_b32_e32 v17, v17, v5, vcc_lo
	v_cmp_eq_u32_e32 vcc_lo, 4, v15
	s_delay_alu instid0(VALU_DEP_2) | instskip(SKIP_1) | instid1(VALU_DEP_2)
	v_cndmask_b32_e32 v17, v17, v6, vcc_lo
	;; [unrolled: 5-line block ×5, first 2 shown]
	v_cmp_eq_u32_e32 vcc_lo, 11, v15
	v_cndmask_b32_e32 v15, v17, v13, vcc_lo
	s_wait_dscnt 0x0
	s_delay_alu instid0(VALU_DEP_1)
	v_fmac_f32_e32 v14, v15, v18
	v_cmpx_ne_u32_e32 6, v0
	s_cbranch_execz .LBB75_251
; %bb.240:
	v_add_nc_u32_e32 v15, 3, v0
	ds_load_b32 v18, v54 offset:12
	v_cmp_eq_u32_e32 vcc_lo, 1, v15
	v_cndmask_b32_e32 v17, v2, v3, vcc_lo
	v_cmp_eq_u32_e32 vcc_lo, 2, v15
	s_delay_alu instid0(VALU_DEP_2) | instskip(SKIP_1) | instid1(VALU_DEP_2)
	v_cndmask_b32_e32 v17, v17, v4, vcc_lo
	v_cmp_eq_u32_e32 vcc_lo, 3, v15
	v_cndmask_b32_e32 v17, v17, v5, vcc_lo
	v_cmp_eq_u32_e32 vcc_lo, 4, v15
	s_delay_alu instid0(VALU_DEP_2) | instskip(SKIP_1) | instid1(VALU_DEP_2)
	v_cndmask_b32_e32 v17, v17, v6, vcc_lo
	;; [unrolled: 5-line block ×5, first 2 shown]
	v_cmp_eq_u32_e32 vcc_lo, 11, v15
	v_cndmask_b32_e32 v15, v17, v13, vcc_lo
	s_wait_dscnt 0x0
	s_delay_alu instid0(VALU_DEP_1)
	v_fmac_f32_e32 v14, v15, v18
	s_and_saveexec_b32 s7, s2
	s_cbranch_execz .LBB75_250
; %bb.241:
	v_add_nc_u32_e32 v15, 4, v0
	ds_load_b32 v18, v54 offset:16
	s_mov_b32 s2, exec_lo
	v_cmp_eq_u32_e32 vcc_lo, 1, v15
	v_cndmask_b32_e32 v17, v2, v3, vcc_lo
	v_cmp_eq_u32_e32 vcc_lo, 2, v15
	s_delay_alu instid0(VALU_DEP_2) | instskip(SKIP_1) | instid1(VALU_DEP_2)
	v_cndmask_b32_e32 v17, v17, v4, vcc_lo
	v_cmp_eq_u32_e32 vcc_lo, 3, v15
	v_cndmask_b32_e32 v17, v17, v5, vcc_lo
	v_cmp_eq_u32_e32 vcc_lo, 4, v15
	s_delay_alu instid0(VALU_DEP_2) | instskip(SKIP_1) | instid1(VALU_DEP_2)
	v_cndmask_b32_e32 v17, v17, v6, vcc_lo
	;; [unrolled: 5-line block ×5, first 2 shown]
	v_cmp_eq_u32_e32 vcc_lo, 11, v15
	v_cndmask_b32_e32 v15, v17, v13, vcc_lo
	s_wait_dscnt 0x0
	s_delay_alu instid0(VALU_DEP_1)
	v_fmac_f32_e32 v14, v15, v18
	v_cmpx_ne_u32_e32 4, v0
	s_cbranch_execz .LBB75_249
; %bb.242:
	v_add_nc_u32_e32 v15, 5, v0
	ds_load_b32 v18, v54 offset:20
	v_cmp_eq_u32_e32 vcc_lo, 1, v15
	v_cndmask_b32_e32 v17, v2, v3, vcc_lo
	v_cmp_eq_u32_e32 vcc_lo, 2, v15
	s_delay_alu instid0(VALU_DEP_2) | instskip(SKIP_1) | instid1(VALU_DEP_2)
	v_cndmask_b32_e32 v17, v17, v4, vcc_lo
	v_cmp_eq_u32_e32 vcc_lo, 3, v15
	v_cndmask_b32_e32 v17, v17, v5, vcc_lo
	v_cmp_eq_u32_e32 vcc_lo, 4, v15
	s_delay_alu instid0(VALU_DEP_2) | instskip(SKIP_1) | instid1(VALU_DEP_2)
	v_cndmask_b32_e32 v17, v17, v6, vcc_lo
	;; [unrolled: 5-line block ×5, first 2 shown]
	v_cmp_eq_u32_e32 vcc_lo, 11, v15
	v_cndmask_b32_e32 v15, v17, v13, vcc_lo
	s_wait_dscnt 0x0
	s_delay_alu instid0(VALU_DEP_1)
	v_fmac_f32_e32 v14, v15, v18
	s_and_saveexec_b32 s8, s1
	s_cbranch_execz .LBB75_248
; %bb.243:
	v_add_nc_u32_e32 v15, 6, v0
	ds_load_b32 v18, v54 offset:24
	s_mov_b32 s1, exec_lo
	v_cmp_eq_u32_e32 vcc_lo, 1, v15
	v_cndmask_b32_e32 v17, v2, v3, vcc_lo
	v_cmp_eq_u32_e32 vcc_lo, 2, v15
	s_delay_alu instid0(VALU_DEP_2) | instskip(SKIP_1) | instid1(VALU_DEP_2)
	v_cndmask_b32_e32 v17, v17, v4, vcc_lo
	v_cmp_eq_u32_e32 vcc_lo, 3, v15
	v_cndmask_b32_e32 v17, v17, v5, vcc_lo
	v_cmp_eq_u32_e32 vcc_lo, 4, v15
	s_delay_alu instid0(VALU_DEP_2) | instskip(SKIP_1) | instid1(VALU_DEP_2)
	v_cndmask_b32_e32 v17, v17, v6, vcc_lo
	;; [unrolled: 5-line block ×5, first 2 shown]
	v_cmp_eq_u32_e32 vcc_lo, 11, v15
	v_cndmask_b32_e32 v15, v17, v13, vcc_lo
	s_wait_dscnt 0x0
	s_delay_alu instid0(VALU_DEP_1)
	v_fmac_f32_e32 v14, v15, v18
	v_cmpx_ne_u32_e32 2, v0
	s_cbranch_execz .LBB75_247
; %bb.244:
	v_add_nc_u32_e32 v15, 7, v0
	ds_load_b32 v18, v54 offset:28
	v_cmp_eq_u32_e32 vcc_lo, 1, v15
	v_cndmask_b32_e32 v17, v2, v3, vcc_lo
	v_cmp_eq_u32_e32 vcc_lo, 2, v15
	s_delay_alu instid0(VALU_DEP_2) | instskip(SKIP_1) | instid1(VALU_DEP_2)
	v_cndmask_b32_e32 v17, v17, v4, vcc_lo
	v_cmp_eq_u32_e32 vcc_lo, 3, v15
	v_cndmask_b32_e32 v17, v17, v5, vcc_lo
	v_cmp_eq_u32_e32 vcc_lo, 4, v15
	s_delay_alu instid0(VALU_DEP_2) | instskip(SKIP_1) | instid1(VALU_DEP_2)
	v_cndmask_b32_e32 v17, v17, v6, vcc_lo
	;; [unrolled: 5-line block ×5, first 2 shown]
	v_cmp_eq_u32_e32 vcc_lo, 11, v15
	v_cndmask_b32_e32 v11, v11, v13, vcc_lo
	s_wait_dscnt 0x0
	s_delay_alu instid0(VALU_DEP_1)
	v_fmac_f32_e32 v14, v11, v18
	s_and_saveexec_b32 s9, s0
	s_cbranch_execz .LBB75_246
; %bb.245:
	ds_load_b32 v11, v54 offset:32
	s_wait_dscnt 0x0
	v_fmac_f32_e32 v14, v10, v11
.LBB75_246:
	s_or_b32 exec_lo, exec_lo, s9
.LBB75_247:
	s_delay_alu instid0(SALU_CYCLE_1)
	s_or_b32 exec_lo, exec_lo, s1
.LBB75_248:
	s_delay_alu instid0(SALU_CYCLE_1)
	s_or_b32 exec_lo, exec_lo, s8
.LBB75_249:
	s_delay_alu instid0(SALU_CYCLE_1)
	s_or_b32 exec_lo, exec_lo, s2
.LBB75_250:
	s_delay_alu instid0(SALU_CYCLE_1)
	s_or_b32 exec_lo, exec_lo, s7
.LBB75_251:
	s_delay_alu instid0(SALU_CYCLE_1)
	s_or_b32 exec_lo, exec_lo, s3
.LBB75_252:
	s_delay_alu instid0(SALU_CYCLE_1)
	s_or_b32 exec_lo, exec_lo, s6
.LBB75_253:
	s_delay_alu instid0(SALU_CYCLE_1)
	s_or_b32 exec_lo, exec_lo, s5
	v_mov_b32_e32 v11, 0
	ds_load_b32 v11, v11 offset:36
	s_wait_dscnt 0x0
	v_mul_f32_e32 v11, v14, v11
.LBB75_254:
	s_or_b32 exec_lo, exec_lo, s4
	v_cmp_gt_u32_e64 s0, 10, v0
	ds_store_b32 v54, v12
	s_wait_dscnt 0x0
	s_barrier_signal -1
	s_barrier_wait -1
	s_and_saveexec_b32 s1, s0
	s_cbranch_execz .LBB75_264
; %bb.255:
	v_cmp_ne_u32_e32 vcc_lo, 1, v16
	s_cbranch_vccnz .LBB75_257
; %bb.256:
	v_cmp_eq_u32_e32 vcc_lo, 1, v0
	ds_load_b32 v15, v54
	v_cndmask_b32_e32 v14, v2, v3, vcc_lo
	v_cmp_eq_u32_e32 vcc_lo, 2, v0
	s_delay_alu instid0(VALU_DEP_2) | instskip(SKIP_1) | instid1(VALU_DEP_2)
	v_cndmask_b32_e32 v14, v14, v4, vcc_lo
	v_cmp_eq_u32_e32 vcc_lo, 3, v0
	v_cndmask_b32_e32 v14, v14, v5, vcc_lo
	v_cmp_eq_u32_e32 vcc_lo, 4, v0
	s_delay_alu instid0(VALU_DEP_2) | instskip(SKIP_1) | instid1(VALU_DEP_2)
	v_cndmask_b32_e32 v14, v14, v6, vcc_lo
	v_cmp_eq_u32_e32 vcc_lo, 5, v0
	v_cndmask_b32_e32 v14, v14, v7, vcc_lo
	v_cmp_eq_u32_e32 vcc_lo, 6, v0
	s_delay_alu instid0(VALU_DEP_2) | instskip(SKIP_1) | instid1(VALU_DEP_2)
	v_cndmask_b32_e32 v14, v14, v8, vcc_lo
	v_cmp_eq_u32_e32 vcc_lo, 7, v0
	v_cndmask_b32_e32 v14, v14, v9, vcc_lo
	v_cmp_eq_u32_e32 vcc_lo, 8, v0
	s_delay_alu instid0(VALU_DEP_2) | instskip(SKIP_1) | instid1(VALU_DEP_2)
	v_cndmask_b32_e32 v14, v14, v10, vcc_lo
	v_cmp_eq_u32_e32 vcc_lo, 9, v0
	v_cndmask_b32_e32 v14, v14, v11, vcc_lo
	v_cmp_eq_u32_e32 vcc_lo, 10, v0
	s_delay_alu instid0(VALU_DEP_2) | instskip(SKIP_1) | instid1(VALU_DEP_2)
	v_cndmask_b32_e32 v14, v14, v12, vcc_lo
	v_cmp_eq_u32_e32 vcc_lo, 11, v0
	v_cndmask_b32_e32 v14, v14, v13, vcc_lo
	s_wait_dscnt 0x0
	s_delay_alu instid0(VALU_DEP_1)
	v_mul_f32_e32 v17, v14, v15
	s_cbranch_execz .LBB75_258
	s_branch .LBB75_259
.LBB75_257:
                                        ; implicit-def: $vgpr17
.LBB75_258:
	ds_load_b32 v17, v54
.LBB75_259:
	s_mov_b32 s2, exec_lo
	v_cmpx_ne_u32_e32 9, v0
	s_cbranch_execz .LBB75_263
; %bb.260:
	v_mov_b64_e32 v[14:15], v[0:1]
	v_lshl_add_u32 v18, v0, 2, 52
	s_mov_b32 s3, 0
.LBB75_261:                             ; =>This Inner Loop Header: Depth=1
	s_delay_alu instid0(VALU_DEP_2)
	v_add_nc_u64_e32 v[14:15], 1, v[14:15]
	ds_load_b32 v20, v18
	v_add_nc_u32_e32 v18, 4, v18
	v_cmp_eq_u32_e32 vcc_lo, 1, v14
	v_cndmask_b32_e32 v19, v2, v3, vcc_lo
	v_cmp_eq_u32_e32 vcc_lo, 2, v14
	s_delay_alu instid0(VALU_DEP_2) | instskip(SKIP_1) | instid1(VALU_DEP_2)
	v_cndmask_b32_e32 v19, v19, v4, vcc_lo
	v_cmp_eq_u32_e32 vcc_lo, 3, v14
	v_cndmask_b32_e32 v19, v19, v5, vcc_lo
	v_cmp_eq_u32_e32 vcc_lo, 4, v14
	s_delay_alu instid0(VALU_DEP_2) | instskip(SKIP_1) | instid1(VALU_DEP_2)
	v_cndmask_b32_e32 v19, v19, v6, vcc_lo
	v_cmp_eq_u32_e32 vcc_lo, 5, v14
	v_cndmask_b32_e32 v19, v19, v7, vcc_lo
	v_cmp_eq_u32_e32 vcc_lo, 6, v14
	s_delay_alu instid0(VALU_DEP_2) | instskip(SKIP_1) | instid1(VALU_DEP_2)
	v_cndmask_b32_e32 v19, v19, v8, vcc_lo
	v_cmp_eq_u32_e32 vcc_lo, 7, v14
	v_cndmask_b32_e32 v19, v19, v9, vcc_lo
	v_cmp_eq_u32_e32 vcc_lo, 8, v14
	s_delay_alu instid0(VALU_DEP_2) | instskip(SKIP_1) | instid1(VALU_DEP_2)
	v_cndmask_b32_e32 v19, v19, v10, vcc_lo
	v_cmp_eq_u32_e32 vcc_lo, 9, v14
	v_cndmask_b32_e32 v19, v19, v11, vcc_lo
	v_cmp_eq_u32_e32 vcc_lo, 10, v14
	s_delay_alu instid0(VALU_DEP_2) | instskip(SKIP_1) | instid1(VALU_DEP_2)
	v_cndmask_b32_e32 v19, v19, v12, vcc_lo
	v_cmp_eq_u32_e32 vcc_lo, 11, v14
	v_cndmask_b32_e32 v19, v19, v13, vcc_lo
	v_cmp_lt_u32_e32 vcc_lo, 8, v14
	s_wait_dscnt 0x0
	s_delay_alu instid0(VALU_DEP_2) | instskip(SKIP_1) | instid1(SALU_CYCLE_1)
	v_fmac_f32_e32 v17, v19, v20
	s_or_b32 s3, vcc_lo, s3
	s_and_not1_b32 exec_lo, exec_lo, s3
	s_cbranch_execnz .LBB75_261
; %bb.262:
	s_or_b32 exec_lo, exec_lo, s3
.LBB75_263:
	s_delay_alu instid0(SALU_CYCLE_1)
	s_or_b32 exec_lo, exec_lo, s2
	v_mov_b32_e32 v12, 0
	ds_load_b32 v12, v12 offset:40
	s_wait_dscnt 0x0
	v_mul_f32_e32 v12, v17, v12
.LBB75_264:
	s_or_b32 exec_lo, exec_lo, s1
	s_delay_alu instid0(SALU_CYCLE_1)
	s_mov_b32 s1, exec_lo
	ds_store_b32 v54, v13
	s_wait_dscnt 0x0
	s_barrier_signal -1
	s_barrier_wait -1
	v_cmpx_ne_u32_e32 11, v0
	s_cbranch_execz .LBB75_274
; %bb.265:
	v_cmp_ne_u32_e32 vcc_lo, 1, v16
	s_cbranch_vccnz .LBB75_267
; %bb.266:
	v_cmp_eq_u32_e32 vcc_lo, 1, v0
	ds_load_b32 v15, v54
	v_cndmask_b32_e32 v14, v2, v3, vcc_lo
	v_cmp_eq_u32_e32 vcc_lo, 2, v0
	s_delay_alu instid0(VALU_DEP_2) | instskip(SKIP_1) | instid1(VALU_DEP_2)
	v_cndmask_b32_e32 v14, v14, v4, vcc_lo
	v_cmp_eq_u32_e32 vcc_lo, 3, v0
	v_cndmask_b32_e32 v14, v14, v5, vcc_lo
	v_cmp_eq_u32_e32 vcc_lo, 4, v0
	s_delay_alu instid0(VALU_DEP_2) | instskip(SKIP_1) | instid1(VALU_DEP_2)
	v_cndmask_b32_e32 v14, v14, v6, vcc_lo
	v_cmp_eq_u32_e32 vcc_lo, 5, v0
	;; [unrolled: 5-line block ×5, first 2 shown]
	v_cndmask_b32_e32 v14, v14, v13, vcc_lo
	s_wait_dscnt 0x0
	s_delay_alu instid0(VALU_DEP_1)
	v_mul_f32_e32 v14, v14, v15
	s_cbranch_execz .LBB75_268
	s_branch .LBB75_269
.LBB75_267:
                                        ; implicit-def: $vgpr14
.LBB75_268:
	ds_load_b32 v14, v54
.LBB75_269:
	s_and_saveexec_b32 s2, s0
	s_cbranch_execz .LBB75_273
; %bb.270:
	v_lshl_add_u32 v15, v0, 2, 52
	s_mov_b32 s0, 0
.LBB75_271:                             ; =>This Inner Loop Header: Depth=1
	v_add_nc_u64_e32 v[0:1], 1, v[0:1]
	ds_load_b32 v17, v15
	v_add_nc_u32_e32 v15, 4, v15
	v_cmp_eq_u32_e32 vcc_lo, 1, v0
	v_cndmask_b32_e32 v16, v2, v3, vcc_lo
	v_cmp_eq_u32_e32 vcc_lo, 2, v0
	s_delay_alu instid0(VALU_DEP_2) | instskip(SKIP_1) | instid1(VALU_DEP_2)
	v_cndmask_b32_e32 v16, v16, v4, vcc_lo
	v_cmp_eq_u32_e32 vcc_lo, 3, v0
	v_cndmask_b32_e32 v16, v16, v5, vcc_lo
	v_cmp_eq_u32_e32 vcc_lo, 4, v0
	s_delay_alu instid0(VALU_DEP_2) | instskip(SKIP_1) | instid1(VALU_DEP_2)
	v_cndmask_b32_e32 v16, v16, v6, vcc_lo
	;; [unrolled: 5-line block ×5, first 2 shown]
	v_cmp_eq_u32_e32 vcc_lo, 11, v0
	v_cndmask_b32_e32 v16, v16, v13, vcc_lo
	v_cmp_lt_u32_e32 vcc_lo, 9, v0
	s_wait_dscnt 0x0
	s_delay_alu instid0(VALU_DEP_2) | instskip(SKIP_1) | instid1(SALU_CYCLE_1)
	v_fmac_f32_e32 v14, v16, v17
	s_or_b32 s0, vcc_lo, s0
	s_and_not1_b32 exec_lo, exec_lo, s0
	s_cbranch_execnz .LBB75_271
; %bb.272:
	s_or_b32 exec_lo, exec_lo, s0
.LBB75_273:
	s_delay_alu instid0(SALU_CYCLE_1)
	s_or_b32 exec_lo, exec_lo, s2
	v_mov_b32_e32 v0, 0
	ds_load_b32 v0, v0 offset:44
	s_wait_dscnt 0x0
	v_mul_f32_e32 v13, v14, v0
.LBB75_274:
	s_or_b32 exec_lo, exec_lo, s1
	s_delay_alu instid0(VALU_DEP_1)
	v_mov_b64_e32 v[24:25], v[12:13]
	v_mov_b64_e32 v[22:23], v[10:11]
	;; [unrolled: 1-line block ×6, first 2 shown]
.LBB75_275:
	s_wait_xcnt 0x3
	v_lshl_add_u64 v[0:1], v[26:27], 2, s[14:15]
	s_wait_loadcnt_dscnt 0x304
	v_lshl_add_u64 v[2:3], v[28:29], 2, s[14:15]
	v_lshl_add_u64 v[4:5], v[30:31], 2, s[14:15]
	;; [unrolled: 1-line block ×4, first 2 shown]
	s_wait_loadcnt_dscnt 0x203
	v_lshl_add_u64 v[10:11], v[36:37], 2, s[14:15]
	s_wait_loadcnt_dscnt 0x1
	v_lshl_add_u64 v[12:13], v[40:41], 2, s[14:15]
	v_lshl_add_u64 v[26:27], v[44:45], 2, s[14:15]
	;; [unrolled: 1-line block ×4, first 2 shown]
	s_clause 0xb
	flat_store_b32 v[38:39], v14
	flat_store_b32 v[42:43], v15
	;; [unrolled: 1-line block ×12, first 2 shown]
.LBB75_276:
	s_sendmsg sendmsg(MSG_DEALLOC_VGPRS)
	s_endpgm
	.section	.rodata,"a",@progbits
	.p2align	6, 0x0
	.amdhsa_kernel _ZN9rocsolver6v33100L18trti2_kernel_smallILi12EfPKPfEEv13rocblas_fill_17rocblas_diagonal_T1_iil
		.amdhsa_group_segment_fixed_size 96
		.amdhsa_private_segment_fixed_size 0
		.amdhsa_kernarg_size 32
		.amdhsa_user_sgpr_count 2
		.amdhsa_user_sgpr_dispatch_ptr 0
		.amdhsa_user_sgpr_queue_ptr 0
		.amdhsa_user_sgpr_kernarg_segment_ptr 1
		.amdhsa_user_sgpr_dispatch_id 0
		.amdhsa_user_sgpr_kernarg_preload_length 0
		.amdhsa_user_sgpr_kernarg_preload_offset 0
		.amdhsa_user_sgpr_private_segment_size 0
		.amdhsa_wavefront_size32 1
		.amdhsa_uses_dynamic_stack 0
		.amdhsa_enable_private_segment 0
		.amdhsa_system_sgpr_workgroup_id_x 1
		.amdhsa_system_sgpr_workgroup_id_y 0
		.amdhsa_system_sgpr_workgroup_id_z 0
		.amdhsa_system_sgpr_workgroup_info 0
		.amdhsa_system_vgpr_workitem_id 0
		.amdhsa_next_free_vgpr 65
		.amdhsa_next_free_sgpr 17
		.amdhsa_named_barrier_count 0
		.amdhsa_reserve_vcc 1
		.amdhsa_float_round_mode_32 0
		.amdhsa_float_round_mode_16_64 0
		.amdhsa_float_denorm_mode_32 3
		.amdhsa_float_denorm_mode_16_64 3
		.amdhsa_fp16_overflow 0
		.amdhsa_memory_ordered 1
		.amdhsa_forward_progress 1
		.amdhsa_inst_pref_size 101
		.amdhsa_round_robin_scheduling 0
		.amdhsa_exception_fp_ieee_invalid_op 0
		.amdhsa_exception_fp_denorm_src 0
		.amdhsa_exception_fp_ieee_div_zero 0
		.amdhsa_exception_fp_ieee_overflow 0
		.amdhsa_exception_fp_ieee_underflow 0
		.amdhsa_exception_fp_ieee_inexact 0
		.amdhsa_exception_int_div_zero 0
	.end_amdhsa_kernel
	.section	.text._ZN9rocsolver6v33100L18trti2_kernel_smallILi12EfPKPfEEv13rocblas_fill_17rocblas_diagonal_T1_iil,"axG",@progbits,_ZN9rocsolver6v33100L18trti2_kernel_smallILi12EfPKPfEEv13rocblas_fill_17rocblas_diagonal_T1_iil,comdat
.Lfunc_end75:
	.size	_ZN9rocsolver6v33100L18trti2_kernel_smallILi12EfPKPfEEv13rocblas_fill_17rocblas_diagonal_T1_iil, .Lfunc_end75-_ZN9rocsolver6v33100L18trti2_kernel_smallILi12EfPKPfEEv13rocblas_fill_17rocblas_diagonal_T1_iil
                                        ; -- End function
	.set _ZN9rocsolver6v33100L18trti2_kernel_smallILi12EfPKPfEEv13rocblas_fill_17rocblas_diagonal_T1_iil.num_vgpr, 65
	.set _ZN9rocsolver6v33100L18trti2_kernel_smallILi12EfPKPfEEv13rocblas_fill_17rocblas_diagonal_T1_iil.num_agpr, 0
	.set _ZN9rocsolver6v33100L18trti2_kernel_smallILi12EfPKPfEEv13rocblas_fill_17rocblas_diagonal_T1_iil.numbered_sgpr, 17
	.set _ZN9rocsolver6v33100L18trti2_kernel_smallILi12EfPKPfEEv13rocblas_fill_17rocblas_diagonal_T1_iil.num_named_barrier, 0
	.set _ZN9rocsolver6v33100L18trti2_kernel_smallILi12EfPKPfEEv13rocblas_fill_17rocblas_diagonal_T1_iil.private_seg_size, 0
	.set _ZN9rocsolver6v33100L18trti2_kernel_smallILi12EfPKPfEEv13rocblas_fill_17rocblas_diagonal_T1_iil.uses_vcc, 1
	.set _ZN9rocsolver6v33100L18trti2_kernel_smallILi12EfPKPfEEv13rocblas_fill_17rocblas_diagonal_T1_iil.uses_flat_scratch, 1
	.set _ZN9rocsolver6v33100L18trti2_kernel_smallILi12EfPKPfEEv13rocblas_fill_17rocblas_diagonal_T1_iil.has_dyn_sized_stack, 0
	.set _ZN9rocsolver6v33100L18trti2_kernel_smallILi12EfPKPfEEv13rocblas_fill_17rocblas_diagonal_T1_iil.has_recursion, 0
	.set _ZN9rocsolver6v33100L18trti2_kernel_smallILi12EfPKPfEEv13rocblas_fill_17rocblas_diagonal_T1_iil.has_indirect_call, 0
	.section	.AMDGPU.csdata,"",@progbits
; Kernel info:
; codeLenInByte = 12888
; TotalNumSgprs: 19
; NumVgprs: 65
; ScratchSize: 0
; MemoryBound: 0
; FloatMode: 240
; IeeeMode: 1
; LDSByteSize: 96 bytes/workgroup (compile time only)
; SGPRBlocks: 0
; VGPRBlocks: 4
; NumSGPRsForWavesPerEU: 19
; NumVGPRsForWavesPerEU: 65
; NamedBarCnt: 0
; Occupancy: 12
; WaveLimiterHint : 1
; COMPUTE_PGM_RSRC2:SCRATCH_EN: 0
; COMPUTE_PGM_RSRC2:USER_SGPR: 2
; COMPUTE_PGM_RSRC2:TRAP_HANDLER: 0
; COMPUTE_PGM_RSRC2:TGID_X_EN: 1
; COMPUTE_PGM_RSRC2:TGID_Y_EN: 0
; COMPUTE_PGM_RSRC2:TGID_Z_EN: 0
; COMPUTE_PGM_RSRC2:TIDIG_COMP_CNT: 0
	.section	.text._ZN9rocsolver6v33100L18trti2_kernel_smallILi13EfPKPfEEv13rocblas_fill_17rocblas_diagonal_T1_iil,"axG",@progbits,_ZN9rocsolver6v33100L18trti2_kernel_smallILi13EfPKPfEEv13rocblas_fill_17rocblas_diagonal_T1_iil,comdat
	.globl	_ZN9rocsolver6v33100L18trti2_kernel_smallILi13EfPKPfEEv13rocblas_fill_17rocblas_diagonal_T1_iil ; -- Begin function _ZN9rocsolver6v33100L18trti2_kernel_smallILi13EfPKPfEEv13rocblas_fill_17rocblas_diagonal_T1_iil
	.p2align	8
	.type	_ZN9rocsolver6v33100L18trti2_kernel_smallILi13EfPKPfEEv13rocblas_fill_17rocblas_diagonal_T1_iil,@function
_ZN9rocsolver6v33100L18trti2_kernel_smallILi13EfPKPfEEv13rocblas_fill_17rocblas_diagonal_T1_iil: ; @_ZN9rocsolver6v33100L18trti2_kernel_smallILi13EfPKPfEEv13rocblas_fill_17rocblas_diagonal_T1_iil
; %bb.0:
	s_mov_b32 s2, exec_lo
	v_cmpx_gt_u32_e32 13, v0
	s_cbranch_execz .LBB76_302
; %bb.1:
	s_clause 0x1
	s_load_b64 s[2:3], s[0:1], 0x10
	s_load_b128 s[16:19], s[0:1], 0x0
	s_wait_xcnt 0x0
	s_bfe_u32 s0, ttmp6, 0x4000c
	s_and_b32 s1, ttmp6, 15
	s_add_co_i32 s0, s0, 1
	s_getreg_b32 s4, hwreg(HW_REG_IB_STS2, 6, 4)
	s_mul_i32 s0, ttmp9, s0
	v_mov_b32_e32 v1, 0
	s_add_co_i32 s0, s1, s0
	s_delay_alu instid0(VALU_DEP_1)
	v_dual_mov_b32 v19, v1 :: v_dual_lshlrev_b32 v18, 2, v0
	s_wait_kmcnt 0x0
	v_add3_u32 v34, s3, s3, v0
	s_ashr_i32 s1, s2, 31
	s_cmp_eq_u32 s4, 0
	s_cselect_b32 s4, ttmp9, s0
	s_delay_alu instid0(VALU_DEP_1)
	v_add_nc_u32_e32 v36, s3, v34
	s_ashr_i32 s5, s4, 31
	s_mov_b32 s0, s2
	s_lshl_b64 s[4:5], s[4:5], 3
	s_lshl_b64 s[0:1], s[0:1], 2
	v_add_nc_u32_e32 v38, s3, v36
	s_add_nc_u64 s[4:5], s[18:19], s[4:5]
	s_load_b64 s[4:5], s[4:5], 0x0
	s_delay_alu instid0(VALU_DEP_1) | instskip(NEXT) | instid1(VALU_DEP_1)
	v_add_nc_u32_e32 v40, s3, v38
	v_add_nc_u32_e32 v42, s3, v40
	s_delay_alu instid0(VALU_DEP_1) | instskip(NEXT) | instid1(VALU_DEP_1)
	v_add_nc_u32_e32 v46, s3, v42
	v_add_nc_u32_e32 v48, s3, v46
	s_wait_kmcnt 0x0
	s_add_nc_u64 s[14:15], s[4:5], s[0:1]
	s_mov_b32 s0, s3
	s_delay_alu instid0(VALU_DEP_1) | instskip(SKIP_3) | instid1(VALU_DEP_2)
	v_add_nc_u32_e32 v52, s3, v48
	v_add_nc_u64_e32 v[44:45], s[14:15], v[18:19]
	s_ashr_i32 s1, s3, 31
	s_cmp_lg_u32 s17, 0x84
	v_dual_mov_b32 v19, -1.0 :: v_dual_add_nc_u32 v54, s3, v52
	s_cselect_b32 s13, -1, 0
	s_cmp_eq_u32 s17, 0x84
	s_delay_alu instid0(VALU_DEP_2)
	v_lshl_add_u64 v[50:51], s[0:1], 2, v[44:45]
	s_clause 0x7
	flat_load_b32 v3, v[50:51]
	flat_load_b32 v4, v34, s[14:15] scale_offset
	flat_load_b32 v5, v36, s[14:15] scale_offset
	;; [unrolled: 1-line block ×7, first 2 shown]
	v_add_nc_u32_e32 v56, s3, v54
	v_cmp_eq_u32_e64 s0, 0, v0
	s_delay_alu instid0(VALU_DEP_2)
	v_add_nc_u32_e32 v58, s3, v56
	s_clause 0x4
	flat_load_b32 v2, v0, s[14:15] scale_offset
	flat_load_b32 v11, v52, s[14:15] scale_offset
	;; [unrolled: 1-line block ×5, first 2 shown]
	s_cbranch_scc1 .LBB76_3
; %bb.2:
	v_cmp_eq_u32_e64 s1, 1, v0
	v_cmp_eq_u32_e64 s2, 2, v0
	;; [unrolled: 1-line block ×5, first 2 shown]
	s_wait_loadcnt_dscnt 0x404
	v_cndmask_b32_e64 v15, v2, v3, s1
	v_cmp_eq_u32_e64 s6, 6, v0
	v_cmp_eq_u32_e64 s7, 7, v0
	;; [unrolled: 1-line block ×4, first 2 shown]
	v_cndmask_b32_e64 v15, v15, v4, s2
	v_cmp_eq_u32_e64 s10, 10, v0
	v_cmp_eq_u32_e64 s11, 11, v0
	;; [unrolled: 1-line block ×3, first 2 shown]
	s_delay_alu instid0(VALU_DEP_4) | instskip(NEXT) | instid1(VALU_DEP_1)
	v_cndmask_b32_e64 v15, v15, v5, s3
	v_cndmask_b32_e64 v15, v15, v6, s4
	s_delay_alu instid0(VALU_DEP_1) | instskip(NEXT) | instid1(VALU_DEP_1)
	v_cndmask_b32_e64 v15, v15, v7, s5
	v_cndmask_b32_e64 v15, v15, v8, s6
	s_delay_alu instid0(VALU_DEP_1) | instskip(NEXT) | instid1(VALU_DEP_1)
	v_cndmask_b32_e64 v15, v15, v9, s7
	v_cndmask_b32_e64 v15, v15, v10, s8
	s_wait_loadcnt_dscnt 0x303
	s_delay_alu instid0(VALU_DEP_1) | instskip(SKIP_1) | instid1(VALU_DEP_1)
	v_cndmask_b32_e64 v15, v15, v11, s9
	s_wait_loadcnt_dscnt 0x202
	v_cndmask_b32_e64 v15, v15, v12, s10
	s_wait_loadcnt_dscnt 0x101
	s_delay_alu instid0(VALU_DEP_1) | instskip(SKIP_1) | instid1(VALU_DEP_1)
	v_cndmask_b32_e64 v15, v15, v13, s11
	s_wait_loadcnt_dscnt 0x0
	v_cndmask_b32_e64 v15, v15, v14, s12
	s_delay_alu instid0(VALU_DEP_1) | instskip(SKIP_1) | instid1(VALU_DEP_2)
	v_div_scale_f32 v16, null, v15, v15, 1.0
	v_div_scale_f32 v20, vcc_lo, 1.0, v15, 1.0
	v_rcp_f32_e32 v17, v16
	v_nop
	s_delay_alu instid0(TRANS32_DEP_1) | instskip(NEXT) | instid1(VALU_DEP_1)
	v_fma_f32 v19, -v16, v17, 1.0
	v_fmac_f32_e32 v17, v19, v17
	s_delay_alu instid0(VALU_DEP_1) | instskip(NEXT) | instid1(VALU_DEP_1)
	v_mul_f32_e32 v19, v20, v17
	v_fma_f32 v21, -v16, v19, v20
	s_delay_alu instid0(VALU_DEP_1) | instskip(NEXT) | instid1(VALU_DEP_1)
	v_fmac_f32_e32 v19, v21, v17
	v_fma_f32 v16, -v16, v19, v20
	s_delay_alu instid0(VALU_DEP_1) | instskip(NEXT) | instid1(VALU_DEP_1)
	v_div_fmas_f32 v16, v16, v17, v19
	v_div_fixup_f32 v15, v16, v15, 1.0
	s_delay_alu instid0(VALU_DEP_1)
	v_dual_cndmask_b32 v14, v14, v15, s12 :: v_dual_cndmask_b32 v13, v13, v15, s11
	v_dual_cndmask_b32 v12, v12, v15, s10 :: v_dual_cndmask_b32 v11, v11, v15, s9
	;; [unrolled: 1-line block ×6, first 2 shown]
	v_cndmask_b32_e64 v2, v2, v15, s0
	v_xor_b32_e32 v19, 0x80000000, v15
.LBB76_3:
	v_dual_ashrrev_i32 v35, 31, v34 :: v_dual_ashrrev_i32 v37, 31, v36
	v_dual_ashrrev_i32 v39, 31, v38 :: v_dual_ashrrev_i32 v41, 31, v40
	;; [unrolled: 1-line block ×5, first 2 shown]
	v_ashrrev_i32_e32 v59, 31, v58
	v_add_nc_u32_e32 v64, 64, v18
	s_cmp_eq_u32 s16, 0x79
	ds_store_b32 v18, v19
	s_cbranch_scc1 .LBB76_7
; %bb.4:
	s_wait_loadcnt_dscnt 0x1
	v_mov_b64_e32 v[32:33], v[16:17]
	v_mov_b64_e32 v[30:31], v[14:15]
	;; [unrolled: 1-line block ×8, first 2 shown]
	v_cmp_eq_u32_e64 s1, 12, v0
	ds_store_b32 v64, v13
	s_wait_dscnt 0x0
	s_barrier_signal -1
	s_barrier_wait -1
	s_and_saveexec_b32 s0, s1
	s_cbranch_execz .LBB76_11
; %bb.5:
	s_and_b32 vcc_lo, exec_lo, s13
	s_cbranch_vccz .LBB76_8
; %bb.6:
	v_cmp_eq_u32_e32 vcc_lo, 1, v0
	ds_load_b32 v19, v64
	v_cndmask_b32_e32 v18, v2, v3, vcc_lo
	v_cmp_eq_u32_e32 vcc_lo, 2, v0
	s_delay_alu instid0(VALU_DEP_2) | instskip(SKIP_1) | instid1(VALU_DEP_2)
	v_cndmask_b32_e32 v18, v18, v4, vcc_lo
	v_cmp_eq_u32_e32 vcc_lo, 3, v0
	v_cndmask_b32_e32 v18, v18, v5, vcc_lo
	v_cmp_eq_u32_e32 vcc_lo, 4, v0
	s_delay_alu instid0(VALU_DEP_2) | instskip(SKIP_1) | instid1(VALU_DEP_2)
	v_cndmask_b32_e32 v18, v18, v6, vcc_lo
	v_cmp_eq_u32_e32 vcc_lo, 5, v0
	;; [unrolled: 5-line block ×5, first 2 shown]
	v_cndmask_b32_e32 v18, v18, v13, vcc_lo
	v_cmp_eq_u32_e32 vcc_lo, 12, v0
	s_delay_alu instid0(VALU_DEP_2) | instskip(SKIP_1) | instid1(VALU_DEP_1)
	v_cndmask_b32_e32 v18, v18, v14, vcc_lo
	s_wait_dscnt 0x0
	v_mul_f32_e32 v29, v18, v19
	s_cbranch_execz .LBB76_9
	s_branch .LBB76_10
.LBB76_7:
                                        ; implicit-def: $vgpr18_vgpr19_vgpr20_vgpr21_vgpr22_vgpr23_vgpr24_vgpr25_vgpr26_vgpr27_vgpr28_vgpr29_vgpr30_vgpr31_vgpr32_vgpr33
	s_cbranch_execnz .LBB76_178
	s_branch .LBB76_301
.LBB76_8:
                                        ; implicit-def: $vgpr29
.LBB76_9:
	ds_load_b32 v29, v64
.LBB76_10:
	v_dual_mov_b32 v18, 0 :: v_dual_mov_b32 v19, v3
	v_dual_mov_b32 v21, v5 :: v_dual_mov_b32 v22, v6
	;; [unrolled: 1-line block ×3, first 2 shown]
	ds_load_b32 v30, v18 offset:44
	v_dual_mov_b32 v18, v2 :: v_dual_mov_b32 v20, v4
	v_dual_mov_b32 v25, v9 :: v_dual_mov_b32 v26, v10
	;; [unrolled: 1-line block ×3, first 2 shown]
	s_wait_dscnt 0x0
	v_dual_mul_f32 v29, v29, v30 :: v_dual_mov_b32 v30, v14
.LBB76_11:
	s_or_b32 exec_lo, exec_lo, s0
	v_cmp_lt_u32_e64 s0, 10, v0
	ds_store_b32 v64, v28
	s_wait_dscnt 0x0
	s_barrier_signal -1
	s_barrier_wait -1
	s_and_saveexec_b32 s2, s0
	s_cbranch_execz .LBB76_17
; %bb.12:
	s_and_not1_b32 vcc_lo, exec_lo, s13
	s_cbranch_vccnz .LBB76_14
; %bb.13:
	v_cmp_eq_u32_e32 vcc_lo, 1, v0
	ds_load_b32 v32, v64
	v_cndmask_b32_e32 v31, v18, v19, vcc_lo
	v_cmp_eq_u32_e32 vcc_lo, 2, v0
	s_delay_alu instid0(VALU_DEP_2) | instskip(SKIP_1) | instid1(VALU_DEP_2)
	v_cndmask_b32_e32 v31, v31, v20, vcc_lo
	v_cmp_eq_u32_e32 vcc_lo, 3, v0
	v_cndmask_b32_e32 v31, v31, v21, vcc_lo
	v_cmp_eq_u32_e32 vcc_lo, 4, v0
	s_delay_alu instid0(VALU_DEP_2) | instskip(SKIP_1) | instid1(VALU_DEP_2)
	v_cndmask_b32_e32 v31, v31, v22, vcc_lo
	v_cmp_eq_u32_e32 vcc_lo, 5, v0
	v_cndmask_b32_e32 v31, v31, v23, vcc_lo
	v_cmp_eq_u32_e32 vcc_lo, 6, v0
	s_delay_alu instid0(VALU_DEP_2) | instskip(SKIP_1) | instid1(VALU_DEP_2)
	v_cndmask_b32_e32 v31, v31, v24, vcc_lo
	v_cmp_eq_u32_e32 vcc_lo, 7, v0
	v_cndmask_b32_e32 v31, v31, v25, vcc_lo
	v_cmp_eq_u32_e32 vcc_lo, 8, v0
	s_delay_alu instid0(VALU_DEP_2) | instskip(SKIP_1) | instid1(VALU_DEP_2)
	v_cndmask_b32_e32 v31, v31, v26, vcc_lo
	v_cmp_eq_u32_e32 vcc_lo, 9, v0
	v_cndmask_b32_e32 v31, v31, v27, vcc_lo
	v_cmp_eq_u32_e32 vcc_lo, 10, v0
	s_delay_alu instid0(VALU_DEP_2) | instskip(SKIP_1) | instid1(VALU_DEP_2)
	v_cndmask_b32_e32 v28, v31, v28, vcc_lo
	v_cmp_eq_u32_e32 vcc_lo, 11, v0
	v_cndmask_b32_e32 v28, v28, v29, vcc_lo
	v_cmp_eq_u32_e32 vcc_lo, 12, v0
	s_delay_alu instid0(VALU_DEP_2) | instskip(SKIP_1) | instid1(VALU_DEP_1)
	v_cndmask_b32_e32 v28, v28, v30, vcc_lo
	s_wait_dscnt 0x0
	v_mul_f32_e32 v28, v28, v32
	s_cbranch_execz .LBB76_15
	s_branch .LBB76_16
.LBB76_14:
                                        ; implicit-def: $vgpr28
.LBB76_15:
	ds_load_b32 v28, v64
.LBB76_16:
	v_mov_b32_e32 v31, 0
	ds_load_2addr_b32 v[32:33], v31 offset0:10 offset1:27
	s_wait_dscnt 0x0
	v_fma_f32 v31, v29, v33, v28
	s_delay_alu instid0(VALU_DEP_1) | instskip(NEXT) | instid1(VALU_DEP_1)
	v_cndmask_b32_e64 v28, v28, v31, s1
	v_mul_f32_e32 v28, v28, v32
.LBB76_17:
	s_or_b32 exec_lo, exec_lo, s2
	v_cmp_lt_u32_e64 s1, 9, v0
	ds_store_b32 v64, v27
	s_wait_dscnt 0x0
	s_barrier_signal -1
	s_barrier_wait -1
	s_and_saveexec_b32 s4, s1
	s_cbranch_execz .LBB76_33
; %bb.18:
	s_and_not1_b32 vcc_lo, exec_lo, s13
	s_cbranch_vccnz .LBB76_20
; %bb.19:
	v_cmp_eq_u32_e32 vcc_lo, 1, v0
	ds_load_b32 v61, v64
	v_cndmask_b32_e32 v60, v18, v19, vcc_lo
	v_cmp_eq_u32_e32 vcc_lo, 2, v0
	s_delay_alu instid0(VALU_DEP_2) | instskip(SKIP_1) | instid1(VALU_DEP_2)
	v_cndmask_b32_e32 v60, v60, v20, vcc_lo
	v_cmp_eq_u32_e32 vcc_lo, 3, v0
	v_cndmask_b32_e32 v60, v60, v21, vcc_lo
	v_cmp_eq_u32_e32 vcc_lo, 4, v0
	s_delay_alu instid0(VALU_DEP_2) | instskip(SKIP_1) | instid1(VALU_DEP_2)
	v_cndmask_b32_e32 v60, v60, v22, vcc_lo
	v_cmp_eq_u32_e32 vcc_lo, 5, v0
	;; [unrolled: 5-line block ×5, first 2 shown]
	v_cndmask_b32_e32 v60, v60, v29, vcc_lo
	v_cmp_eq_u32_e32 vcc_lo, 12, v0
	s_delay_alu instid0(VALU_DEP_2) | instskip(SKIP_1) | instid1(VALU_DEP_1)
	v_cndmask_b32_e32 v60, v60, v30, vcc_lo
	s_wait_dscnt 0x0
	v_mul_f32_e32 v63, v60, v61
	s_cbranch_execz .LBB76_21
	s_branch .LBB76_22
.LBB76_20:
                                        ; implicit-def: $vgpr63
.LBB76_21:
	ds_load_b32 v63, v64
.LBB76_22:
	s_and_saveexec_b32 s5, s0
	s_cbranch_execz .LBB76_32
; %bb.23:
	v_dual_add_nc_u32 v60, -11, v0 :: v_dual_add_nc_u32 v61, -10, v0
	s_delay_alu instid0(VALU_DEP_1)
	v_cmp_lt_u32_e32 vcc_lo, 6, v60
	v_mov_b32_e32 v60, 10
	s_and_saveexec_b32 s0, vcc_lo
	s_cbranch_execz .LBB76_27
; %bb.24:
	v_and_b32_e32 v60, -8, v61
	s_mov_b32 s6, 0
	s_mov_b64 s[2:3], 17
	s_movk_i32 s7, 0x68
	s_delay_alu instid0(VALU_DEP_1)
	v_sub_nc_u32_e32 v62, 0, v60
.LBB76_25:                              ; =>This Inner Loop Header: Depth=1
	s_add_co_i32 m0, s2, -7
	v_movrels_b32_e32 v65, v18
	v_mov_b32_e32 v60, s7
	s_add_co_i32 m0, s2, -6
	s_add_co_i32 s7, s7, 32
	v_movrels_b32_e32 v74, v18
	s_add_co_i32 m0, s2, -5
	ds_load_2addr_b64 v[66:69], v60 offset1:1
	ds_load_2addr_b64 v[70:73], v60 offset0:2 offset1:3
	v_movrels_b32_e32 v60, v18
	s_add_co_i32 m0, s2, -4
	s_wait_dscnt 0x1
	v_fmac_f32_e32 v63, v65, v66
	v_movrels_b32_e32 v65, v18
	s_add_co_i32 m0, s2, -3
	s_delay_alu instid0(VALU_DEP_2) | instskip(NEXT) | instid1(VALU_DEP_1)
	v_fmac_f32_e32 v63, v74, v67
	v_fmac_f32_e32 v63, v60, v68
	v_movrels_b32_e32 v60, v18
	s_add_co_i32 m0, s2, -2
	s_delay_alu instid0(VALU_DEP_2) | instskip(SKIP_3) | instid1(VALU_DEP_2)
	v_fmac_f32_e32 v63, v65, v69
	v_movrels_b32_e32 v65, v18
	s_add_co_i32 m0, s2, -1
	s_wait_dscnt 0x0
	v_fmac_f32_e32 v63, v60, v70
	v_movrels_b32_e32 v60, v18
	s_mov_b32 m0, s2
	s_add_nc_u64 s[2:3], s[2:3], 8
	v_movrels_b32_e32 v66, v18
	v_dual_fmac_f32 v63, v65, v71 :: v_dual_add_nc_u32 v65, s2, v62
	s_add_co_i32 s8, s2, -7
	s_delay_alu instid0(VALU_DEP_1) | instskip(NEXT) | instid1(VALU_DEP_2)
	v_fmac_f32_e32 v63, v60, v72
	v_cmp_eq_u32_e32 vcc_lo, 17, v65
	s_delay_alu instid0(VALU_DEP_2) | instskip(SKIP_1) | instid1(SALU_CYCLE_1)
	v_dual_mov_b32 v60, s8 :: v_dual_fmac_f32 v63, v66, v73
	s_or_b32 s6, vcc_lo, s6
	s_and_not1_b32 exec_lo, exec_lo, s6
	s_cbranch_execnz .LBB76_25
; %bb.26:
	s_or_b32 exec_lo, exec_lo, s6
.LBB76_27:
	s_delay_alu instid0(SALU_CYCLE_1) | instskip(SKIP_3) | instid1(VALU_DEP_1)
	s_or_b32 exec_lo, exec_lo, s0
	v_and_b32_e32 v31, 7, v61
	s_mov_b32 s2, 0
	s_mov_b32 s0, exec_lo
	v_cmpx_ne_u32_e32 0, v31
	s_cbranch_execz .LBB76_31
; %bb.28:
	v_lshl_add_u32 v32, v60, 2, 64
	v_mov_b32_e32 v61, 0
.LBB76_29:                              ; =>This Inner Loop Header: Depth=1
	v_cmp_eq_u32_e32 vcc_lo, 1, v60
	ds_load_b32 v62, v32
	v_dual_add_nc_u32 v32, 4, v32 :: v_dual_add_nc_u32 v31, -1, v31
	v_cndmask_b32_e32 v33, v18, v19, vcc_lo
	v_cmp_eq_u32_e32 vcc_lo, 2, v60
	s_delay_alu instid0(VALU_DEP_2) | instskip(SKIP_1) | instid1(VALU_DEP_2)
	v_cndmask_b32_e32 v33, v33, v20, vcc_lo
	v_cmp_eq_u32_e32 vcc_lo, 3, v60
	v_cndmask_b32_e32 v33, v33, v21, vcc_lo
	v_cmp_eq_u32_e32 vcc_lo, 4, v60
	s_delay_alu instid0(VALU_DEP_2) | instskip(SKIP_1) | instid1(VALU_DEP_2)
	v_cndmask_b32_e32 v33, v33, v22, vcc_lo
	v_cmp_eq_u32_e32 vcc_lo, 5, v60
	;; [unrolled: 5-line block ×5, first 2 shown]
	v_cndmask_b32_e32 v33, v33, v29, vcc_lo
	v_cmp_eq_u32_e32 vcc_lo, 12, v60
	v_add_nc_u64_e32 v[60:61], 1, v[60:61]
	s_delay_alu instid0(VALU_DEP_3) | instskip(SKIP_2) | instid1(VALU_DEP_2)
	v_cndmask_b32_e32 v33, v33, v30, vcc_lo
	v_cmp_eq_u32_e32 vcc_lo, 0, v31
	s_wait_dscnt 0x0
	v_fmac_f32_e32 v63, v33, v62
	s_or_b32 s2, vcc_lo, s2
	s_delay_alu instid0(SALU_CYCLE_1)
	s_and_not1_b32 exec_lo, exec_lo, s2
	s_cbranch_execnz .LBB76_29
; %bb.30:
	s_or_b32 exec_lo, exec_lo, s2
.LBB76_31:
	s_delay_alu instid0(SALU_CYCLE_1)
	s_or_b32 exec_lo, exec_lo, s0
.LBB76_32:
	s_delay_alu instid0(SALU_CYCLE_1)
	s_or_b32 exec_lo, exec_lo, s5
	v_mov_b32_e32 v27, 0
	ds_load_b32 v27, v27 offset:36
	s_wait_dscnt 0x0
	v_mul_f32_e32 v27, v63, v27
.LBB76_33:
	s_or_b32 exec_lo, exec_lo, s4
	v_cmp_lt_u32_e64 s0, 8, v0
	ds_store_b32 v64, v26
	s_wait_dscnt 0x0
	s_barrier_signal -1
	s_barrier_wait -1
	s_and_saveexec_b32 s4, s0
	s_cbranch_execz .LBB76_49
; %bb.34:
	s_and_not1_b32 vcc_lo, exec_lo, s13
	s_cbranch_vccnz .LBB76_36
; %bb.35:
	v_cmp_eq_u32_e32 vcc_lo, 1, v0
	ds_load_b32 v61, v64
	v_cndmask_b32_e32 v60, v18, v19, vcc_lo
	v_cmp_eq_u32_e32 vcc_lo, 2, v0
	s_delay_alu instid0(VALU_DEP_2) | instskip(SKIP_1) | instid1(VALU_DEP_2)
	v_cndmask_b32_e32 v60, v60, v20, vcc_lo
	v_cmp_eq_u32_e32 vcc_lo, 3, v0
	v_cndmask_b32_e32 v60, v60, v21, vcc_lo
	v_cmp_eq_u32_e32 vcc_lo, 4, v0
	s_delay_alu instid0(VALU_DEP_2) | instskip(SKIP_1) | instid1(VALU_DEP_2)
	v_cndmask_b32_e32 v60, v60, v22, vcc_lo
	v_cmp_eq_u32_e32 vcc_lo, 5, v0
	;; [unrolled: 5-line block ×5, first 2 shown]
	v_cndmask_b32_e32 v60, v60, v29, vcc_lo
	v_cmp_eq_u32_e32 vcc_lo, 12, v0
	s_delay_alu instid0(VALU_DEP_2) | instskip(SKIP_1) | instid1(VALU_DEP_1)
	v_cndmask_b32_e32 v60, v60, v30, vcc_lo
	s_wait_dscnt 0x0
	v_mul_f32_e32 v63, v60, v61
	s_cbranch_execz .LBB76_37
	s_branch .LBB76_38
.LBB76_36:
                                        ; implicit-def: $vgpr63
.LBB76_37:
	ds_load_b32 v63, v64
.LBB76_38:
	s_and_saveexec_b32 s5, s1
	s_cbranch_execz .LBB76_48
; %bb.39:
	v_dual_add_nc_u32 v60, -10, v0 :: v_dual_add_nc_u32 v61, -9, v0
	s_delay_alu instid0(VALU_DEP_1)
	v_cmp_lt_u32_e32 vcc_lo, 6, v60
	v_mov_b32_e32 v60, 9
	s_and_saveexec_b32 s1, vcc_lo
	s_cbranch_execz .LBB76_43
; %bb.40:
	v_and_b32_e32 v60, -8, v61
	s_mov_b32 s6, 0
	s_mov_b64 s[2:3], 16
	s_movk_i32 s7, 0x64
	s_delay_alu instid0(VALU_DEP_1)
	v_sub_nc_u32_e32 v62, 0, v60
.LBB76_41:                              ; =>This Inner Loop Header: Depth=1
	s_add_co_i32 m0, s2, -7
	v_movrels_b32_e32 v65, v18
	v_mov_b32_e32 v60, s7
	s_add_co_i32 m0, s2, -6
	s_add_co_i32 s7, s7, 32
	v_movrels_b32_e32 v74, v18
	ds_load_2addr_b32 v[66:67], v60 offset1:1
	ds_load_2addr_b32 v[68:69], v60 offset0:2 offset1:3
	s_add_co_i32 m0, s2, -5
	s_wait_dscnt 0x1
	v_fmac_f32_e32 v63, v65, v66
	ds_load_2addr_b32 v[70:71], v60 offset0:4 offset1:5
	ds_load_2addr_b32 v[72:73], v60 offset0:6 offset1:7
	v_movrels_b32_e32 v60, v18
	s_add_co_i32 m0, s2, -4
	v_fmac_f32_e32 v63, v74, v67
	v_movrels_b32_e32 v65, v18
	s_add_co_i32 m0, s2, -3
	s_wait_dscnt 0x2
	s_delay_alu instid0(VALU_DEP_2) | instskip(SKIP_2) | instid1(VALU_DEP_2)
	v_fmac_f32_e32 v63, v60, v68
	v_movrels_b32_e32 v60, v18
	s_add_co_i32 m0, s2, -2
	v_fmac_f32_e32 v63, v65, v69
	v_movrels_b32_e32 v65, v18
	s_add_co_i32 m0, s2, -1
	s_wait_dscnt 0x1
	s_delay_alu instid0(VALU_DEP_2)
	v_fmac_f32_e32 v63, v60, v70
	v_movrels_b32_e32 v60, v18
	s_mov_b32 m0, s2
	s_add_nc_u64 s[2:3], s[2:3], 8
	v_movrels_b32_e32 v66, v18
	v_dual_fmac_f32 v63, v65, v71 :: v_dual_add_nc_u32 v65, s2, v62
	s_add_co_i32 s8, s2, -7
	s_wait_dscnt 0x0
	s_delay_alu instid0(VALU_DEP_1) | instskip(NEXT) | instid1(VALU_DEP_2)
	v_fmac_f32_e32 v63, v60, v72
	v_cmp_eq_u32_e32 vcc_lo, 16, v65
	s_delay_alu instid0(VALU_DEP_2) | instskip(SKIP_1) | instid1(SALU_CYCLE_1)
	v_dual_mov_b32 v60, s8 :: v_dual_fmac_f32 v63, v66, v73
	s_or_b32 s6, vcc_lo, s6
	s_and_not1_b32 exec_lo, exec_lo, s6
	s_cbranch_execnz .LBB76_41
; %bb.42:
	s_or_b32 exec_lo, exec_lo, s6
.LBB76_43:
	s_delay_alu instid0(SALU_CYCLE_1) | instskip(SKIP_3) | instid1(VALU_DEP_1)
	s_or_b32 exec_lo, exec_lo, s1
	v_and_b32_e32 v31, 7, v61
	s_mov_b32 s2, 0
	s_mov_b32 s1, exec_lo
	v_cmpx_ne_u32_e32 0, v31
	s_cbranch_execz .LBB76_47
; %bb.44:
	v_lshl_add_u32 v32, v60, 2, 64
	v_mov_b32_e32 v61, 0
.LBB76_45:                              ; =>This Inner Loop Header: Depth=1
	v_cmp_eq_u32_e32 vcc_lo, 1, v60
	ds_load_b32 v62, v32
	v_dual_add_nc_u32 v32, 4, v32 :: v_dual_add_nc_u32 v31, -1, v31
	v_cndmask_b32_e32 v33, v18, v19, vcc_lo
	v_cmp_eq_u32_e32 vcc_lo, 2, v60
	s_delay_alu instid0(VALU_DEP_2) | instskip(SKIP_1) | instid1(VALU_DEP_2)
	v_cndmask_b32_e32 v33, v33, v20, vcc_lo
	v_cmp_eq_u32_e32 vcc_lo, 3, v60
	v_cndmask_b32_e32 v33, v33, v21, vcc_lo
	v_cmp_eq_u32_e32 vcc_lo, 4, v60
	s_delay_alu instid0(VALU_DEP_2) | instskip(SKIP_1) | instid1(VALU_DEP_2)
	v_cndmask_b32_e32 v33, v33, v22, vcc_lo
	v_cmp_eq_u32_e32 vcc_lo, 5, v60
	;; [unrolled: 5-line block ×5, first 2 shown]
	v_cndmask_b32_e32 v33, v33, v29, vcc_lo
	v_cmp_eq_u32_e32 vcc_lo, 12, v60
	v_add_nc_u64_e32 v[60:61], 1, v[60:61]
	s_delay_alu instid0(VALU_DEP_3) | instskip(SKIP_2) | instid1(VALU_DEP_2)
	v_cndmask_b32_e32 v33, v33, v30, vcc_lo
	v_cmp_eq_u32_e32 vcc_lo, 0, v31
	s_wait_dscnt 0x0
	v_fmac_f32_e32 v63, v33, v62
	s_or_b32 s2, vcc_lo, s2
	s_delay_alu instid0(SALU_CYCLE_1)
	s_and_not1_b32 exec_lo, exec_lo, s2
	s_cbranch_execnz .LBB76_45
; %bb.46:
	s_or_b32 exec_lo, exec_lo, s2
.LBB76_47:
	s_delay_alu instid0(SALU_CYCLE_1)
	s_or_b32 exec_lo, exec_lo, s1
.LBB76_48:
	s_delay_alu instid0(SALU_CYCLE_1)
	s_or_b32 exec_lo, exec_lo, s5
	v_mov_b32_e32 v26, 0
	ds_load_b32 v26, v26 offset:32
	s_wait_dscnt 0x0
	v_mul_f32_e32 v26, v63, v26
.LBB76_49:
	s_or_b32 exec_lo, exec_lo, s4
	v_cmp_lt_u32_e64 s1, 7, v0
	ds_store_b32 v64, v25
	s_wait_dscnt 0x0
	s_barrier_signal -1
	s_barrier_wait -1
	s_and_saveexec_b32 s4, s1
	s_cbranch_execz .LBB76_65
; %bb.50:
	s_and_not1_b32 vcc_lo, exec_lo, s13
	s_cbranch_vccnz .LBB76_52
; %bb.51:
	v_cmp_eq_u32_e32 vcc_lo, 1, v0
	ds_load_b32 v61, v64
	v_cndmask_b32_e32 v60, v18, v19, vcc_lo
	v_cmp_eq_u32_e32 vcc_lo, 2, v0
	s_delay_alu instid0(VALU_DEP_2) | instskip(SKIP_1) | instid1(VALU_DEP_2)
	v_cndmask_b32_e32 v60, v60, v20, vcc_lo
	v_cmp_eq_u32_e32 vcc_lo, 3, v0
	v_cndmask_b32_e32 v60, v60, v21, vcc_lo
	v_cmp_eq_u32_e32 vcc_lo, 4, v0
	s_delay_alu instid0(VALU_DEP_2) | instskip(SKIP_1) | instid1(VALU_DEP_2)
	v_cndmask_b32_e32 v60, v60, v22, vcc_lo
	v_cmp_eq_u32_e32 vcc_lo, 5, v0
	;; [unrolled: 5-line block ×5, first 2 shown]
	v_cndmask_b32_e32 v60, v60, v29, vcc_lo
	v_cmp_eq_u32_e32 vcc_lo, 12, v0
	s_delay_alu instid0(VALU_DEP_2) | instskip(SKIP_1) | instid1(VALU_DEP_1)
	v_cndmask_b32_e32 v60, v60, v30, vcc_lo
	s_wait_dscnt 0x0
	v_mul_f32_e32 v65, v60, v61
	s_cbranch_execz .LBB76_53
	s_branch .LBB76_54
.LBB76_52:
                                        ; implicit-def: $vgpr65
.LBB76_53:
	ds_load_b32 v65, v64
.LBB76_54:
	s_and_saveexec_b32 s5, s0
	s_cbranch_execz .LBB76_64
; %bb.55:
	v_add_nc_u32_e32 v60, -9, v0
	s_delay_alu instid0(VALU_DEP_1)
	v_cmp_lt_u32_e32 vcc_lo, 6, v60
	v_mov_b32_e32 v60, 8
	s_and_saveexec_b32 s0, vcc_lo
	s_cbranch_execz .LBB76_59
; %bb.56:
	v_bfe_u32 v60, v0, 3, 1
	v_mov_b32_e32 v61, 0
	s_mov_b64 s[2:3], 0xfffffff8
	s_movk_i32 s7, 0x60
	s_mov_b32 s6, 0
	s_delay_alu instid0(VALU_DEP_1)
	v_mul_u64_e32 v[62:63], s[2:3], v[60:61]
	s_mov_b64 s[2:3], 15
.LBB76_57:                              ; =>This Inner Loop Header: Depth=1
	s_delay_alu instid0(SALU_CYCLE_1)
	s_add_co_i32 m0, s2, -7
	v_movrels_b32_e32 v61, v18
	v_mov_b32_e32 v60, s7
	s_add_co_i32 m0, s2, -6
	s_add_co_i32 s7, s7, 32
	v_movrels_b32_e32 v63, v18
	s_add_co_i32 m0, s2, -5
	ds_load_b128 v[66:69], v60
	ds_load_b128 v[70:73], v60 offset:16
	v_movrels_b32_e32 v60, v18
	s_add_co_i32 m0, s2, -4
	s_wait_dscnt 0x1
	v_fmac_f32_e32 v65, v61, v66
	v_movrels_b32_e32 v61, v18
	s_add_co_i32 m0, s2, -3
	s_delay_alu instid0(VALU_DEP_2) | instskip(NEXT) | instid1(VALU_DEP_1)
	v_fmac_f32_e32 v65, v63, v67
	v_fmac_f32_e32 v65, v60, v68
	v_movrels_b32_e32 v60, v18
	s_add_co_i32 m0, s2, -2
	s_delay_alu instid0(VALU_DEP_2) | instskip(SKIP_3) | instid1(VALU_DEP_2)
	v_fmac_f32_e32 v65, v61, v69
	v_movrels_b32_e32 v61, v18
	s_add_co_i32 m0, s2, -1
	s_wait_dscnt 0x0
	v_fmac_f32_e32 v65, v60, v70
	v_movrels_b32_e32 v60, v18
	s_mov_b32 m0, s2
	s_add_nc_u64 s[2:3], s[2:3], 8
	v_movrels_b32_e32 v63, v18
	v_dual_fmac_f32 v65, v61, v71 :: v_dual_add_nc_u32 v61, s2, v62
	s_add_co_i32 s8, s2, -7
	s_delay_alu instid0(VALU_DEP_1) | instskip(NEXT) | instid1(VALU_DEP_2)
	v_fmac_f32_e32 v65, v60, v72
	v_cmp_eq_u32_e32 vcc_lo, 7, v61
	s_delay_alu instid0(VALU_DEP_2) | instskip(SKIP_1) | instid1(SALU_CYCLE_1)
	v_dual_mov_b32 v60, s8 :: v_dual_fmac_f32 v65, v63, v73
	s_or_b32 s6, vcc_lo, s6
	s_and_not1_b32 exec_lo, exec_lo, s6
	s_cbranch_execnz .LBB76_57
; %bb.58:
	s_or_b32 exec_lo, exec_lo, s6
.LBB76_59:
	s_delay_alu instid0(SALU_CYCLE_1) | instskip(SKIP_3) | instid1(VALU_DEP_1)
	s_or_b32 exec_lo, exec_lo, s0
	v_and_b32_e32 v31, 7, v0
	s_mov_b32 s2, 0
	s_mov_b32 s0, exec_lo
	v_cmpx_ne_u32_e32 0, v31
	s_cbranch_execz .LBB76_63
; %bb.60:
	v_lshl_add_u32 v32, v60, 2, 64
	v_mov_b32_e32 v61, 0
.LBB76_61:                              ; =>This Inner Loop Header: Depth=1
	v_cmp_eq_u32_e32 vcc_lo, 1, v60
	ds_load_b32 v62, v32
	v_dual_add_nc_u32 v32, 4, v32 :: v_dual_add_nc_u32 v31, -1, v31
	v_cndmask_b32_e32 v33, v18, v19, vcc_lo
	v_cmp_eq_u32_e32 vcc_lo, 2, v60
	s_delay_alu instid0(VALU_DEP_2) | instskip(SKIP_1) | instid1(VALU_DEP_2)
	v_cndmask_b32_e32 v33, v33, v20, vcc_lo
	v_cmp_eq_u32_e32 vcc_lo, 3, v60
	v_cndmask_b32_e32 v33, v33, v21, vcc_lo
	v_cmp_eq_u32_e32 vcc_lo, 4, v60
	s_delay_alu instid0(VALU_DEP_2) | instskip(SKIP_1) | instid1(VALU_DEP_2)
	v_cndmask_b32_e32 v33, v33, v22, vcc_lo
	v_cmp_eq_u32_e32 vcc_lo, 5, v60
	v_cndmask_b32_e32 v33, v33, v23, vcc_lo
	v_cmp_eq_u32_e32 vcc_lo, 6, v60
	s_delay_alu instid0(VALU_DEP_2) | instskip(SKIP_1) | instid1(VALU_DEP_2)
	v_cndmask_b32_e32 v33, v33, v24, vcc_lo
	v_cmp_eq_u32_e32 vcc_lo, 7, v60
	v_cndmask_b32_e32 v33, v33, v25, vcc_lo
	v_cmp_eq_u32_e32 vcc_lo, 8, v60
	s_delay_alu instid0(VALU_DEP_2) | instskip(SKIP_1) | instid1(VALU_DEP_2)
	v_cndmask_b32_e32 v33, v33, v26, vcc_lo
	v_cmp_eq_u32_e32 vcc_lo, 9, v60
	v_cndmask_b32_e32 v33, v33, v27, vcc_lo
	v_cmp_eq_u32_e32 vcc_lo, 10, v60
	s_delay_alu instid0(VALU_DEP_2) | instskip(SKIP_1) | instid1(VALU_DEP_2)
	v_cndmask_b32_e32 v33, v33, v28, vcc_lo
	v_cmp_eq_u32_e32 vcc_lo, 11, v60
	v_cndmask_b32_e32 v33, v33, v29, vcc_lo
	v_cmp_eq_u32_e32 vcc_lo, 12, v60
	v_add_nc_u64_e32 v[60:61], 1, v[60:61]
	s_delay_alu instid0(VALU_DEP_3) | instskip(SKIP_2) | instid1(VALU_DEP_2)
	v_cndmask_b32_e32 v33, v33, v30, vcc_lo
	v_cmp_eq_u32_e32 vcc_lo, 0, v31
	s_wait_dscnt 0x0
	v_fmac_f32_e32 v65, v33, v62
	s_or_b32 s2, vcc_lo, s2
	s_delay_alu instid0(SALU_CYCLE_1)
	s_and_not1_b32 exec_lo, exec_lo, s2
	s_cbranch_execnz .LBB76_61
; %bb.62:
	s_or_b32 exec_lo, exec_lo, s2
.LBB76_63:
	s_delay_alu instid0(SALU_CYCLE_1)
	s_or_b32 exec_lo, exec_lo, s0
.LBB76_64:
	s_delay_alu instid0(SALU_CYCLE_1)
	s_or_b32 exec_lo, exec_lo, s5
	v_mov_b32_e32 v25, 0
	ds_load_b32 v25, v25 offset:28
	s_wait_dscnt 0x0
	v_mul_f32_e32 v25, v65, v25
.LBB76_65:
	s_or_b32 exec_lo, exec_lo, s4
	v_cmp_lt_u32_e64 s0, 6, v0
	ds_store_b32 v64, v24
	s_wait_dscnt 0x0
	s_barrier_signal -1
	s_barrier_wait -1
	s_and_saveexec_b32 s4, s0
	s_cbranch_execz .LBB76_81
; %bb.66:
	s_and_not1_b32 vcc_lo, exec_lo, s13
	s_cbranch_vccnz .LBB76_68
; %bb.67:
	v_cmp_eq_u32_e32 vcc_lo, 1, v0
	ds_load_b32 v61, v64
	v_cndmask_b32_e32 v60, v18, v19, vcc_lo
	v_cmp_eq_u32_e32 vcc_lo, 2, v0
	s_delay_alu instid0(VALU_DEP_2) | instskip(SKIP_1) | instid1(VALU_DEP_2)
	v_cndmask_b32_e32 v60, v60, v20, vcc_lo
	v_cmp_eq_u32_e32 vcc_lo, 3, v0
	v_cndmask_b32_e32 v60, v60, v21, vcc_lo
	v_cmp_eq_u32_e32 vcc_lo, 4, v0
	s_delay_alu instid0(VALU_DEP_2) | instskip(SKIP_1) | instid1(VALU_DEP_2)
	v_cndmask_b32_e32 v60, v60, v22, vcc_lo
	v_cmp_eq_u32_e32 vcc_lo, 5, v0
	;; [unrolled: 5-line block ×5, first 2 shown]
	v_cndmask_b32_e32 v60, v60, v29, vcc_lo
	v_cmp_eq_u32_e32 vcc_lo, 12, v0
	s_delay_alu instid0(VALU_DEP_2) | instskip(SKIP_1) | instid1(VALU_DEP_1)
	v_cndmask_b32_e32 v60, v60, v30, vcc_lo
	s_wait_dscnt 0x0
	v_mul_f32_e32 v63, v60, v61
	s_cbranch_execz .LBB76_69
	s_branch .LBB76_70
.LBB76_68:
                                        ; implicit-def: $vgpr63
.LBB76_69:
	ds_load_b32 v63, v64
.LBB76_70:
	s_and_saveexec_b32 s5, s1
	s_cbranch_execz .LBB76_80
; %bb.71:
	v_dual_add_nc_u32 v60, -8, v0 :: v_dual_add_nc_u32 v61, -7, v0
	s_delay_alu instid0(VALU_DEP_1)
	v_cmp_lt_u32_e32 vcc_lo, 6, v60
	v_mov_b32_e32 v60, 7
	s_and_saveexec_b32 s1, vcc_lo
	s_cbranch_execz .LBB76_75
; %bb.72:
	v_and_b32_e32 v60, -8, v61
	s_mov_b32 s6, 0
	s_mov_b64 s[2:3], 14
	s_movk_i32 s7, 0x5c
	s_delay_alu instid0(VALU_DEP_1)
	v_sub_nc_u32_e32 v62, 0, v60
.LBB76_73:                              ; =>This Inner Loop Header: Depth=1
	s_add_co_i32 m0, s2, -7
	v_movrels_b32_e32 v65, v18
	v_mov_b32_e32 v60, s7
	s_add_co_i32 m0, s2, -6
	s_add_co_i32 s7, s7, 32
	v_movrels_b32_e32 v74, v18
	ds_load_2addr_b32 v[66:67], v60 offset1:1
	ds_load_2addr_b32 v[68:69], v60 offset0:2 offset1:3
	s_add_co_i32 m0, s2, -5
	s_wait_dscnt 0x1
	v_fmac_f32_e32 v63, v65, v66
	ds_load_2addr_b32 v[70:71], v60 offset0:4 offset1:5
	ds_load_2addr_b32 v[72:73], v60 offset0:6 offset1:7
	v_movrels_b32_e32 v60, v18
	s_add_co_i32 m0, s2, -4
	v_fmac_f32_e32 v63, v74, v67
	v_movrels_b32_e32 v65, v18
	s_add_co_i32 m0, s2, -3
	s_wait_dscnt 0x2
	s_delay_alu instid0(VALU_DEP_2) | instskip(SKIP_2) | instid1(VALU_DEP_2)
	v_fmac_f32_e32 v63, v60, v68
	v_movrels_b32_e32 v60, v18
	s_add_co_i32 m0, s2, -2
	v_fmac_f32_e32 v63, v65, v69
	v_movrels_b32_e32 v65, v18
	s_add_co_i32 m0, s2, -1
	s_wait_dscnt 0x1
	s_delay_alu instid0(VALU_DEP_2)
	v_fmac_f32_e32 v63, v60, v70
	v_movrels_b32_e32 v60, v18
	s_mov_b32 m0, s2
	s_add_nc_u64 s[2:3], s[2:3], 8
	v_movrels_b32_e32 v66, v18
	v_dual_fmac_f32 v63, v65, v71 :: v_dual_add_nc_u32 v65, s2, v62
	s_add_co_i32 s8, s2, -7
	s_wait_dscnt 0x0
	s_delay_alu instid0(VALU_DEP_1) | instskip(NEXT) | instid1(VALU_DEP_2)
	v_fmac_f32_e32 v63, v60, v72
	v_cmp_eq_u32_e32 vcc_lo, 14, v65
	s_delay_alu instid0(VALU_DEP_2) | instskip(SKIP_1) | instid1(SALU_CYCLE_1)
	v_dual_mov_b32 v60, s8 :: v_dual_fmac_f32 v63, v66, v73
	s_or_b32 s6, vcc_lo, s6
	s_and_not1_b32 exec_lo, exec_lo, s6
	s_cbranch_execnz .LBB76_73
; %bb.74:
	s_or_b32 exec_lo, exec_lo, s6
.LBB76_75:
	s_delay_alu instid0(SALU_CYCLE_1) | instskip(SKIP_3) | instid1(VALU_DEP_1)
	s_or_b32 exec_lo, exec_lo, s1
	v_and_b32_e32 v31, 7, v61
	s_mov_b32 s2, 0
	s_mov_b32 s1, exec_lo
	v_cmpx_ne_u32_e32 0, v31
	s_cbranch_execz .LBB76_79
; %bb.76:
	v_lshl_add_u32 v32, v60, 2, 64
	v_mov_b32_e32 v61, 0
.LBB76_77:                              ; =>This Inner Loop Header: Depth=1
	v_cmp_eq_u32_e32 vcc_lo, 1, v60
	ds_load_b32 v62, v32
	v_dual_add_nc_u32 v32, 4, v32 :: v_dual_add_nc_u32 v31, -1, v31
	v_cndmask_b32_e32 v33, v18, v19, vcc_lo
	v_cmp_eq_u32_e32 vcc_lo, 2, v60
	s_delay_alu instid0(VALU_DEP_2) | instskip(SKIP_1) | instid1(VALU_DEP_2)
	v_cndmask_b32_e32 v33, v33, v20, vcc_lo
	v_cmp_eq_u32_e32 vcc_lo, 3, v60
	v_cndmask_b32_e32 v33, v33, v21, vcc_lo
	v_cmp_eq_u32_e32 vcc_lo, 4, v60
	s_delay_alu instid0(VALU_DEP_2) | instskip(SKIP_1) | instid1(VALU_DEP_2)
	v_cndmask_b32_e32 v33, v33, v22, vcc_lo
	v_cmp_eq_u32_e32 vcc_lo, 5, v60
	;; [unrolled: 5-line block ×5, first 2 shown]
	v_cndmask_b32_e32 v33, v33, v29, vcc_lo
	v_cmp_eq_u32_e32 vcc_lo, 12, v60
	v_add_nc_u64_e32 v[60:61], 1, v[60:61]
	s_delay_alu instid0(VALU_DEP_3) | instskip(SKIP_2) | instid1(VALU_DEP_2)
	v_cndmask_b32_e32 v33, v33, v30, vcc_lo
	v_cmp_eq_u32_e32 vcc_lo, 0, v31
	s_wait_dscnt 0x0
	v_fmac_f32_e32 v63, v33, v62
	s_or_b32 s2, vcc_lo, s2
	s_delay_alu instid0(SALU_CYCLE_1)
	s_and_not1_b32 exec_lo, exec_lo, s2
	s_cbranch_execnz .LBB76_77
; %bb.78:
	s_or_b32 exec_lo, exec_lo, s2
.LBB76_79:
	s_delay_alu instid0(SALU_CYCLE_1)
	s_or_b32 exec_lo, exec_lo, s1
.LBB76_80:
	s_delay_alu instid0(SALU_CYCLE_1)
	s_or_b32 exec_lo, exec_lo, s5
	v_mov_b32_e32 v24, 0
	ds_load_b32 v24, v24 offset:24
	s_wait_dscnt 0x0
	v_mul_f32_e32 v24, v63, v24
.LBB76_81:
	s_or_b32 exec_lo, exec_lo, s4
	v_cmp_lt_u32_e64 s1, 5, v0
	ds_store_b32 v64, v23
	s_wait_dscnt 0x0
	s_barrier_signal -1
	s_barrier_wait -1
	s_and_saveexec_b32 s4, s1
	s_cbranch_execz .LBB76_97
; %bb.82:
	s_and_not1_b32 vcc_lo, exec_lo, s13
	s_cbranch_vccnz .LBB76_84
; %bb.83:
	v_cmp_eq_u32_e32 vcc_lo, 1, v0
	ds_load_b32 v61, v64
	v_cndmask_b32_e32 v60, v18, v19, vcc_lo
	v_cmp_eq_u32_e32 vcc_lo, 2, v0
	s_delay_alu instid0(VALU_DEP_2) | instskip(SKIP_1) | instid1(VALU_DEP_2)
	v_cndmask_b32_e32 v60, v60, v20, vcc_lo
	v_cmp_eq_u32_e32 vcc_lo, 3, v0
	v_cndmask_b32_e32 v60, v60, v21, vcc_lo
	v_cmp_eq_u32_e32 vcc_lo, 4, v0
	s_delay_alu instid0(VALU_DEP_2) | instskip(SKIP_1) | instid1(VALU_DEP_2)
	v_cndmask_b32_e32 v60, v60, v22, vcc_lo
	v_cmp_eq_u32_e32 vcc_lo, 5, v0
	;; [unrolled: 5-line block ×5, first 2 shown]
	v_cndmask_b32_e32 v60, v60, v29, vcc_lo
	v_cmp_eq_u32_e32 vcc_lo, 12, v0
	s_delay_alu instid0(VALU_DEP_2) | instskip(SKIP_1) | instid1(VALU_DEP_1)
	v_cndmask_b32_e32 v60, v60, v30, vcc_lo
	s_wait_dscnt 0x0
	v_mul_f32_e32 v63, v60, v61
	s_cbranch_execz .LBB76_85
	s_branch .LBB76_86
.LBB76_84:
                                        ; implicit-def: $vgpr63
.LBB76_85:
	ds_load_b32 v63, v64
.LBB76_86:
	s_and_saveexec_b32 s5, s0
	s_cbranch_execz .LBB76_96
; %bb.87:
	v_dual_add_nc_u32 v62, -7, v0 :: v_dual_add_nc_u32 v61, -6, v0
	v_mov_b32_e32 v60, 6
	s_mov_b32 s0, exec_lo
	s_delay_alu instid0(VALU_DEP_2)
	v_cmpx_lt_u32_e32 6, v62
	s_cbranch_execz .LBB76_91
; %bb.88:
	v_and_b32_e32 v60, -8, v61
	s_mov_b32 s6, 0
	s_mov_b64 s[2:3], 13
	s_movk_i32 s7, 0x58
	s_delay_alu instid0(VALU_DEP_1)
	v_sub_nc_u32_e32 v62, 0, v60
.LBB76_89:                              ; =>This Inner Loop Header: Depth=1
	s_add_co_i32 m0, s2, -7
	v_movrels_b32_e32 v65, v18
	v_mov_b32_e32 v60, s7
	s_add_co_i32 m0, s2, -6
	s_add_co_i32 s7, s7, 32
	v_movrels_b32_e32 v74, v18
	s_add_co_i32 m0, s2, -5
	ds_load_2addr_b64 v[66:69], v60 offset1:1
	ds_load_2addr_b64 v[70:73], v60 offset0:2 offset1:3
	v_movrels_b32_e32 v60, v18
	s_add_co_i32 m0, s2, -4
	s_wait_dscnt 0x1
	v_fmac_f32_e32 v63, v65, v66
	v_movrels_b32_e32 v65, v18
	s_add_co_i32 m0, s2, -3
	s_delay_alu instid0(VALU_DEP_2) | instskip(NEXT) | instid1(VALU_DEP_1)
	v_fmac_f32_e32 v63, v74, v67
	v_fmac_f32_e32 v63, v60, v68
	v_movrels_b32_e32 v60, v18
	s_add_co_i32 m0, s2, -2
	s_delay_alu instid0(VALU_DEP_2) | instskip(SKIP_3) | instid1(VALU_DEP_2)
	v_fmac_f32_e32 v63, v65, v69
	v_movrels_b32_e32 v65, v18
	s_add_co_i32 m0, s2, -1
	s_wait_dscnt 0x0
	v_fmac_f32_e32 v63, v60, v70
	v_movrels_b32_e32 v60, v18
	s_mov_b32 m0, s2
	s_add_nc_u64 s[2:3], s[2:3], 8
	v_movrels_b32_e32 v66, v18
	v_dual_fmac_f32 v63, v65, v71 :: v_dual_add_nc_u32 v65, s2, v62
	s_add_co_i32 s8, s2, -7
	s_delay_alu instid0(VALU_DEP_1) | instskip(NEXT) | instid1(VALU_DEP_2)
	v_fmac_f32_e32 v63, v60, v72
	v_cmp_eq_u32_e32 vcc_lo, 13, v65
	s_delay_alu instid0(VALU_DEP_2) | instskip(SKIP_1) | instid1(SALU_CYCLE_1)
	v_dual_mov_b32 v60, s8 :: v_dual_fmac_f32 v63, v66, v73
	s_or_b32 s6, vcc_lo, s6
	s_and_not1_b32 exec_lo, exec_lo, s6
	s_cbranch_execnz .LBB76_89
; %bb.90:
	s_or_b32 exec_lo, exec_lo, s6
.LBB76_91:
	s_delay_alu instid0(SALU_CYCLE_1) | instskip(SKIP_3) | instid1(VALU_DEP_1)
	s_or_b32 exec_lo, exec_lo, s0
	v_and_b32_e32 v31, 7, v61
	s_mov_b32 s2, 0
	s_mov_b32 s0, exec_lo
	v_cmpx_ne_u32_e32 0, v31
	s_cbranch_execz .LBB76_95
; %bb.92:
	v_lshl_add_u32 v32, v60, 2, 64
	v_mov_b32_e32 v61, 0
.LBB76_93:                              ; =>This Inner Loop Header: Depth=1
	v_cmp_eq_u32_e32 vcc_lo, 1, v60
	ds_load_b32 v62, v32
	v_dual_add_nc_u32 v32, 4, v32 :: v_dual_add_nc_u32 v31, -1, v31
	v_cndmask_b32_e32 v33, v18, v19, vcc_lo
	v_cmp_eq_u32_e32 vcc_lo, 2, v60
	s_delay_alu instid0(VALU_DEP_2) | instskip(SKIP_1) | instid1(VALU_DEP_2)
	v_cndmask_b32_e32 v33, v33, v20, vcc_lo
	v_cmp_eq_u32_e32 vcc_lo, 3, v60
	v_cndmask_b32_e32 v33, v33, v21, vcc_lo
	v_cmp_eq_u32_e32 vcc_lo, 4, v60
	s_delay_alu instid0(VALU_DEP_2) | instskip(SKIP_1) | instid1(VALU_DEP_2)
	v_cndmask_b32_e32 v33, v33, v22, vcc_lo
	v_cmp_eq_u32_e32 vcc_lo, 5, v60
	;; [unrolled: 5-line block ×5, first 2 shown]
	v_cndmask_b32_e32 v33, v33, v29, vcc_lo
	v_cmp_eq_u32_e32 vcc_lo, 12, v60
	v_add_nc_u64_e32 v[60:61], 1, v[60:61]
	s_delay_alu instid0(VALU_DEP_3) | instskip(SKIP_2) | instid1(VALU_DEP_2)
	v_cndmask_b32_e32 v33, v33, v30, vcc_lo
	v_cmp_eq_u32_e32 vcc_lo, 0, v31
	s_wait_dscnt 0x0
	v_fmac_f32_e32 v63, v33, v62
	s_or_b32 s2, vcc_lo, s2
	s_delay_alu instid0(SALU_CYCLE_1)
	s_and_not1_b32 exec_lo, exec_lo, s2
	s_cbranch_execnz .LBB76_93
; %bb.94:
	s_or_b32 exec_lo, exec_lo, s2
.LBB76_95:
	s_delay_alu instid0(SALU_CYCLE_1)
	s_or_b32 exec_lo, exec_lo, s0
.LBB76_96:
	s_delay_alu instid0(SALU_CYCLE_1)
	s_or_b32 exec_lo, exec_lo, s5
	v_mov_b32_e32 v23, 0
	ds_load_b32 v23, v23 offset:20
	s_wait_dscnt 0x0
	v_mul_f32_e32 v23, v63, v23
.LBB76_97:
	s_or_b32 exec_lo, exec_lo, s4
	v_cmp_lt_u32_e64 s0, 4, v0
	ds_store_b32 v64, v22
	s_wait_dscnt 0x0
	s_barrier_signal -1
	s_barrier_wait -1
	s_and_saveexec_b32 s4, s0
	s_cbranch_execz .LBB76_113
; %bb.98:
	s_and_not1_b32 vcc_lo, exec_lo, s13
	s_cbranch_vccnz .LBB76_100
; %bb.99:
	v_cmp_eq_u32_e32 vcc_lo, 1, v0
	ds_load_b32 v61, v64
	v_cndmask_b32_e32 v60, v18, v19, vcc_lo
	v_cmp_eq_u32_e32 vcc_lo, 2, v0
	s_delay_alu instid0(VALU_DEP_2) | instskip(SKIP_1) | instid1(VALU_DEP_2)
	v_cndmask_b32_e32 v60, v60, v20, vcc_lo
	v_cmp_eq_u32_e32 vcc_lo, 3, v0
	v_cndmask_b32_e32 v60, v60, v21, vcc_lo
	v_cmp_eq_u32_e32 vcc_lo, 4, v0
	s_delay_alu instid0(VALU_DEP_2) | instskip(SKIP_1) | instid1(VALU_DEP_2)
	v_cndmask_b32_e32 v60, v60, v22, vcc_lo
	v_cmp_eq_u32_e32 vcc_lo, 5, v0
	;; [unrolled: 5-line block ×5, first 2 shown]
	v_cndmask_b32_e32 v60, v60, v29, vcc_lo
	v_cmp_eq_u32_e32 vcc_lo, 12, v0
	s_delay_alu instid0(VALU_DEP_2) | instskip(SKIP_1) | instid1(VALU_DEP_1)
	v_cndmask_b32_e32 v60, v60, v30, vcc_lo
	s_wait_dscnt 0x0
	v_mul_f32_e32 v63, v60, v61
	s_cbranch_execz .LBB76_101
	s_branch .LBB76_102
.LBB76_100:
                                        ; implicit-def: $vgpr63
.LBB76_101:
	ds_load_b32 v63, v64
.LBB76_102:
	s_and_saveexec_b32 s5, s1
	s_cbranch_execz .LBB76_112
; %bb.103:
	v_dual_add_nc_u32 v60, -6, v0 :: v_dual_add_nc_u32 v61, -5, v0
	s_delay_alu instid0(VALU_DEP_1)
	v_cmp_lt_u32_e32 vcc_lo, 6, v60
	v_mov_b32_e32 v60, 5
	s_and_saveexec_b32 s1, vcc_lo
	s_cbranch_execz .LBB76_107
; %bb.104:
	v_and_b32_e32 v60, -8, v61
	s_mov_b32 s6, 0
	s_mov_b64 s[2:3], 12
	s_movk_i32 s7, 0x54
	s_delay_alu instid0(VALU_DEP_1)
	v_sub_nc_u32_e32 v62, 0, v60
.LBB76_105:                             ; =>This Inner Loop Header: Depth=1
	s_add_co_i32 m0, s2, -7
	v_movrels_b32_e32 v65, v18
	v_mov_b32_e32 v60, s7
	s_add_co_i32 m0, s2, -6
	s_add_co_i32 s7, s7, 32
	v_movrels_b32_e32 v74, v18
	ds_load_2addr_b32 v[66:67], v60 offset1:1
	ds_load_2addr_b32 v[68:69], v60 offset0:2 offset1:3
	s_add_co_i32 m0, s2, -5
	s_wait_dscnt 0x1
	v_fmac_f32_e32 v63, v65, v66
	ds_load_2addr_b32 v[70:71], v60 offset0:4 offset1:5
	ds_load_2addr_b32 v[72:73], v60 offset0:6 offset1:7
	v_movrels_b32_e32 v60, v18
	s_add_co_i32 m0, s2, -4
	v_fmac_f32_e32 v63, v74, v67
	v_movrels_b32_e32 v65, v18
	s_add_co_i32 m0, s2, -3
	s_wait_dscnt 0x2
	s_delay_alu instid0(VALU_DEP_2) | instskip(SKIP_2) | instid1(VALU_DEP_2)
	v_fmac_f32_e32 v63, v60, v68
	v_movrels_b32_e32 v60, v18
	s_add_co_i32 m0, s2, -2
	v_fmac_f32_e32 v63, v65, v69
	v_movrels_b32_e32 v65, v18
	s_add_co_i32 m0, s2, -1
	s_wait_dscnt 0x1
	s_delay_alu instid0(VALU_DEP_2)
	v_fmac_f32_e32 v63, v60, v70
	v_movrels_b32_e32 v60, v18
	s_mov_b32 m0, s2
	s_add_nc_u64 s[2:3], s[2:3], 8
	v_movrels_b32_e32 v66, v18
	v_dual_fmac_f32 v63, v65, v71 :: v_dual_add_nc_u32 v65, s2, v62
	s_add_co_i32 s8, s2, -7
	s_wait_dscnt 0x0
	s_delay_alu instid0(VALU_DEP_1) | instskip(NEXT) | instid1(VALU_DEP_2)
	v_fmac_f32_e32 v63, v60, v72
	v_cmp_eq_u32_e32 vcc_lo, 12, v65
	s_delay_alu instid0(VALU_DEP_2) | instskip(SKIP_1) | instid1(SALU_CYCLE_1)
	v_dual_mov_b32 v60, s8 :: v_dual_fmac_f32 v63, v66, v73
	s_or_b32 s6, vcc_lo, s6
	s_and_not1_b32 exec_lo, exec_lo, s6
	s_cbranch_execnz .LBB76_105
; %bb.106:
	s_or_b32 exec_lo, exec_lo, s6
.LBB76_107:
	s_delay_alu instid0(SALU_CYCLE_1) | instskip(SKIP_3) | instid1(VALU_DEP_1)
	s_or_b32 exec_lo, exec_lo, s1
	v_and_b32_e32 v31, 7, v61
	s_mov_b32 s2, 0
	s_mov_b32 s1, exec_lo
	v_cmpx_ne_u32_e32 0, v31
	s_cbranch_execz .LBB76_111
; %bb.108:
	v_lshl_add_u32 v32, v60, 2, 64
	v_mov_b32_e32 v61, 0
.LBB76_109:                             ; =>This Inner Loop Header: Depth=1
	v_cmp_eq_u32_e32 vcc_lo, 1, v60
	ds_load_b32 v62, v32
	v_dual_add_nc_u32 v32, 4, v32 :: v_dual_add_nc_u32 v31, -1, v31
	v_cndmask_b32_e32 v33, v18, v19, vcc_lo
	v_cmp_eq_u32_e32 vcc_lo, 2, v60
	s_delay_alu instid0(VALU_DEP_2) | instskip(SKIP_1) | instid1(VALU_DEP_2)
	v_cndmask_b32_e32 v33, v33, v20, vcc_lo
	v_cmp_eq_u32_e32 vcc_lo, 3, v60
	v_cndmask_b32_e32 v33, v33, v21, vcc_lo
	v_cmp_eq_u32_e32 vcc_lo, 4, v60
	s_delay_alu instid0(VALU_DEP_2) | instskip(SKIP_1) | instid1(VALU_DEP_2)
	v_cndmask_b32_e32 v33, v33, v22, vcc_lo
	v_cmp_eq_u32_e32 vcc_lo, 5, v60
	;; [unrolled: 5-line block ×5, first 2 shown]
	v_cndmask_b32_e32 v33, v33, v29, vcc_lo
	v_cmp_eq_u32_e32 vcc_lo, 12, v60
	v_add_nc_u64_e32 v[60:61], 1, v[60:61]
	s_delay_alu instid0(VALU_DEP_3) | instskip(SKIP_2) | instid1(VALU_DEP_2)
	v_cndmask_b32_e32 v33, v33, v30, vcc_lo
	v_cmp_eq_u32_e32 vcc_lo, 0, v31
	s_wait_dscnt 0x0
	v_fmac_f32_e32 v63, v33, v62
	s_or_b32 s2, vcc_lo, s2
	s_delay_alu instid0(SALU_CYCLE_1)
	s_and_not1_b32 exec_lo, exec_lo, s2
	s_cbranch_execnz .LBB76_109
; %bb.110:
	s_or_b32 exec_lo, exec_lo, s2
.LBB76_111:
	s_delay_alu instid0(SALU_CYCLE_1)
	s_or_b32 exec_lo, exec_lo, s1
.LBB76_112:
	s_delay_alu instid0(SALU_CYCLE_1)
	s_or_b32 exec_lo, exec_lo, s5
	v_mov_b32_e32 v22, 0
	ds_load_b32 v22, v22 offset:16
	s_wait_dscnt 0x0
	v_mul_f32_e32 v22, v63, v22
.LBB76_113:
	s_or_b32 exec_lo, exec_lo, s4
	v_cmp_lt_u32_e64 s1, 3, v0
	ds_store_b32 v64, v21
	s_wait_dscnt 0x0
	s_barrier_signal -1
	s_barrier_wait -1
	s_and_saveexec_b32 s4, s1
	s_cbranch_execz .LBB76_129
; %bb.114:
	s_and_not1_b32 vcc_lo, exec_lo, s13
	s_cbranch_vccnz .LBB76_116
; %bb.115:
	v_cmp_eq_u32_e32 vcc_lo, 1, v0
	ds_load_b32 v61, v64
	v_cndmask_b32_e32 v60, v18, v19, vcc_lo
	v_cmp_eq_u32_e32 vcc_lo, 2, v0
	s_delay_alu instid0(VALU_DEP_2) | instskip(SKIP_1) | instid1(VALU_DEP_2)
	v_cndmask_b32_e32 v60, v60, v20, vcc_lo
	v_cmp_eq_u32_e32 vcc_lo, 3, v0
	v_cndmask_b32_e32 v60, v60, v21, vcc_lo
	v_cmp_eq_u32_e32 vcc_lo, 4, v0
	s_delay_alu instid0(VALU_DEP_2) | instskip(SKIP_1) | instid1(VALU_DEP_2)
	v_cndmask_b32_e32 v60, v60, v22, vcc_lo
	v_cmp_eq_u32_e32 vcc_lo, 5, v0
	;; [unrolled: 5-line block ×5, first 2 shown]
	v_cndmask_b32_e32 v60, v60, v29, vcc_lo
	v_cmp_eq_u32_e32 vcc_lo, 12, v0
	s_delay_alu instid0(VALU_DEP_2) | instskip(SKIP_1) | instid1(VALU_DEP_1)
	v_cndmask_b32_e32 v60, v60, v30, vcc_lo
	s_wait_dscnt 0x0
	v_mul_f32_e32 v63, v60, v61
	s_cbranch_execz .LBB76_117
	s_branch .LBB76_118
.LBB76_116:
                                        ; implicit-def: $vgpr63
.LBB76_117:
	ds_load_b32 v63, v64
.LBB76_118:
	s_and_saveexec_b32 s5, s0
	s_cbranch_execz .LBB76_128
; %bb.119:
	v_dual_add_nc_u32 v60, -5, v0 :: v_dual_add_nc_u32 v61, -4, v0
	s_delay_alu instid0(VALU_DEP_1)
	v_cmp_lt_u32_e32 vcc_lo, 6, v60
	v_mov_b32_e32 v60, 4
	s_and_saveexec_b32 s0, vcc_lo
	s_cbranch_execz .LBB76_123
; %bb.120:
	v_and_b32_e32 v60, -8, v61
	s_mov_b32 s6, 0
	s_mov_b64 s[2:3], 5
	s_movk_i32 s7, 0x50
	s_delay_alu instid0(VALU_DEP_1)
	v_sub_nc_u32_e32 v62, 0, v60
.LBB76_121:                             ; =>This Inner Loop Header: Depth=1
	s_add_co_i32 m0, s2, -1
	v_movrels_b32_e32 v65, v18
	v_mov_b32_e32 v60, s7
	s_mov_b32 m0, s2
	s_add_co_i32 s7, s7, 32
	v_movrels_b32_e32 v74, v18
	s_add_co_i32 m0, s2, 1
	ds_load_b128 v[66:69], v60
	ds_load_b128 v[70:73], v60 offset:16
	v_movrels_b32_e32 v60, v18
	s_add_co_i32 m0, s2, 2
	s_wait_dscnt 0x1
	v_fmac_f32_e32 v63, v65, v66
	v_movrels_b32_e32 v65, v18
	s_add_co_i32 m0, s2, 3
	s_delay_alu instid0(VALU_DEP_2) | instskip(NEXT) | instid1(VALU_DEP_1)
	v_fmac_f32_e32 v63, v74, v67
	v_fmac_f32_e32 v63, v60, v68
	v_movrels_b32_e32 v60, v18
	s_add_co_i32 m0, s2, 4
	s_delay_alu instid0(VALU_DEP_2) | instskip(SKIP_3) | instid1(VALU_DEP_2)
	v_fmac_f32_e32 v63, v65, v69
	v_movrels_b32_e32 v65, v18
	s_add_co_i32 m0, s2, 5
	s_wait_dscnt 0x0
	v_fmac_f32_e32 v63, v60, v70
	v_movrels_b32_e32 v60, v18
	s_add_co_i32 m0, s2, 6
	s_add_nc_u64 s[2:3], s[2:3], 8
	v_movrels_b32_e32 v66, v18
	v_dual_fmac_f32 v63, v65, v71 :: v_dual_add_nc_u32 v65, s2, v62
	s_add_co_i32 s8, s2, -1
	s_delay_alu instid0(VALU_DEP_1) | instskip(NEXT) | instid1(VALU_DEP_2)
	v_fmac_f32_e32 v63, v60, v72
	v_cmp_eq_u32_e32 vcc_lo, 5, v65
	s_delay_alu instid0(VALU_DEP_2) | instskip(SKIP_1) | instid1(SALU_CYCLE_1)
	v_dual_mov_b32 v60, s8 :: v_dual_fmac_f32 v63, v66, v73
	s_or_b32 s6, vcc_lo, s6
	s_and_not1_b32 exec_lo, exec_lo, s6
	s_cbranch_execnz .LBB76_121
; %bb.122:
	s_or_b32 exec_lo, exec_lo, s6
.LBB76_123:
	s_delay_alu instid0(SALU_CYCLE_1) | instskip(SKIP_3) | instid1(VALU_DEP_1)
	s_or_b32 exec_lo, exec_lo, s0
	v_and_b32_e32 v31, 7, v61
	s_mov_b32 s2, 0
	s_mov_b32 s0, exec_lo
	v_cmpx_ne_u32_e32 0, v31
	s_cbranch_execz .LBB76_127
; %bb.124:
	v_lshl_add_u32 v32, v60, 2, 64
	v_mov_b32_e32 v61, 0
.LBB76_125:                             ; =>This Inner Loop Header: Depth=1
	v_cmp_eq_u32_e32 vcc_lo, 1, v60
	ds_load_b32 v62, v32
	v_dual_add_nc_u32 v32, 4, v32 :: v_dual_add_nc_u32 v31, -1, v31
	v_cndmask_b32_e32 v33, v18, v19, vcc_lo
	v_cmp_eq_u32_e32 vcc_lo, 2, v60
	s_delay_alu instid0(VALU_DEP_2) | instskip(SKIP_1) | instid1(VALU_DEP_2)
	v_cndmask_b32_e32 v33, v33, v20, vcc_lo
	v_cmp_eq_u32_e32 vcc_lo, 3, v60
	v_cndmask_b32_e32 v33, v33, v21, vcc_lo
	v_cmp_eq_u32_e32 vcc_lo, 4, v60
	s_delay_alu instid0(VALU_DEP_2) | instskip(SKIP_1) | instid1(VALU_DEP_2)
	v_cndmask_b32_e32 v33, v33, v22, vcc_lo
	v_cmp_eq_u32_e32 vcc_lo, 5, v60
	;; [unrolled: 5-line block ×5, first 2 shown]
	v_cndmask_b32_e32 v33, v33, v29, vcc_lo
	v_cmp_eq_u32_e32 vcc_lo, 12, v60
	v_add_nc_u64_e32 v[60:61], 1, v[60:61]
	s_delay_alu instid0(VALU_DEP_3) | instskip(SKIP_2) | instid1(VALU_DEP_2)
	v_cndmask_b32_e32 v33, v33, v30, vcc_lo
	v_cmp_eq_u32_e32 vcc_lo, 0, v31
	s_wait_dscnt 0x0
	v_fmac_f32_e32 v63, v33, v62
	s_or_b32 s2, vcc_lo, s2
	s_delay_alu instid0(SALU_CYCLE_1)
	s_and_not1_b32 exec_lo, exec_lo, s2
	s_cbranch_execnz .LBB76_125
; %bb.126:
	s_or_b32 exec_lo, exec_lo, s2
.LBB76_127:
	s_delay_alu instid0(SALU_CYCLE_1)
	s_or_b32 exec_lo, exec_lo, s0
.LBB76_128:
	s_delay_alu instid0(SALU_CYCLE_1)
	s_or_b32 exec_lo, exec_lo, s5
	v_mov_b32_e32 v21, 0
	ds_load_b32 v21, v21 offset:12
	s_wait_dscnt 0x0
	v_mul_f32_e32 v21, v63, v21
.LBB76_129:
	s_or_b32 exec_lo, exec_lo, s4
	v_cmp_lt_u32_e64 s0, 2, v0
	ds_store_b32 v64, v20
	s_wait_dscnt 0x0
	s_barrier_signal -1
	s_barrier_wait -1
	s_and_saveexec_b32 s4, s0
	s_cbranch_execz .LBB76_145
; %bb.130:
	s_and_not1_b32 vcc_lo, exec_lo, s13
	s_cbranch_vccnz .LBB76_132
; %bb.131:
	v_cmp_eq_u32_e32 vcc_lo, 1, v0
	ds_load_b32 v61, v64
	v_cndmask_b32_e32 v60, v18, v19, vcc_lo
	v_cmp_eq_u32_e32 vcc_lo, 2, v0
	s_delay_alu instid0(VALU_DEP_2) | instskip(SKIP_1) | instid1(VALU_DEP_2)
	v_cndmask_b32_e32 v60, v60, v20, vcc_lo
	v_cmp_eq_u32_e32 vcc_lo, 3, v0
	v_cndmask_b32_e32 v60, v60, v21, vcc_lo
	v_cmp_eq_u32_e32 vcc_lo, 4, v0
	s_delay_alu instid0(VALU_DEP_2) | instskip(SKIP_1) | instid1(VALU_DEP_2)
	v_cndmask_b32_e32 v60, v60, v22, vcc_lo
	v_cmp_eq_u32_e32 vcc_lo, 5, v0
	;; [unrolled: 5-line block ×5, first 2 shown]
	v_cndmask_b32_e32 v60, v60, v29, vcc_lo
	v_cmp_eq_u32_e32 vcc_lo, 12, v0
	s_delay_alu instid0(VALU_DEP_2) | instskip(SKIP_1) | instid1(VALU_DEP_1)
	v_cndmask_b32_e32 v60, v60, v30, vcc_lo
	s_wait_dscnt 0x0
	v_mul_f32_e32 v63, v60, v61
	s_cbranch_execz .LBB76_133
	s_branch .LBB76_134
.LBB76_132:
                                        ; implicit-def: $vgpr63
.LBB76_133:
	ds_load_b32 v63, v64
.LBB76_134:
	s_and_saveexec_b32 s5, s1
	s_cbranch_execz .LBB76_144
; %bb.135:
	v_dual_add_nc_u32 v60, -4, v0 :: v_dual_add_nc_u32 v61, -3, v0
	s_delay_alu instid0(VALU_DEP_1)
	v_cmp_lt_u32_e32 vcc_lo, 6, v60
	v_mov_b32_e32 v60, 3
	s_and_saveexec_b32 s1, vcc_lo
	s_cbranch_execz .LBB76_139
; %bb.136:
	v_and_b32_e32 v60, -8, v61
	s_mov_b32 s6, 0
	s_mov_b64 s[2:3], 10
	s_movk_i32 s7, 0x4c
	s_delay_alu instid0(VALU_DEP_1)
	v_sub_nc_u32_e32 v62, 0, v60
.LBB76_137:                             ; =>This Inner Loop Header: Depth=1
	s_add_co_i32 m0, s2, -7
	v_movrels_b32_e32 v65, v18
	v_mov_b32_e32 v60, s7
	s_add_co_i32 m0, s2, -6
	s_add_co_i32 s7, s7, 32
	v_movrels_b32_e32 v74, v18
	ds_load_2addr_b32 v[66:67], v60 offset1:1
	ds_load_2addr_b32 v[68:69], v60 offset0:2 offset1:3
	s_add_co_i32 m0, s2, -5
	s_wait_dscnt 0x1
	v_fmac_f32_e32 v63, v65, v66
	ds_load_2addr_b32 v[70:71], v60 offset0:4 offset1:5
	ds_load_2addr_b32 v[72:73], v60 offset0:6 offset1:7
	v_movrels_b32_e32 v60, v18
	s_add_co_i32 m0, s2, -4
	v_fmac_f32_e32 v63, v74, v67
	v_movrels_b32_e32 v65, v18
	s_add_co_i32 m0, s2, -3
	s_wait_dscnt 0x2
	s_delay_alu instid0(VALU_DEP_2) | instskip(SKIP_2) | instid1(VALU_DEP_2)
	v_fmac_f32_e32 v63, v60, v68
	v_movrels_b32_e32 v60, v18
	s_add_co_i32 m0, s2, -2
	v_fmac_f32_e32 v63, v65, v69
	v_movrels_b32_e32 v65, v18
	s_add_co_i32 m0, s2, -1
	s_wait_dscnt 0x1
	s_delay_alu instid0(VALU_DEP_2)
	v_fmac_f32_e32 v63, v60, v70
	v_movrels_b32_e32 v60, v18
	s_mov_b32 m0, s2
	s_add_nc_u64 s[2:3], s[2:3], 8
	v_movrels_b32_e32 v66, v18
	v_dual_fmac_f32 v63, v65, v71 :: v_dual_add_nc_u32 v65, s2, v62
	s_add_co_i32 s8, s2, -7
	s_wait_dscnt 0x0
	s_delay_alu instid0(VALU_DEP_1) | instskip(NEXT) | instid1(VALU_DEP_2)
	v_fmac_f32_e32 v63, v60, v72
	v_cmp_eq_u32_e32 vcc_lo, 10, v65
	s_delay_alu instid0(VALU_DEP_2) | instskip(SKIP_1) | instid1(SALU_CYCLE_1)
	v_dual_mov_b32 v60, s8 :: v_dual_fmac_f32 v63, v66, v73
	s_or_b32 s6, vcc_lo, s6
	s_and_not1_b32 exec_lo, exec_lo, s6
	s_cbranch_execnz .LBB76_137
; %bb.138:
	s_or_b32 exec_lo, exec_lo, s6
.LBB76_139:
	s_delay_alu instid0(SALU_CYCLE_1) | instskip(SKIP_3) | instid1(VALU_DEP_1)
	s_or_b32 exec_lo, exec_lo, s1
	v_and_b32_e32 v31, 7, v61
	s_mov_b32 s2, 0
	s_mov_b32 s1, exec_lo
	v_cmpx_ne_u32_e32 0, v31
	s_cbranch_execz .LBB76_143
; %bb.140:
	v_lshl_add_u32 v32, v60, 2, 64
	v_mov_b32_e32 v61, 0
.LBB76_141:                             ; =>This Inner Loop Header: Depth=1
	v_cmp_eq_u32_e32 vcc_lo, 1, v60
	ds_load_b32 v62, v32
	v_dual_add_nc_u32 v32, 4, v32 :: v_dual_add_nc_u32 v31, -1, v31
	v_cndmask_b32_e32 v33, v18, v19, vcc_lo
	v_cmp_eq_u32_e32 vcc_lo, 2, v60
	s_delay_alu instid0(VALU_DEP_2) | instskip(SKIP_1) | instid1(VALU_DEP_2)
	v_cndmask_b32_e32 v33, v33, v20, vcc_lo
	v_cmp_eq_u32_e32 vcc_lo, 3, v60
	v_cndmask_b32_e32 v33, v33, v21, vcc_lo
	v_cmp_eq_u32_e32 vcc_lo, 4, v60
	s_delay_alu instid0(VALU_DEP_2) | instskip(SKIP_1) | instid1(VALU_DEP_2)
	v_cndmask_b32_e32 v33, v33, v22, vcc_lo
	v_cmp_eq_u32_e32 vcc_lo, 5, v60
	;; [unrolled: 5-line block ×5, first 2 shown]
	v_cndmask_b32_e32 v33, v33, v29, vcc_lo
	v_cmp_eq_u32_e32 vcc_lo, 12, v60
	v_add_nc_u64_e32 v[60:61], 1, v[60:61]
	s_delay_alu instid0(VALU_DEP_3) | instskip(SKIP_2) | instid1(VALU_DEP_2)
	v_cndmask_b32_e32 v33, v33, v30, vcc_lo
	v_cmp_eq_u32_e32 vcc_lo, 0, v31
	s_wait_dscnt 0x0
	v_fmac_f32_e32 v63, v33, v62
	s_or_b32 s2, vcc_lo, s2
	s_delay_alu instid0(SALU_CYCLE_1)
	s_and_not1_b32 exec_lo, exec_lo, s2
	s_cbranch_execnz .LBB76_141
; %bb.142:
	s_or_b32 exec_lo, exec_lo, s2
.LBB76_143:
	s_delay_alu instid0(SALU_CYCLE_1)
	s_or_b32 exec_lo, exec_lo, s1
.LBB76_144:
	s_delay_alu instid0(SALU_CYCLE_1)
	s_or_b32 exec_lo, exec_lo, s5
	v_mov_b32_e32 v20, 0
	ds_load_b32 v20, v20 offset:8
	s_wait_dscnt 0x0
	v_mul_f32_e32 v20, v63, v20
.LBB76_145:
	s_or_b32 exec_lo, exec_lo, s4
	v_cmp_lt_u32_e64 s1, 1, v0
	ds_store_b32 v64, v19
	s_wait_dscnt 0x0
	s_barrier_signal -1
	s_barrier_wait -1
	s_and_saveexec_b32 s4, s1
	s_cbranch_execz .LBB76_161
; %bb.146:
	s_and_not1_b32 vcc_lo, exec_lo, s13
	s_cbranch_vccnz .LBB76_148
; %bb.147:
	v_cmp_eq_u32_e32 vcc_lo, 1, v0
	ds_load_b32 v61, v64
	v_cndmask_b32_e32 v60, v18, v19, vcc_lo
	v_cmp_eq_u32_e32 vcc_lo, 2, v0
	s_delay_alu instid0(VALU_DEP_2) | instskip(SKIP_1) | instid1(VALU_DEP_2)
	v_cndmask_b32_e32 v60, v60, v20, vcc_lo
	v_cmp_eq_u32_e32 vcc_lo, 3, v0
	v_cndmask_b32_e32 v60, v60, v21, vcc_lo
	v_cmp_eq_u32_e32 vcc_lo, 4, v0
	s_delay_alu instid0(VALU_DEP_2) | instskip(SKIP_1) | instid1(VALU_DEP_2)
	v_cndmask_b32_e32 v60, v60, v22, vcc_lo
	v_cmp_eq_u32_e32 vcc_lo, 5, v0
	;; [unrolled: 5-line block ×5, first 2 shown]
	v_cndmask_b32_e32 v60, v60, v29, vcc_lo
	v_cmp_eq_u32_e32 vcc_lo, 12, v0
	s_delay_alu instid0(VALU_DEP_2) | instskip(SKIP_1) | instid1(VALU_DEP_1)
	v_cndmask_b32_e32 v60, v60, v30, vcc_lo
	s_wait_dscnt 0x0
	v_mul_f32_e32 v63, v60, v61
	s_cbranch_execz .LBB76_149
	s_branch .LBB76_150
.LBB76_148:
                                        ; implicit-def: $vgpr63
.LBB76_149:
	ds_load_b32 v63, v64
.LBB76_150:
	s_and_saveexec_b32 s5, s0
	s_cbranch_execz .LBB76_160
; %bb.151:
	v_dual_add_nc_u32 v60, -3, v0 :: v_dual_add_nc_u32 v61, -2, v0
	s_delay_alu instid0(VALU_DEP_1)
	v_cmp_lt_u32_e32 vcc_lo, 6, v60
	v_mov_b32_e32 v60, 2
	s_and_saveexec_b32 s0, vcc_lo
	s_cbranch_execz .LBB76_155
; %bb.152:
	v_and_b32_e32 v60, -8, v61
	s_mov_b32 s6, 0
	s_mov_b64 s[2:3], 9
	s_movk_i32 s7, 0x48
	s_delay_alu instid0(VALU_DEP_1)
	v_sub_nc_u32_e32 v62, 0, v60
.LBB76_153:                             ; =>This Inner Loop Header: Depth=1
	s_add_co_i32 m0, s2, -7
	v_movrels_b32_e32 v65, v18
	v_mov_b32_e32 v60, s7
	s_add_co_i32 m0, s2, -6
	s_add_co_i32 s7, s7, 32
	v_movrels_b32_e32 v74, v18
	s_add_co_i32 m0, s2, -5
	ds_load_2addr_b64 v[66:69], v60 offset1:1
	ds_load_2addr_b64 v[70:73], v60 offset0:2 offset1:3
	v_movrels_b32_e32 v60, v18
	s_add_co_i32 m0, s2, -4
	s_wait_dscnt 0x1
	v_fmac_f32_e32 v63, v65, v66
	v_movrels_b32_e32 v65, v18
	s_add_co_i32 m0, s2, -3
	s_delay_alu instid0(VALU_DEP_2) | instskip(NEXT) | instid1(VALU_DEP_1)
	v_fmac_f32_e32 v63, v74, v67
	v_fmac_f32_e32 v63, v60, v68
	v_movrels_b32_e32 v60, v18
	s_add_co_i32 m0, s2, -2
	s_delay_alu instid0(VALU_DEP_2) | instskip(SKIP_3) | instid1(VALU_DEP_2)
	v_fmac_f32_e32 v63, v65, v69
	v_movrels_b32_e32 v65, v18
	s_add_co_i32 m0, s2, -1
	s_wait_dscnt 0x0
	v_fmac_f32_e32 v63, v60, v70
	v_movrels_b32_e32 v60, v18
	s_mov_b32 m0, s2
	s_add_nc_u64 s[2:3], s[2:3], 8
	v_movrels_b32_e32 v66, v18
	v_dual_fmac_f32 v63, v65, v71 :: v_dual_add_nc_u32 v65, s2, v62
	s_add_co_i32 s8, s2, -7
	s_delay_alu instid0(VALU_DEP_1) | instskip(NEXT) | instid1(VALU_DEP_2)
	v_fmac_f32_e32 v63, v60, v72
	v_cmp_eq_u32_e32 vcc_lo, 9, v65
	s_delay_alu instid0(VALU_DEP_2) | instskip(SKIP_1) | instid1(SALU_CYCLE_1)
	v_dual_mov_b32 v60, s8 :: v_dual_fmac_f32 v63, v66, v73
	s_or_b32 s6, vcc_lo, s6
	s_and_not1_b32 exec_lo, exec_lo, s6
	s_cbranch_execnz .LBB76_153
; %bb.154:
	s_or_b32 exec_lo, exec_lo, s6
.LBB76_155:
	s_delay_alu instid0(SALU_CYCLE_1) | instskip(SKIP_3) | instid1(VALU_DEP_1)
	s_or_b32 exec_lo, exec_lo, s0
	v_and_b32_e32 v31, 7, v61
	s_mov_b32 s2, 0
	s_mov_b32 s0, exec_lo
	v_cmpx_ne_u32_e32 0, v31
	s_cbranch_execz .LBB76_159
; %bb.156:
	v_lshl_add_u32 v32, v60, 2, 64
	v_mov_b32_e32 v61, 0
.LBB76_157:                             ; =>This Inner Loop Header: Depth=1
	v_cmp_eq_u32_e32 vcc_lo, 1, v60
	ds_load_b32 v62, v32
	v_dual_add_nc_u32 v32, 4, v32 :: v_dual_add_nc_u32 v31, -1, v31
	v_cndmask_b32_e32 v33, v18, v19, vcc_lo
	v_cmp_eq_u32_e32 vcc_lo, 2, v60
	s_delay_alu instid0(VALU_DEP_2) | instskip(SKIP_1) | instid1(VALU_DEP_2)
	v_cndmask_b32_e32 v33, v33, v20, vcc_lo
	v_cmp_eq_u32_e32 vcc_lo, 3, v60
	v_cndmask_b32_e32 v33, v33, v21, vcc_lo
	v_cmp_eq_u32_e32 vcc_lo, 4, v60
	s_delay_alu instid0(VALU_DEP_2) | instskip(SKIP_1) | instid1(VALU_DEP_2)
	v_cndmask_b32_e32 v33, v33, v22, vcc_lo
	v_cmp_eq_u32_e32 vcc_lo, 5, v60
	;; [unrolled: 5-line block ×5, first 2 shown]
	v_cndmask_b32_e32 v33, v33, v29, vcc_lo
	v_cmp_eq_u32_e32 vcc_lo, 12, v60
	v_add_nc_u64_e32 v[60:61], 1, v[60:61]
	s_delay_alu instid0(VALU_DEP_3) | instskip(SKIP_2) | instid1(VALU_DEP_2)
	v_cndmask_b32_e32 v33, v33, v30, vcc_lo
	v_cmp_eq_u32_e32 vcc_lo, 0, v31
	s_wait_dscnt 0x0
	v_fmac_f32_e32 v63, v33, v62
	s_or_b32 s2, vcc_lo, s2
	s_delay_alu instid0(SALU_CYCLE_1)
	s_and_not1_b32 exec_lo, exec_lo, s2
	s_cbranch_execnz .LBB76_157
; %bb.158:
	s_or_b32 exec_lo, exec_lo, s2
.LBB76_159:
	s_delay_alu instid0(SALU_CYCLE_1)
	s_or_b32 exec_lo, exec_lo, s0
.LBB76_160:
	s_delay_alu instid0(SALU_CYCLE_1)
	s_or_b32 exec_lo, exec_lo, s5
	v_mov_b32_e32 v19, 0
	ds_load_b32 v19, v19 offset:4
	s_wait_dscnt 0x0
	v_mul_f32_e32 v19, v63, v19
.LBB76_161:
	s_or_b32 exec_lo, exec_lo, s4
	s_mov_b32 s2, 0
	s_mov_b32 s3, exec_lo
	ds_store_b32 v64, v18
	s_wait_dscnt 0x0
	s_barrier_signal -1
	s_barrier_wait -1
	v_cmpx_ne_u32_e32 0, v0
	s_cbranch_execz .LBB76_177
; %bb.162:
	s_and_not1_b32 vcc_lo, exec_lo, s13
	s_cbranch_vccnz .LBB76_164
; %bb.163:
	v_cmp_eq_u32_e32 vcc_lo, 1, v0
	ds_load_b32 v61, v64
	v_cndmask_b32_e32 v60, v18, v19, vcc_lo
	v_cmp_eq_u32_e32 vcc_lo, 2, v0
	s_delay_alu instid0(VALU_DEP_2) | instskip(SKIP_1) | instid1(VALU_DEP_2)
	v_cndmask_b32_e32 v60, v60, v20, vcc_lo
	v_cmp_eq_u32_e32 vcc_lo, 3, v0
	v_cndmask_b32_e32 v60, v60, v21, vcc_lo
	v_cmp_eq_u32_e32 vcc_lo, 4, v0
	s_delay_alu instid0(VALU_DEP_2) | instskip(SKIP_1) | instid1(VALU_DEP_2)
	v_cndmask_b32_e32 v60, v60, v22, vcc_lo
	v_cmp_eq_u32_e32 vcc_lo, 5, v0
	;; [unrolled: 5-line block ×5, first 2 shown]
	v_cndmask_b32_e32 v60, v60, v29, vcc_lo
	v_cmp_eq_u32_e32 vcc_lo, 12, v0
	s_delay_alu instid0(VALU_DEP_2) | instskip(SKIP_1) | instid1(VALU_DEP_1)
	v_cndmask_b32_e32 v60, v60, v30, vcc_lo
	s_wait_dscnt 0x0
	v_mul_f32_e32 v63, v60, v61
	s_cbranch_execz .LBB76_165
	s_branch .LBB76_166
.LBB76_164:
                                        ; implicit-def: $vgpr63
.LBB76_165:
	ds_load_b32 v63, v64
.LBB76_166:
	s_and_saveexec_b32 s4, s1
	s_cbranch_execz .LBB76_176
; %bb.167:
	v_dual_add_nc_u32 v60, -2, v0 :: v_dual_add_nc_u32 v61, -1, v0
	s_delay_alu instid0(VALU_DEP_1)
	v_cmp_lt_u32_e32 vcc_lo, 6, v60
	v_mov_b32_e32 v60, 1
	s_and_saveexec_b32 s5, vcc_lo
	s_cbranch_execz .LBB76_171
; %bb.168:
	v_and_b32_e32 v60, -8, v61
	s_mov_b32 s6, 0
	s_mov_b64 s[0:1], 8
	s_movk_i32 s7, 0x44
	s_delay_alu instid0(VALU_DEP_1)
	v_sub_nc_u32_e32 v62, 0, v60
.LBB76_169:                             ; =>This Inner Loop Header: Depth=1
	s_add_co_i32 m0, s0, -7
	v_movrels_b32_e32 v65, v18
	v_mov_b32_e32 v60, s7
	s_add_co_i32 m0, s0, -6
	s_add_co_i32 s7, s7, 32
	v_movrels_b32_e32 v74, v18
	ds_load_2addr_b32 v[66:67], v60 offset1:1
	ds_load_2addr_b32 v[68:69], v60 offset0:2 offset1:3
	s_add_co_i32 m0, s0, -5
	s_wait_dscnt 0x1
	v_fmac_f32_e32 v63, v65, v66
	ds_load_2addr_b32 v[70:71], v60 offset0:4 offset1:5
	ds_load_2addr_b32 v[72:73], v60 offset0:6 offset1:7
	v_movrels_b32_e32 v60, v18
	s_add_co_i32 m0, s0, -4
	v_fmac_f32_e32 v63, v74, v67
	v_movrels_b32_e32 v65, v18
	s_add_co_i32 m0, s0, -3
	s_wait_dscnt 0x2
	s_delay_alu instid0(VALU_DEP_2) | instskip(SKIP_2) | instid1(VALU_DEP_2)
	v_fmac_f32_e32 v63, v60, v68
	v_movrels_b32_e32 v60, v18
	s_add_co_i32 m0, s0, -2
	v_fmac_f32_e32 v63, v65, v69
	v_movrels_b32_e32 v65, v18
	s_add_co_i32 m0, s0, -1
	s_wait_dscnt 0x1
	s_delay_alu instid0(VALU_DEP_2)
	v_fmac_f32_e32 v63, v60, v70
	v_movrels_b32_e32 v60, v18
	s_mov_b32 m0, s0
	s_add_nc_u64 s[0:1], s[0:1], 8
	v_movrels_b32_e32 v66, v18
	v_dual_fmac_f32 v63, v65, v71 :: v_dual_add_nc_u32 v65, s0, v62
	s_add_co_i32 s8, s0, -7
	s_wait_dscnt 0x0
	s_delay_alu instid0(VALU_DEP_1) | instskip(NEXT) | instid1(VALU_DEP_2)
	v_fmac_f32_e32 v63, v60, v72
	v_cmp_eq_u32_e32 vcc_lo, 8, v65
	s_delay_alu instid0(VALU_DEP_2) | instskip(SKIP_1) | instid1(SALU_CYCLE_1)
	v_dual_mov_b32 v60, s8 :: v_dual_fmac_f32 v63, v66, v73
	s_or_b32 s6, vcc_lo, s6
	s_and_not1_b32 exec_lo, exec_lo, s6
	s_cbranch_execnz .LBB76_169
; %bb.170:
	s_or_b32 exec_lo, exec_lo, s6
.LBB76_171:
	s_delay_alu instid0(SALU_CYCLE_1) | instskip(SKIP_3) | instid1(VALU_DEP_1)
	s_or_b32 exec_lo, exec_lo, s5
	v_and_b32_e32 v31, 7, v61
	s_mov_b32 s1, 0
	s_mov_b32 s0, exec_lo
	v_cmpx_ne_u32_e32 0, v31
	s_cbranch_execz .LBB76_175
; %bb.172:
	v_lshl_add_u32 v32, v60, 2, 64
	v_mov_b32_e32 v61, 0
.LBB76_173:                             ; =>This Inner Loop Header: Depth=1
	v_cmp_eq_u32_e32 vcc_lo, 1, v60
	ds_load_b32 v62, v32
	v_dual_add_nc_u32 v32, 4, v32 :: v_dual_add_nc_u32 v31, -1, v31
	v_cndmask_b32_e32 v33, v18, v19, vcc_lo
	v_cmp_eq_u32_e32 vcc_lo, 2, v60
	s_delay_alu instid0(VALU_DEP_2) | instskip(SKIP_1) | instid1(VALU_DEP_2)
	v_cndmask_b32_e32 v33, v33, v20, vcc_lo
	v_cmp_eq_u32_e32 vcc_lo, 3, v60
	v_cndmask_b32_e32 v33, v33, v21, vcc_lo
	v_cmp_eq_u32_e32 vcc_lo, 4, v60
	s_delay_alu instid0(VALU_DEP_2) | instskip(SKIP_1) | instid1(VALU_DEP_2)
	v_cndmask_b32_e32 v33, v33, v22, vcc_lo
	v_cmp_eq_u32_e32 vcc_lo, 5, v60
	;; [unrolled: 5-line block ×5, first 2 shown]
	v_cndmask_b32_e32 v33, v33, v29, vcc_lo
	v_cmp_eq_u32_e32 vcc_lo, 12, v60
	v_add_nc_u64_e32 v[60:61], 1, v[60:61]
	s_delay_alu instid0(VALU_DEP_3) | instskip(SKIP_2) | instid1(VALU_DEP_2)
	v_cndmask_b32_e32 v33, v33, v30, vcc_lo
	v_cmp_eq_u32_e32 vcc_lo, 0, v31
	s_wait_dscnt 0x0
	v_fmac_f32_e32 v63, v33, v62
	s_or_b32 s1, vcc_lo, s1
	s_delay_alu instid0(SALU_CYCLE_1)
	s_and_not1_b32 exec_lo, exec_lo, s1
	s_cbranch_execnz .LBB76_173
; %bb.174:
	s_or_b32 exec_lo, exec_lo, s1
.LBB76_175:
	s_delay_alu instid0(SALU_CYCLE_1)
	s_or_b32 exec_lo, exec_lo, s0
.LBB76_176:
	s_delay_alu instid0(SALU_CYCLE_1)
	s_or_b32 exec_lo, exec_lo, s4
	v_mov_b32_e32 v18, 0
	ds_load_b32 v18, v18
	s_wait_dscnt 0x0
	v_mul_f32_e32 v18, v63, v18
.LBB76_177:
	s_or_b32 exec_lo, exec_lo, s3
	s_delay_alu instid0(SALU_CYCLE_1)
	s_and_b32 vcc_lo, exec_lo, s2
	s_cbranch_vccz .LBB76_301
.LBB76_178:
	v_cmp_eq_u32_e64 s0, 0, v0
	s_wait_loadcnt_dscnt 0xc0d
	ds_store_b32 v64, v3
	s_wait_loadcnt_dscnt 0x0
	s_barrier_signal -1
	s_barrier_wait -1
	s_and_saveexec_b32 s1, s0
	s_cbranch_execz .LBB76_184
; %bb.179:
	s_and_b32 vcc_lo, exec_lo, s13
	s_cbranch_vccz .LBB76_181
; %bb.180:
	v_cmp_eq_u32_e32 vcc_lo, 1, v0
	ds_load_b32 v15, v64
	v_cndmask_b32_e32 v3, v2, v3, vcc_lo
	v_cmp_eq_u32_e32 vcc_lo, 2, v0
	s_delay_alu instid0(VALU_DEP_2) | instskip(SKIP_1) | instid1(VALU_DEP_2)
	v_cndmask_b32_e32 v3, v3, v4, vcc_lo
	v_cmp_eq_u32_e32 vcc_lo, 3, v0
	v_cndmask_b32_e32 v3, v3, v5, vcc_lo
	v_cmp_eq_u32_e32 vcc_lo, 4, v0
	s_delay_alu instid0(VALU_DEP_2) | instskip(SKIP_1) | instid1(VALU_DEP_2)
	v_cndmask_b32_e32 v3, v3, v6, vcc_lo
	v_cmp_eq_u32_e32 vcc_lo, 5, v0
	;; [unrolled: 5-line block ×5, first 2 shown]
	v_cndmask_b32_e32 v3, v3, v13, vcc_lo
	v_cmp_eq_u32_e32 vcc_lo, 12, v0
	s_delay_alu instid0(VALU_DEP_2) | instskip(SKIP_1) | instid1(VALU_DEP_1)
	v_cndmask_b32_e32 v3, v3, v14, vcc_lo
	s_wait_dscnt 0x0
	v_mul_f32_e32 v3, v3, v15
	s_cbranch_execz .LBB76_182
	s_branch .LBB76_183
.LBB76_181:
                                        ; implicit-def: $vgpr3
.LBB76_182:
	ds_load_b32 v3, v64
.LBB76_183:
	v_mov_b32_e32 v15, 0
	ds_load_b32 v15, v15 offset:4
	s_wait_dscnt 0x0
	v_mul_f32_e32 v3, v3, v15
.LBB76_184:
	s_or_b32 exec_lo, exec_lo, s1
	v_cndmask_b32_e64 v18, 0, 1, s13
	s_mov_b32 s1, exec_lo
	ds_store_b32 v64, v4
	s_wait_dscnt 0x0
	s_barrier_signal -1
	s_barrier_wait -1
	v_cmpx_gt_u32_e32 2, v0
	s_cbranch_execz .LBB76_190
; %bb.185:
	s_and_not1_b32 vcc_lo, exec_lo, s13
	s_cbranch_vccnz .LBB76_187
; %bb.186:
	v_cmp_eq_u32_e32 vcc_lo, 1, v0
	v_cndmask_b32_e32 v15, v2, v3, vcc_lo
	v_cmp_eq_u32_e32 vcc_lo, 2, v0
	s_delay_alu instid0(VALU_DEP_2) | instskip(SKIP_4) | instid1(VALU_DEP_2)
	v_cndmask_b32_e32 v4, v15, v4, vcc_lo
	v_cmp_eq_u32_e32 vcc_lo, 3, v0
	ds_load_b32 v15, v64
	v_cndmask_b32_e32 v4, v4, v5, vcc_lo
	v_cmp_eq_u32_e32 vcc_lo, 4, v0
	v_cndmask_b32_e32 v4, v4, v6, vcc_lo
	v_cmp_eq_u32_e32 vcc_lo, 5, v0
	s_delay_alu instid0(VALU_DEP_2) | instskip(SKIP_1) | instid1(VALU_DEP_2)
	v_cndmask_b32_e32 v4, v4, v7, vcc_lo
	v_cmp_eq_u32_e32 vcc_lo, 6, v0
	v_cndmask_b32_e32 v4, v4, v8, vcc_lo
	v_cmp_eq_u32_e32 vcc_lo, 7, v0
	s_delay_alu instid0(VALU_DEP_2) | instskip(SKIP_1) | instid1(VALU_DEP_2)
	;; [unrolled: 5-line block ×4, first 2 shown]
	v_cndmask_b32_e32 v4, v4, v13, vcc_lo
	v_cmp_eq_u32_e32 vcc_lo, 12, v0
	v_cndmask_b32_e32 v4, v4, v14, vcc_lo
	s_wait_dscnt 0x0
	s_delay_alu instid0(VALU_DEP_1)
	v_mul_f32_e32 v4, v4, v15
	s_cbranch_execz .LBB76_188
	s_branch .LBB76_189
.LBB76_187:
                                        ; implicit-def: $vgpr4
.LBB76_188:
	ds_load_b32 v4, v64
.LBB76_189:
	v_mov_b32_e32 v15, 0
	ds_load_2addr_b32 v[16:17], v15 offset0:2 offset1:17
	s_wait_dscnt 0x0
	v_fma_f32 v15, v3, v17, v4
	s_delay_alu instid0(VALU_DEP_1) | instskip(NEXT) | instid1(VALU_DEP_1)
	v_cndmask_b32_e64 v4, v4, v15, s0
	v_mul_f32_e32 v4, v4, v16
.LBB76_190:
	s_or_b32 exec_lo, exec_lo, s1
	v_add_nc_u32_e32 v19, 1, v0
	v_cmp_gt_u32_e64 s1, 3, v0
	ds_store_b32 v64, v5
	s_wait_dscnt 0x0
	s_barrier_signal -1
	s_barrier_wait -1
	s_and_saveexec_b32 s2, s1
	s_cbranch_execz .LBB76_198
; %bb.191:
	v_cmp_ne_u32_e32 vcc_lo, 1, v18
	s_cbranch_vccnz .LBB76_193
; %bb.192:
	v_cmp_eq_u32_e32 vcc_lo, 1, v0
	ds_load_b32 v16, v64
	v_cndmask_b32_e32 v15, v2, v3, vcc_lo
	v_cmp_eq_u32_e32 vcc_lo, 2, v0
	s_delay_alu instid0(VALU_DEP_2) | instskip(SKIP_1) | instid1(VALU_DEP_2)
	v_cndmask_b32_e32 v15, v15, v4, vcc_lo
	v_cmp_eq_u32_e32 vcc_lo, 3, v0
	v_cndmask_b32_e32 v15, v15, v5, vcc_lo
	v_cmp_eq_u32_e32 vcc_lo, 4, v0
	s_delay_alu instid0(VALU_DEP_2) | instskip(SKIP_1) | instid1(VALU_DEP_2)
	v_cndmask_b32_e32 v15, v15, v6, vcc_lo
	v_cmp_eq_u32_e32 vcc_lo, 5, v0
	;; [unrolled: 5-line block ×5, first 2 shown]
	v_cndmask_b32_e32 v15, v15, v13, vcc_lo
	v_cmp_eq_u32_e32 vcc_lo, 12, v0
	s_delay_alu instid0(VALU_DEP_2) | instskip(SKIP_1) | instid1(VALU_DEP_1)
	v_cndmask_b32_e32 v15, v15, v14, vcc_lo
	s_wait_dscnt 0x0
	v_mul_f32_e32 v15, v15, v16
	s_cbranch_execz .LBB76_194
	s_branch .LBB76_195
.LBB76_193:
                                        ; implicit-def: $vgpr15
.LBB76_194:
	ds_load_b32 v15, v64
.LBB76_195:
	s_mov_b32 s3, exec_lo
	v_cmpx_ne_u32_e32 2, v0
	s_cbranch_execz .LBB76_197
; %bb.196:
	v_cmp_eq_u32_e32 vcc_lo, 1, v19
	v_dual_mov_b32 v17, 0 :: v_dual_cndmask_b32 v16, v2, v3
	v_cmp_eq_u32_e32 vcc_lo, 2, v19
	ds_load_b32 v17, v17 offset:72
	v_cndmask_b32_e32 v16, v16, v4, vcc_lo
	v_cmp_eq_u32_e32 vcc_lo, 3, v19
	s_delay_alu instid0(VALU_DEP_2) | instskip(SKIP_4) | instid1(VALU_DEP_2)
	v_cndmask_b32_e32 v5, v16, v5, vcc_lo
	v_cmp_eq_u32_e32 vcc_lo, 4, v19
	ds_load_b32 v16, v64 offset:4
	v_cndmask_b32_e32 v5, v5, v6, vcc_lo
	v_cmp_eq_u32_e32 vcc_lo, 5, v19
	v_cndmask_b32_e32 v5, v5, v7, vcc_lo
	v_cmp_eq_u32_e32 vcc_lo, 6, v19
	s_delay_alu instid0(VALU_DEP_2) | instskip(SKIP_1) | instid1(VALU_DEP_2)
	v_cndmask_b32_e32 v5, v5, v8, vcc_lo
	v_cmp_eq_u32_e32 vcc_lo, 7, v19
	v_cndmask_b32_e32 v5, v5, v9, vcc_lo
	v_cmp_eq_u32_e32 vcc_lo, 8, v19
	s_delay_alu instid0(VALU_DEP_2) | instskip(SKIP_1) | instid1(VALU_DEP_2)
	;; [unrolled: 5-line block ×3, first 2 shown]
	v_cndmask_b32_e32 v5, v5, v12, vcc_lo
	v_cmp_eq_u32_e32 vcc_lo, 11, v19
	v_cndmask_b32_e32 v5, v5, v13, vcc_lo
	v_cmp_eq_u32_e32 vcc_lo, 12, v19
	s_delay_alu instid0(VALU_DEP_2) | instskip(SKIP_1) | instid1(VALU_DEP_1)
	v_cndmask_b32_e32 v5, v5, v14, vcc_lo
	s_wait_dscnt 0x0
	v_fmac_f32_e32 v15, v5, v16
	s_delay_alu instid0(VALU_DEP_1) | instskip(NEXT) | instid1(VALU_DEP_1)
	v_fma_f32 v5, v4, v17, v15
	v_cndmask_b32_e64 v15, v15, v5, s0
.LBB76_197:
	s_or_b32 exec_lo, exec_lo, s3
	v_mov_b32_e32 v5, 0
	ds_load_b32 v5, v5 offset:12
	s_wait_dscnt 0x0
	v_mul_f32_e32 v5, v15, v5
.LBB76_198:
	s_or_b32 exec_lo, exec_lo, s2
	s_delay_alu instid0(SALU_CYCLE_1)
	s_mov_b32 s2, exec_lo
	ds_store_b32 v64, v6
	s_wait_dscnt 0x0
	s_barrier_signal -1
	s_barrier_wait -1
	v_cmpx_gt_u32_e32 4, v0
	s_cbranch_execz .LBB76_208
; %bb.199:
	v_cmp_ne_u32_e32 vcc_lo, 1, v18
	s_cbranch_vccnz .LBB76_201
; %bb.200:
	v_cmp_eq_u32_e32 vcc_lo, 1, v0
	ds_load_b32 v16, v64
	v_cndmask_b32_e32 v15, v2, v3, vcc_lo
	v_cmp_eq_u32_e32 vcc_lo, 2, v0
	s_delay_alu instid0(VALU_DEP_2) | instskip(SKIP_1) | instid1(VALU_DEP_2)
	v_cndmask_b32_e32 v15, v15, v4, vcc_lo
	v_cmp_eq_u32_e32 vcc_lo, 3, v0
	v_cndmask_b32_e32 v15, v15, v5, vcc_lo
	v_cmp_eq_u32_e32 vcc_lo, 4, v0
	s_delay_alu instid0(VALU_DEP_2) | instskip(SKIP_1) | instid1(VALU_DEP_2)
	v_cndmask_b32_e32 v15, v15, v6, vcc_lo
	v_cmp_eq_u32_e32 vcc_lo, 5, v0
	v_cndmask_b32_e32 v15, v15, v7, vcc_lo
	v_cmp_eq_u32_e32 vcc_lo, 6, v0
	s_delay_alu instid0(VALU_DEP_2) | instskip(SKIP_1) | instid1(VALU_DEP_2)
	v_cndmask_b32_e32 v15, v15, v8, vcc_lo
	v_cmp_eq_u32_e32 vcc_lo, 7, v0
	v_cndmask_b32_e32 v15, v15, v9, vcc_lo
	v_cmp_eq_u32_e32 vcc_lo, 8, v0
	s_delay_alu instid0(VALU_DEP_2) | instskip(SKIP_1) | instid1(VALU_DEP_2)
	v_cndmask_b32_e32 v15, v15, v10, vcc_lo
	v_cmp_eq_u32_e32 vcc_lo, 9, v0
	v_cndmask_b32_e32 v15, v15, v11, vcc_lo
	v_cmp_eq_u32_e32 vcc_lo, 10, v0
	s_delay_alu instid0(VALU_DEP_2) | instskip(SKIP_1) | instid1(VALU_DEP_2)
	v_cndmask_b32_e32 v15, v15, v12, vcc_lo
	v_cmp_eq_u32_e32 vcc_lo, 11, v0
	v_cndmask_b32_e32 v15, v15, v13, vcc_lo
	v_cmp_eq_u32_e32 vcc_lo, 12, v0
	s_delay_alu instid0(VALU_DEP_2) | instskip(SKIP_1) | instid1(VALU_DEP_1)
	v_cndmask_b32_e32 v15, v15, v14, vcc_lo
	s_wait_dscnt 0x0
	v_mul_f32_e32 v15, v15, v16
	s_cbranch_execz .LBB76_202
	s_branch .LBB76_203
.LBB76_201:
                                        ; implicit-def: $vgpr15
.LBB76_202:
	ds_load_b32 v15, v64
.LBB76_203:
	s_mov_b32 s3, exec_lo
	v_cmpx_ne_u32_e32 3, v0
	s_cbranch_execz .LBB76_207
; %bb.204:
	v_mov_b64_e32 v[16:17], v[0:1]
	v_lshl_add_u32 v20, v0, 2, 0x44
	s_mov_b32 s4, 0
.LBB76_205:                             ; =>This Inner Loop Header: Depth=1
	s_delay_alu instid0(VALU_DEP_2)
	v_add_nc_u64_e32 v[16:17], 1, v[16:17]
	ds_load_b32 v22, v20
	v_add_nc_u32_e32 v20, 4, v20
	v_cmp_eq_u32_e32 vcc_lo, 1, v16
	v_cndmask_b32_e32 v21, v2, v3, vcc_lo
	v_cmp_eq_u32_e32 vcc_lo, 2, v16
	s_delay_alu instid0(VALU_DEP_2) | instskip(SKIP_1) | instid1(VALU_DEP_2)
	v_cndmask_b32_e32 v21, v21, v4, vcc_lo
	v_cmp_eq_u32_e32 vcc_lo, 3, v16
	v_cndmask_b32_e32 v21, v21, v5, vcc_lo
	v_cmp_eq_u32_e32 vcc_lo, 4, v16
	s_delay_alu instid0(VALU_DEP_2) | instskip(SKIP_1) | instid1(VALU_DEP_2)
	v_cndmask_b32_e32 v21, v21, v6, vcc_lo
	;; [unrolled: 5-line block ×5, first 2 shown]
	v_cmp_eq_u32_e32 vcc_lo, 11, v16
	v_cndmask_b32_e32 v21, v21, v13, vcc_lo
	v_cmp_eq_u32_e32 vcc_lo, 12, v16
	s_delay_alu instid0(VALU_DEP_2) | instskip(SKIP_2) | instid1(VALU_DEP_2)
	v_cndmask_b32_e32 v21, v21, v14, vcc_lo
	v_cmp_lt_u32_e32 vcc_lo, 2, v16
	s_wait_dscnt 0x0
	v_fmac_f32_e32 v15, v21, v22
	s_or_b32 s4, vcc_lo, s4
	s_delay_alu instid0(SALU_CYCLE_1)
	s_and_not1_b32 exec_lo, exec_lo, s4
	s_cbranch_execnz .LBB76_205
; %bb.206:
	s_or_b32 exec_lo, exec_lo, s4
.LBB76_207:
	s_delay_alu instid0(SALU_CYCLE_1)
	s_or_b32 exec_lo, exec_lo, s3
	v_mov_b32_e32 v6, 0
	ds_load_b32 v6, v6 offset:16
	s_wait_dscnt 0x0
	v_mul_f32_e32 v6, v15, v6
.LBB76_208:
	s_or_b32 exec_lo, exec_lo, s2
	v_cmp_gt_u32_e64 s2, 5, v0
	ds_store_b32 v64, v7
	s_wait_dscnt 0x0
	s_barrier_signal -1
	s_barrier_wait -1
	s_and_saveexec_b32 s3, s2
	s_cbranch_execz .LBB76_218
; %bb.209:
	v_cmp_ne_u32_e32 vcc_lo, 1, v18
	s_cbranch_vccnz .LBB76_211
; %bb.210:
	v_cmp_eq_u32_e32 vcc_lo, 1, v0
	ds_load_b32 v16, v64
	v_cndmask_b32_e32 v15, v2, v3, vcc_lo
	v_cmp_eq_u32_e32 vcc_lo, 2, v0
	s_delay_alu instid0(VALU_DEP_2) | instskip(SKIP_1) | instid1(VALU_DEP_2)
	v_cndmask_b32_e32 v15, v15, v4, vcc_lo
	v_cmp_eq_u32_e32 vcc_lo, 3, v0
	v_cndmask_b32_e32 v15, v15, v5, vcc_lo
	v_cmp_eq_u32_e32 vcc_lo, 4, v0
	s_delay_alu instid0(VALU_DEP_2) | instskip(SKIP_1) | instid1(VALU_DEP_2)
	v_cndmask_b32_e32 v15, v15, v6, vcc_lo
	v_cmp_eq_u32_e32 vcc_lo, 5, v0
	;; [unrolled: 5-line block ×5, first 2 shown]
	v_cndmask_b32_e32 v15, v15, v13, vcc_lo
	v_cmp_eq_u32_e32 vcc_lo, 12, v0
	s_delay_alu instid0(VALU_DEP_2) | instskip(SKIP_1) | instid1(VALU_DEP_1)
	v_cndmask_b32_e32 v15, v15, v14, vcc_lo
	s_wait_dscnt 0x0
	v_mul_f32_e32 v15, v15, v16
	s_cbranch_execz .LBB76_212
	s_branch .LBB76_213
.LBB76_211:
                                        ; implicit-def: $vgpr15
.LBB76_212:
	ds_load_b32 v15, v64
.LBB76_213:
	s_mov_b32 s4, exec_lo
	v_cmpx_ne_u32_e32 4, v0
	s_cbranch_execz .LBB76_217
; %bb.214:
	v_mov_b64_e32 v[16:17], v[0:1]
	v_lshl_add_u32 v20, v0, 2, 0x44
	s_mov_b32 s5, 0
.LBB76_215:                             ; =>This Inner Loop Header: Depth=1
	s_delay_alu instid0(VALU_DEP_2)
	v_add_nc_u64_e32 v[16:17], 1, v[16:17]
	ds_load_b32 v22, v20
	v_add_nc_u32_e32 v20, 4, v20
	v_cmp_eq_u32_e32 vcc_lo, 1, v16
	v_cndmask_b32_e32 v21, v2, v3, vcc_lo
	v_cmp_eq_u32_e32 vcc_lo, 2, v16
	s_delay_alu instid0(VALU_DEP_2) | instskip(SKIP_1) | instid1(VALU_DEP_2)
	v_cndmask_b32_e32 v21, v21, v4, vcc_lo
	v_cmp_eq_u32_e32 vcc_lo, 3, v16
	v_cndmask_b32_e32 v21, v21, v5, vcc_lo
	v_cmp_eq_u32_e32 vcc_lo, 4, v16
	s_delay_alu instid0(VALU_DEP_2) | instskip(SKIP_1) | instid1(VALU_DEP_2)
	v_cndmask_b32_e32 v21, v21, v6, vcc_lo
	;; [unrolled: 5-line block ×5, first 2 shown]
	v_cmp_eq_u32_e32 vcc_lo, 11, v16
	v_cndmask_b32_e32 v21, v21, v13, vcc_lo
	v_cmp_eq_u32_e32 vcc_lo, 12, v16
	s_delay_alu instid0(VALU_DEP_2) | instskip(SKIP_2) | instid1(VALU_DEP_2)
	v_cndmask_b32_e32 v21, v21, v14, vcc_lo
	v_cmp_lt_u32_e32 vcc_lo, 3, v16
	s_wait_dscnt 0x0
	v_fmac_f32_e32 v15, v21, v22
	s_or_b32 s5, vcc_lo, s5
	s_delay_alu instid0(SALU_CYCLE_1)
	s_and_not1_b32 exec_lo, exec_lo, s5
	s_cbranch_execnz .LBB76_215
; %bb.216:
	s_or_b32 exec_lo, exec_lo, s5
.LBB76_217:
	s_delay_alu instid0(SALU_CYCLE_1)
	s_or_b32 exec_lo, exec_lo, s4
	v_mov_b32_e32 v7, 0
	ds_load_b32 v7, v7 offset:20
	s_wait_dscnt 0x0
	v_mul_f32_e32 v7, v15, v7
.LBB76_218:
	s_or_b32 exec_lo, exec_lo, s3
	s_delay_alu instid0(SALU_CYCLE_1)
	s_mov_b32 s3, exec_lo
	ds_store_b32 v64, v8
	s_wait_dscnt 0x0
	s_barrier_signal -1
	s_barrier_wait -1
	v_cmpx_gt_u32_e32 6, v0
	s_cbranch_execz .LBB76_228
; %bb.219:
	v_cmp_ne_u32_e32 vcc_lo, 1, v18
	s_cbranch_vccnz .LBB76_221
; %bb.220:
	v_cmp_eq_u32_e32 vcc_lo, 1, v0
	ds_load_b32 v16, v64
	v_cndmask_b32_e32 v15, v2, v3, vcc_lo
	v_cmp_eq_u32_e32 vcc_lo, 2, v0
	s_delay_alu instid0(VALU_DEP_2) | instskip(SKIP_1) | instid1(VALU_DEP_2)
	v_cndmask_b32_e32 v15, v15, v4, vcc_lo
	v_cmp_eq_u32_e32 vcc_lo, 3, v0
	v_cndmask_b32_e32 v15, v15, v5, vcc_lo
	v_cmp_eq_u32_e32 vcc_lo, 4, v0
	s_delay_alu instid0(VALU_DEP_2) | instskip(SKIP_1) | instid1(VALU_DEP_2)
	v_cndmask_b32_e32 v15, v15, v6, vcc_lo
	v_cmp_eq_u32_e32 vcc_lo, 5, v0
	;; [unrolled: 5-line block ×5, first 2 shown]
	v_cndmask_b32_e32 v15, v15, v13, vcc_lo
	v_cmp_eq_u32_e32 vcc_lo, 12, v0
	s_delay_alu instid0(VALU_DEP_2) | instskip(SKIP_1) | instid1(VALU_DEP_1)
	v_cndmask_b32_e32 v15, v15, v14, vcc_lo
	s_wait_dscnt 0x0
	v_mul_f32_e32 v15, v15, v16
	s_cbranch_execz .LBB76_222
	s_branch .LBB76_223
.LBB76_221:
                                        ; implicit-def: $vgpr15
.LBB76_222:
	ds_load_b32 v15, v64
.LBB76_223:
	s_mov_b32 s4, exec_lo
	v_cmpx_ne_u32_e32 5, v0
	s_cbranch_execz .LBB76_227
; %bb.224:
	v_mov_b64_e32 v[16:17], v[0:1]
	v_lshl_add_u32 v20, v0, 2, 0x44
	s_mov_b32 s5, 0
.LBB76_225:                             ; =>This Inner Loop Header: Depth=1
	s_delay_alu instid0(VALU_DEP_2)
	v_add_nc_u64_e32 v[16:17], 1, v[16:17]
	ds_load_b32 v22, v20
	v_add_nc_u32_e32 v20, 4, v20
	v_cmp_eq_u32_e32 vcc_lo, 1, v16
	v_cndmask_b32_e32 v21, v2, v3, vcc_lo
	v_cmp_eq_u32_e32 vcc_lo, 2, v16
	s_delay_alu instid0(VALU_DEP_2) | instskip(SKIP_1) | instid1(VALU_DEP_2)
	v_cndmask_b32_e32 v21, v21, v4, vcc_lo
	v_cmp_eq_u32_e32 vcc_lo, 3, v16
	v_cndmask_b32_e32 v21, v21, v5, vcc_lo
	v_cmp_eq_u32_e32 vcc_lo, 4, v16
	s_delay_alu instid0(VALU_DEP_2) | instskip(SKIP_1) | instid1(VALU_DEP_2)
	v_cndmask_b32_e32 v21, v21, v6, vcc_lo
	;; [unrolled: 5-line block ×5, first 2 shown]
	v_cmp_eq_u32_e32 vcc_lo, 11, v16
	v_cndmask_b32_e32 v21, v21, v13, vcc_lo
	v_cmp_eq_u32_e32 vcc_lo, 12, v16
	s_delay_alu instid0(VALU_DEP_2) | instskip(SKIP_2) | instid1(VALU_DEP_2)
	v_cndmask_b32_e32 v21, v21, v14, vcc_lo
	v_cmp_lt_u32_e32 vcc_lo, 4, v16
	s_wait_dscnt 0x0
	v_fmac_f32_e32 v15, v21, v22
	s_or_b32 s5, vcc_lo, s5
	s_delay_alu instid0(SALU_CYCLE_1)
	s_and_not1_b32 exec_lo, exec_lo, s5
	s_cbranch_execnz .LBB76_225
; %bb.226:
	s_or_b32 exec_lo, exec_lo, s5
.LBB76_227:
	s_delay_alu instid0(SALU_CYCLE_1)
	s_or_b32 exec_lo, exec_lo, s4
	v_mov_b32_e32 v8, 0
	ds_load_b32 v8, v8 offset:24
	s_wait_dscnt 0x0
	v_mul_f32_e32 v8, v15, v8
.LBB76_228:
	s_or_b32 exec_lo, exec_lo, s3
	v_cmp_gt_u32_e64 s3, 7, v0
	ds_store_b32 v64, v9
	s_wait_dscnt 0x0
	s_barrier_signal -1
	s_barrier_wait -1
	s_and_saveexec_b32 s4, s3
	s_cbranch_execz .LBB76_238
; %bb.229:
	v_cmp_ne_u32_e32 vcc_lo, 1, v18
	s_cbranch_vccnz .LBB76_231
; %bb.230:
	v_cmp_eq_u32_e32 vcc_lo, 1, v0
	ds_load_b32 v16, v64
	v_cndmask_b32_e32 v15, v2, v3, vcc_lo
	v_cmp_eq_u32_e32 vcc_lo, 2, v0
	s_delay_alu instid0(VALU_DEP_2) | instskip(SKIP_1) | instid1(VALU_DEP_2)
	v_cndmask_b32_e32 v15, v15, v4, vcc_lo
	v_cmp_eq_u32_e32 vcc_lo, 3, v0
	v_cndmask_b32_e32 v15, v15, v5, vcc_lo
	v_cmp_eq_u32_e32 vcc_lo, 4, v0
	s_delay_alu instid0(VALU_DEP_2) | instskip(SKIP_1) | instid1(VALU_DEP_2)
	v_cndmask_b32_e32 v15, v15, v6, vcc_lo
	v_cmp_eq_u32_e32 vcc_lo, 5, v0
	;; [unrolled: 5-line block ×5, first 2 shown]
	v_cndmask_b32_e32 v15, v15, v13, vcc_lo
	v_cmp_eq_u32_e32 vcc_lo, 12, v0
	s_delay_alu instid0(VALU_DEP_2) | instskip(SKIP_1) | instid1(VALU_DEP_1)
	v_cndmask_b32_e32 v15, v15, v14, vcc_lo
	s_wait_dscnt 0x0
	v_mul_f32_e32 v15, v15, v16
	s_cbranch_execz .LBB76_232
	s_branch .LBB76_233
.LBB76_231:
                                        ; implicit-def: $vgpr15
.LBB76_232:
	ds_load_b32 v15, v64
.LBB76_233:
	s_mov_b32 s5, exec_lo
	v_cmpx_ne_u32_e32 6, v0
	s_cbranch_execz .LBB76_237
; %bb.234:
	v_mov_b64_e32 v[16:17], v[0:1]
	v_lshl_add_u32 v20, v0, 2, 0x44
	s_mov_b32 s6, 0
.LBB76_235:                             ; =>This Inner Loop Header: Depth=1
	s_delay_alu instid0(VALU_DEP_2)
	v_add_nc_u64_e32 v[16:17], 1, v[16:17]
	ds_load_b32 v22, v20
	v_add_nc_u32_e32 v20, 4, v20
	v_cmp_eq_u32_e32 vcc_lo, 1, v16
	v_cndmask_b32_e32 v21, v2, v3, vcc_lo
	v_cmp_eq_u32_e32 vcc_lo, 2, v16
	s_delay_alu instid0(VALU_DEP_2) | instskip(SKIP_1) | instid1(VALU_DEP_2)
	v_cndmask_b32_e32 v21, v21, v4, vcc_lo
	v_cmp_eq_u32_e32 vcc_lo, 3, v16
	v_cndmask_b32_e32 v21, v21, v5, vcc_lo
	v_cmp_eq_u32_e32 vcc_lo, 4, v16
	s_delay_alu instid0(VALU_DEP_2) | instskip(SKIP_1) | instid1(VALU_DEP_2)
	v_cndmask_b32_e32 v21, v21, v6, vcc_lo
	;; [unrolled: 5-line block ×5, first 2 shown]
	v_cmp_eq_u32_e32 vcc_lo, 11, v16
	v_cndmask_b32_e32 v21, v21, v13, vcc_lo
	v_cmp_eq_u32_e32 vcc_lo, 12, v16
	s_delay_alu instid0(VALU_DEP_2) | instskip(SKIP_2) | instid1(VALU_DEP_2)
	v_cndmask_b32_e32 v21, v21, v14, vcc_lo
	v_cmp_lt_u32_e32 vcc_lo, 5, v16
	s_wait_dscnt 0x0
	v_fmac_f32_e32 v15, v21, v22
	s_or_b32 s6, vcc_lo, s6
	s_delay_alu instid0(SALU_CYCLE_1)
	s_and_not1_b32 exec_lo, exec_lo, s6
	s_cbranch_execnz .LBB76_235
; %bb.236:
	s_or_b32 exec_lo, exec_lo, s6
.LBB76_237:
	s_delay_alu instid0(SALU_CYCLE_1)
	s_or_b32 exec_lo, exec_lo, s5
	v_mov_b32_e32 v9, 0
	ds_load_b32 v9, v9 offset:28
	s_wait_dscnt 0x0
	v_mul_f32_e32 v9, v15, v9
.LBB76_238:
	s_or_b32 exec_lo, exec_lo, s4
	s_delay_alu instid0(SALU_CYCLE_1)
	s_mov_b32 s4, exec_lo
	ds_store_b32 v64, v10
	s_wait_dscnt 0x0
	s_barrier_signal -1
	s_barrier_wait -1
	v_cmpx_gt_u32_e32 8, v0
	s_cbranch_execz .LBB76_248
; %bb.239:
	v_cmp_ne_u32_e32 vcc_lo, 1, v18
	s_cbranch_vccnz .LBB76_241
; %bb.240:
	v_cmp_eq_u32_e32 vcc_lo, 1, v0
	ds_load_b32 v16, v64
	v_cndmask_b32_e32 v15, v2, v3, vcc_lo
	v_cmp_eq_u32_e32 vcc_lo, 2, v0
	s_delay_alu instid0(VALU_DEP_2) | instskip(SKIP_1) | instid1(VALU_DEP_2)
	v_cndmask_b32_e32 v15, v15, v4, vcc_lo
	v_cmp_eq_u32_e32 vcc_lo, 3, v0
	v_cndmask_b32_e32 v15, v15, v5, vcc_lo
	v_cmp_eq_u32_e32 vcc_lo, 4, v0
	s_delay_alu instid0(VALU_DEP_2) | instskip(SKIP_1) | instid1(VALU_DEP_2)
	v_cndmask_b32_e32 v15, v15, v6, vcc_lo
	v_cmp_eq_u32_e32 vcc_lo, 5, v0
	;; [unrolled: 5-line block ×5, first 2 shown]
	v_cndmask_b32_e32 v15, v15, v13, vcc_lo
	v_cmp_eq_u32_e32 vcc_lo, 12, v0
	s_delay_alu instid0(VALU_DEP_2) | instskip(SKIP_1) | instid1(VALU_DEP_1)
	v_cndmask_b32_e32 v15, v15, v14, vcc_lo
	s_wait_dscnt 0x0
	v_mul_f32_e32 v15, v15, v16
	s_cbranch_execz .LBB76_242
	s_branch .LBB76_243
.LBB76_241:
                                        ; implicit-def: $vgpr15
.LBB76_242:
	ds_load_b32 v15, v64
.LBB76_243:
	s_mov_b32 s5, exec_lo
	v_cmpx_ne_u32_e32 7, v0
	s_cbranch_execz .LBB76_247
; %bb.244:
	v_mov_b64_e32 v[16:17], v[0:1]
	v_lshl_add_u32 v20, v0, 2, 0x44
	s_mov_b32 s6, 0
.LBB76_245:                             ; =>This Inner Loop Header: Depth=1
	s_delay_alu instid0(VALU_DEP_2)
	v_add_nc_u64_e32 v[16:17], 1, v[16:17]
	ds_load_b32 v22, v20
	v_add_nc_u32_e32 v20, 4, v20
	v_cmp_eq_u32_e32 vcc_lo, 1, v16
	v_cndmask_b32_e32 v21, v2, v3, vcc_lo
	v_cmp_eq_u32_e32 vcc_lo, 2, v16
	s_delay_alu instid0(VALU_DEP_2) | instskip(SKIP_1) | instid1(VALU_DEP_2)
	v_cndmask_b32_e32 v21, v21, v4, vcc_lo
	v_cmp_eq_u32_e32 vcc_lo, 3, v16
	v_cndmask_b32_e32 v21, v21, v5, vcc_lo
	v_cmp_eq_u32_e32 vcc_lo, 4, v16
	s_delay_alu instid0(VALU_DEP_2) | instskip(SKIP_1) | instid1(VALU_DEP_2)
	v_cndmask_b32_e32 v21, v21, v6, vcc_lo
	;; [unrolled: 5-line block ×5, first 2 shown]
	v_cmp_eq_u32_e32 vcc_lo, 11, v16
	v_cndmask_b32_e32 v21, v21, v13, vcc_lo
	v_cmp_eq_u32_e32 vcc_lo, 12, v16
	s_delay_alu instid0(VALU_DEP_2) | instskip(SKIP_2) | instid1(VALU_DEP_2)
	v_cndmask_b32_e32 v21, v21, v14, vcc_lo
	v_cmp_lt_u32_e32 vcc_lo, 6, v16
	s_wait_dscnt 0x0
	v_fmac_f32_e32 v15, v21, v22
	s_or_b32 s6, vcc_lo, s6
	s_delay_alu instid0(SALU_CYCLE_1)
	s_and_not1_b32 exec_lo, exec_lo, s6
	s_cbranch_execnz .LBB76_245
; %bb.246:
	s_or_b32 exec_lo, exec_lo, s6
.LBB76_247:
	s_delay_alu instid0(SALU_CYCLE_1)
	s_or_b32 exec_lo, exec_lo, s5
	v_mov_b32_e32 v10, 0
	ds_load_b32 v10, v10 offset:32
	s_wait_dscnt 0x0
	v_mul_f32_e32 v10, v15, v10
.LBB76_248:
	s_or_b32 exec_lo, exec_lo, s4
	s_delay_alu instid0(SALU_CYCLE_1)
	s_mov_b32 s4, exec_lo
	ds_store_b32 v64, v11
	s_wait_dscnt 0x0
	s_barrier_signal -1
	s_barrier_wait -1
	v_cmpx_gt_u32_e32 9, v0
	s_cbranch_execz .LBB76_270
; %bb.249:
	v_cmp_ne_u32_e32 vcc_lo, 1, v18
	s_cbranch_vccnz .LBB76_251
; %bb.250:
	v_cmp_eq_u32_e32 vcc_lo, 1, v0
	ds_load_b32 v16, v64
	v_cndmask_b32_e32 v15, v2, v3, vcc_lo
	v_cmp_eq_u32_e32 vcc_lo, 2, v0
	s_delay_alu instid0(VALU_DEP_2) | instskip(SKIP_1) | instid1(VALU_DEP_2)
	v_cndmask_b32_e32 v15, v15, v4, vcc_lo
	v_cmp_eq_u32_e32 vcc_lo, 3, v0
	v_cndmask_b32_e32 v15, v15, v5, vcc_lo
	v_cmp_eq_u32_e32 vcc_lo, 4, v0
	s_delay_alu instid0(VALU_DEP_2) | instskip(SKIP_1) | instid1(VALU_DEP_2)
	v_cndmask_b32_e32 v15, v15, v6, vcc_lo
	v_cmp_eq_u32_e32 vcc_lo, 5, v0
	;; [unrolled: 5-line block ×5, first 2 shown]
	v_cndmask_b32_e32 v15, v15, v13, vcc_lo
	v_cmp_eq_u32_e32 vcc_lo, 12, v0
	s_delay_alu instid0(VALU_DEP_2) | instskip(SKIP_1) | instid1(VALU_DEP_1)
	v_cndmask_b32_e32 v15, v15, v14, vcc_lo
	s_wait_dscnt 0x0
	v_mul_f32_e32 v15, v15, v16
	s_cbranch_execz .LBB76_252
	s_branch .LBB76_253
.LBB76_251:
                                        ; implicit-def: $vgpr15
.LBB76_252:
	ds_load_b32 v15, v64
.LBB76_253:
	s_mov_b32 s5, exec_lo
	v_cmpx_ne_u32_e32 8, v0
	s_cbranch_execz .LBB76_269
; %bb.254:
	v_cmp_eq_u32_e32 vcc_lo, 1, v19
	ds_load_b32 v17, v64 offset:4
	v_cndmask_b32_e32 v16, v2, v3, vcc_lo
	v_cmp_eq_u32_e32 vcc_lo, 2, v19
	s_delay_alu instid0(VALU_DEP_2) | instskip(SKIP_1) | instid1(VALU_DEP_2)
	v_cndmask_b32_e32 v16, v16, v4, vcc_lo
	v_cmp_eq_u32_e32 vcc_lo, 3, v19
	v_cndmask_b32_e32 v16, v16, v5, vcc_lo
	v_cmp_eq_u32_e32 vcc_lo, 4, v19
	s_delay_alu instid0(VALU_DEP_2) | instskip(SKIP_1) | instid1(VALU_DEP_2)
	v_cndmask_b32_e32 v16, v16, v6, vcc_lo
	v_cmp_eq_u32_e32 vcc_lo, 5, v19
	v_cndmask_b32_e32 v16, v16, v7, vcc_lo
	v_cmp_eq_u32_e32 vcc_lo, 6, v19
	s_delay_alu instid0(VALU_DEP_2) | instskip(SKIP_1) | instid1(VALU_DEP_2)
	v_cndmask_b32_e32 v16, v16, v8, vcc_lo
	v_cmp_eq_u32_e32 vcc_lo, 7, v19
	v_cndmask_b32_e32 v16, v16, v9, vcc_lo
	v_cmp_eq_u32_e32 vcc_lo, 8, v19
	s_delay_alu instid0(VALU_DEP_2) | instskip(SKIP_1) | instid1(VALU_DEP_2)
	v_cndmask_b32_e32 v16, v16, v10, vcc_lo
	v_cmp_eq_u32_e32 vcc_lo, 9, v19
	v_cndmask_b32_e32 v16, v16, v11, vcc_lo
	v_cmp_eq_u32_e32 vcc_lo, 10, v19
	s_delay_alu instid0(VALU_DEP_2) | instskip(SKIP_1) | instid1(VALU_DEP_2)
	v_cndmask_b32_e32 v16, v16, v12, vcc_lo
	v_cmp_eq_u32_e32 vcc_lo, 11, v19
	v_cndmask_b32_e32 v16, v16, v13, vcc_lo
	v_cmp_eq_u32_e32 vcc_lo, 12, v19
	s_delay_alu instid0(VALU_DEP_2) | instskip(SKIP_1) | instid1(VALU_DEP_1)
	v_cndmask_b32_e32 v16, v16, v14, vcc_lo
	s_wait_dscnt 0x0
	v_fmac_f32_e32 v15, v16, v17
	s_and_saveexec_b32 s6, s3
	s_cbranch_execz .LBB76_268
; %bb.255:
	v_add_nc_u32_e32 v16, 2, v0
	ds_load_b32 v19, v64 offset:8
	s_mov_b32 s3, exec_lo
	v_cmp_eq_u32_e32 vcc_lo, 1, v16
	v_cndmask_b32_e32 v17, v2, v3, vcc_lo
	v_cmp_eq_u32_e32 vcc_lo, 2, v16
	s_delay_alu instid0(VALU_DEP_2) | instskip(SKIP_1) | instid1(VALU_DEP_2)
	v_cndmask_b32_e32 v17, v17, v4, vcc_lo
	v_cmp_eq_u32_e32 vcc_lo, 3, v16
	v_cndmask_b32_e32 v17, v17, v5, vcc_lo
	v_cmp_eq_u32_e32 vcc_lo, 4, v16
	s_delay_alu instid0(VALU_DEP_2) | instskip(SKIP_1) | instid1(VALU_DEP_2)
	v_cndmask_b32_e32 v17, v17, v6, vcc_lo
	;; [unrolled: 5-line block ×5, first 2 shown]
	v_cmp_eq_u32_e32 vcc_lo, 11, v16
	v_cndmask_b32_e32 v17, v17, v13, vcc_lo
	v_cmp_eq_u32_e32 vcc_lo, 12, v16
	s_delay_alu instid0(VALU_DEP_2) | instskip(SKIP_1) | instid1(VALU_DEP_1)
	v_cndmask_b32_e32 v16, v17, v14, vcc_lo
	s_wait_dscnt 0x0
	v_fmac_f32_e32 v15, v16, v19
	v_cmpx_ne_u32_e32 6, v0
	s_cbranch_execz .LBB76_267
; %bb.256:
	v_add_nc_u32_e32 v16, 3, v0
	ds_load_b32 v19, v64 offset:12
	v_cmp_eq_u32_e32 vcc_lo, 1, v16
	v_cndmask_b32_e32 v17, v2, v3, vcc_lo
	v_cmp_eq_u32_e32 vcc_lo, 2, v16
	s_delay_alu instid0(VALU_DEP_2) | instskip(SKIP_1) | instid1(VALU_DEP_2)
	v_cndmask_b32_e32 v17, v17, v4, vcc_lo
	v_cmp_eq_u32_e32 vcc_lo, 3, v16
	v_cndmask_b32_e32 v17, v17, v5, vcc_lo
	v_cmp_eq_u32_e32 vcc_lo, 4, v16
	s_delay_alu instid0(VALU_DEP_2) | instskip(SKIP_1) | instid1(VALU_DEP_2)
	v_cndmask_b32_e32 v17, v17, v6, vcc_lo
	;; [unrolled: 5-line block ×5, first 2 shown]
	v_cmp_eq_u32_e32 vcc_lo, 11, v16
	v_cndmask_b32_e32 v17, v17, v13, vcc_lo
	v_cmp_eq_u32_e32 vcc_lo, 12, v16
	s_delay_alu instid0(VALU_DEP_2) | instskip(SKIP_1) | instid1(VALU_DEP_1)
	v_cndmask_b32_e32 v16, v17, v14, vcc_lo
	s_wait_dscnt 0x0
	v_fmac_f32_e32 v15, v16, v19
	s_and_saveexec_b32 s7, s2
	s_cbranch_execz .LBB76_266
; %bb.257:
	v_add_nc_u32_e32 v16, 4, v0
	ds_load_b32 v19, v64 offset:16
	s_mov_b32 s2, exec_lo
	v_cmp_eq_u32_e32 vcc_lo, 1, v16
	v_cndmask_b32_e32 v17, v2, v3, vcc_lo
	v_cmp_eq_u32_e32 vcc_lo, 2, v16
	s_delay_alu instid0(VALU_DEP_2) | instskip(SKIP_1) | instid1(VALU_DEP_2)
	v_cndmask_b32_e32 v17, v17, v4, vcc_lo
	v_cmp_eq_u32_e32 vcc_lo, 3, v16
	v_cndmask_b32_e32 v17, v17, v5, vcc_lo
	v_cmp_eq_u32_e32 vcc_lo, 4, v16
	s_delay_alu instid0(VALU_DEP_2) | instskip(SKIP_1) | instid1(VALU_DEP_2)
	v_cndmask_b32_e32 v17, v17, v6, vcc_lo
	;; [unrolled: 5-line block ×5, first 2 shown]
	v_cmp_eq_u32_e32 vcc_lo, 11, v16
	v_cndmask_b32_e32 v17, v17, v13, vcc_lo
	v_cmp_eq_u32_e32 vcc_lo, 12, v16
	s_delay_alu instid0(VALU_DEP_2) | instskip(SKIP_1) | instid1(VALU_DEP_1)
	v_cndmask_b32_e32 v16, v17, v14, vcc_lo
	s_wait_dscnt 0x0
	v_fmac_f32_e32 v15, v16, v19
	v_cmpx_ne_u32_e32 4, v0
	s_cbranch_execz .LBB76_265
; %bb.258:
	v_add_nc_u32_e32 v16, 5, v0
	ds_load_b32 v19, v64 offset:20
	v_cmp_eq_u32_e32 vcc_lo, 1, v16
	v_cndmask_b32_e32 v17, v2, v3, vcc_lo
	v_cmp_eq_u32_e32 vcc_lo, 2, v16
	s_delay_alu instid0(VALU_DEP_2) | instskip(SKIP_1) | instid1(VALU_DEP_2)
	v_cndmask_b32_e32 v17, v17, v4, vcc_lo
	v_cmp_eq_u32_e32 vcc_lo, 3, v16
	v_cndmask_b32_e32 v17, v17, v5, vcc_lo
	v_cmp_eq_u32_e32 vcc_lo, 4, v16
	s_delay_alu instid0(VALU_DEP_2) | instskip(SKIP_1) | instid1(VALU_DEP_2)
	v_cndmask_b32_e32 v17, v17, v6, vcc_lo
	;; [unrolled: 5-line block ×5, first 2 shown]
	v_cmp_eq_u32_e32 vcc_lo, 11, v16
	v_cndmask_b32_e32 v17, v17, v13, vcc_lo
	v_cmp_eq_u32_e32 vcc_lo, 12, v16
	s_delay_alu instid0(VALU_DEP_2) | instskip(SKIP_1) | instid1(VALU_DEP_1)
	v_cndmask_b32_e32 v16, v17, v14, vcc_lo
	s_wait_dscnt 0x0
	v_fmac_f32_e32 v15, v16, v19
	s_and_saveexec_b32 s8, s1
	s_cbranch_execz .LBB76_264
; %bb.259:
	v_add_nc_u32_e32 v16, 6, v0
	ds_load_b32 v19, v64 offset:24
	s_mov_b32 s1, exec_lo
	v_cmp_eq_u32_e32 vcc_lo, 1, v16
	v_cndmask_b32_e32 v17, v2, v3, vcc_lo
	v_cmp_eq_u32_e32 vcc_lo, 2, v16
	s_delay_alu instid0(VALU_DEP_2) | instskip(SKIP_1) | instid1(VALU_DEP_2)
	v_cndmask_b32_e32 v17, v17, v4, vcc_lo
	v_cmp_eq_u32_e32 vcc_lo, 3, v16
	v_cndmask_b32_e32 v17, v17, v5, vcc_lo
	v_cmp_eq_u32_e32 vcc_lo, 4, v16
	s_delay_alu instid0(VALU_DEP_2) | instskip(SKIP_1) | instid1(VALU_DEP_2)
	v_cndmask_b32_e32 v17, v17, v6, vcc_lo
	;; [unrolled: 5-line block ×5, first 2 shown]
	v_cmp_eq_u32_e32 vcc_lo, 11, v16
	v_cndmask_b32_e32 v17, v17, v13, vcc_lo
	v_cmp_eq_u32_e32 vcc_lo, 12, v16
	s_delay_alu instid0(VALU_DEP_2) | instskip(SKIP_1) | instid1(VALU_DEP_1)
	v_cndmask_b32_e32 v16, v17, v14, vcc_lo
	s_wait_dscnt 0x0
	v_fmac_f32_e32 v15, v16, v19
	v_cmpx_ne_u32_e32 2, v0
	s_cbranch_execz .LBB76_263
; %bb.260:
	v_add_nc_u32_e32 v16, 7, v0
	s_delay_alu instid0(VALU_DEP_1) | instskip(SKIP_2) | instid1(VALU_DEP_2)
	v_cmp_eq_u32_e32 vcc_lo, 1, v16
	v_cndmask_b32_e32 v17, v2, v3, vcc_lo
	v_cmp_eq_u32_e32 vcc_lo, 2, v16
	v_cndmask_b32_e32 v17, v17, v4, vcc_lo
	v_cmp_eq_u32_e32 vcc_lo, 3, v16
	s_delay_alu instid0(VALU_DEP_2) | instskip(SKIP_1) | instid1(VALU_DEP_2)
	v_cndmask_b32_e32 v17, v17, v5, vcc_lo
	v_cmp_eq_u32_e32 vcc_lo, 4, v16
	v_cndmask_b32_e32 v17, v17, v6, vcc_lo
	v_cmp_eq_u32_e32 vcc_lo, 5, v16
	s_delay_alu instid0(VALU_DEP_2) | instskip(SKIP_1) | instid1(VALU_DEP_2)
	;; [unrolled: 5-line block ×3, first 2 shown]
	v_cndmask_b32_e32 v17, v17, v9, vcc_lo
	v_cmp_eq_u32_e32 vcc_lo, 8, v16
	v_cndmask_b32_e32 v17, v17, v10, vcc_lo
	v_cmp_eq_u32_e32 vcc_lo, 9, v16
	s_delay_alu instid0(VALU_DEP_2) | instskip(SKIP_4) | instid1(VALU_DEP_2)
	v_cndmask_b32_e32 v11, v17, v11, vcc_lo
	ds_load_b32 v17, v64 offset:28
	v_cmp_eq_u32_e32 vcc_lo, 10, v16
	v_cndmask_b32_e32 v11, v11, v12, vcc_lo
	v_cmp_eq_u32_e32 vcc_lo, 11, v16
	v_cndmask_b32_e32 v11, v11, v13, vcc_lo
	v_cmp_eq_u32_e32 vcc_lo, 12, v16
	s_delay_alu instid0(VALU_DEP_2) | instskip(SKIP_1) | instid1(VALU_DEP_1)
	v_cndmask_b32_e32 v11, v11, v14, vcc_lo
	s_wait_dscnt 0x0
	v_fmac_f32_e32 v15, v11, v17
	s_and_saveexec_b32 s9, s0
	s_cbranch_execz .LBB76_262
; %bb.261:
	ds_load_b32 v11, v64 offset:32
	s_wait_dscnt 0x0
	v_fmac_f32_e32 v15, v10, v11
.LBB76_262:
	s_or_b32 exec_lo, exec_lo, s9
.LBB76_263:
	s_delay_alu instid0(SALU_CYCLE_1)
	s_or_b32 exec_lo, exec_lo, s1
.LBB76_264:
	s_delay_alu instid0(SALU_CYCLE_1)
	s_or_b32 exec_lo, exec_lo, s8
.LBB76_265:
	s_delay_alu instid0(SALU_CYCLE_1)
	s_or_b32 exec_lo, exec_lo, s2
.LBB76_266:
	s_delay_alu instid0(SALU_CYCLE_1)
	s_or_b32 exec_lo, exec_lo, s7
.LBB76_267:
	s_delay_alu instid0(SALU_CYCLE_1)
	s_or_b32 exec_lo, exec_lo, s3
.LBB76_268:
	s_delay_alu instid0(SALU_CYCLE_1)
	s_or_b32 exec_lo, exec_lo, s6
.LBB76_269:
	s_delay_alu instid0(SALU_CYCLE_1)
	s_or_b32 exec_lo, exec_lo, s5
	v_mov_b32_e32 v11, 0
	ds_load_b32 v11, v11 offset:36
	s_wait_dscnt 0x0
	v_mul_f32_e32 v11, v15, v11
.LBB76_270:
	s_or_b32 exec_lo, exec_lo, s4
	s_delay_alu instid0(SALU_CYCLE_1)
	s_mov_b32 s0, exec_lo
	ds_store_b32 v64, v12
	s_wait_dscnt 0x0
	s_barrier_signal -1
	s_barrier_wait -1
	v_cmpx_gt_u32_e32 10, v0
	s_cbranch_execz .LBB76_280
; %bb.271:
	v_cmp_ne_u32_e32 vcc_lo, 1, v18
	s_cbranch_vccnz .LBB76_273
; %bb.272:
	v_cmp_eq_u32_e32 vcc_lo, 1, v0
	ds_load_b32 v16, v64
	v_cndmask_b32_e32 v15, v2, v3, vcc_lo
	v_cmp_eq_u32_e32 vcc_lo, 2, v0
	s_delay_alu instid0(VALU_DEP_2) | instskip(SKIP_1) | instid1(VALU_DEP_2)
	v_cndmask_b32_e32 v15, v15, v4, vcc_lo
	v_cmp_eq_u32_e32 vcc_lo, 3, v0
	v_cndmask_b32_e32 v15, v15, v5, vcc_lo
	v_cmp_eq_u32_e32 vcc_lo, 4, v0
	s_delay_alu instid0(VALU_DEP_2) | instskip(SKIP_1) | instid1(VALU_DEP_2)
	v_cndmask_b32_e32 v15, v15, v6, vcc_lo
	v_cmp_eq_u32_e32 vcc_lo, 5, v0
	;; [unrolled: 5-line block ×5, first 2 shown]
	v_cndmask_b32_e32 v15, v15, v13, vcc_lo
	v_cmp_eq_u32_e32 vcc_lo, 12, v0
	s_delay_alu instid0(VALU_DEP_2) | instskip(SKIP_1) | instid1(VALU_DEP_1)
	v_cndmask_b32_e32 v15, v15, v14, vcc_lo
	s_wait_dscnt 0x0
	v_mul_f32_e32 v15, v15, v16
	s_cbranch_execz .LBB76_274
	s_branch .LBB76_275
.LBB76_273:
                                        ; implicit-def: $vgpr15
.LBB76_274:
	ds_load_b32 v15, v64
.LBB76_275:
	s_mov_b32 s1, exec_lo
	v_cmpx_ne_u32_e32 9, v0
	s_cbranch_execz .LBB76_279
; %bb.276:
	v_mov_b64_e32 v[16:17], v[0:1]
	v_lshl_add_u32 v19, v0, 2, 0x44
	s_mov_b32 s2, 0
.LBB76_277:                             ; =>This Inner Loop Header: Depth=1
	s_delay_alu instid0(VALU_DEP_2)
	v_add_nc_u64_e32 v[16:17], 1, v[16:17]
	ds_load_b32 v21, v19
	v_add_nc_u32_e32 v19, 4, v19
	v_cmp_eq_u32_e32 vcc_lo, 1, v16
	v_cndmask_b32_e32 v20, v2, v3, vcc_lo
	v_cmp_eq_u32_e32 vcc_lo, 2, v16
	s_delay_alu instid0(VALU_DEP_2) | instskip(SKIP_1) | instid1(VALU_DEP_2)
	v_cndmask_b32_e32 v20, v20, v4, vcc_lo
	v_cmp_eq_u32_e32 vcc_lo, 3, v16
	v_cndmask_b32_e32 v20, v20, v5, vcc_lo
	v_cmp_eq_u32_e32 vcc_lo, 4, v16
	s_delay_alu instid0(VALU_DEP_2) | instskip(SKIP_1) | instid1(VALU_DEP_2)
	v_cndmask_b32_e32 v20, v20, v6, vcc_lo
	;; [unrolled: 5-line block ×5, first 2 shown]
	v_cmp_eq_u32_e32 vcc_lo, 11, v16
	v_cndmask_b32_e32 v20, v20, v13, vcc_lo
	v_cmp_eq_u32_e32 vcc_lo, 12, v16
	s_delay_alu instid0(VALU_DEP_2) | instskip(SKIP_2) | instid1(VALU_DEP_2)
	v_cndmask_b32_e32 v20, v20, v14, vcc_lo
	v_cmp_lt_u32_e32 vcc_lo, 8, v16
	s_wait_dscnt 0x0
	v_fmac_f32_e32 v15, v20, v21
	s_or_b32 s2, vcc_lo, s2
	s_delay_alu instid0(SALU_CYCLE_1)
	s_and_not1_b32 exec_lo, exec_lo, s2
	s_cbranch_execnz .LBB76_277
; %bb.278:
	s_or_b32 exec_lo, exec_lo, s2
.LBB76_279:
	s_delay_alu instid0(SALU_CYCLE_1)
	s_or_b32 exec_lo, exec_lo, s1
	v_mov_b32_e32 v12, 0
	ds_load_b32 v12, v12 offset:40
	s_wait_dscnt 0x0
	v_mul_f32_e32 v12, v15, v12
.LBB76_280:
	s_or_b32 exec_lo, exec_lo, s0
	v_cmp_gt_u32_e64 s0, 11, v0
	ds_store_b32 v64, v13
	s_wait_dscnt 0x0
	s_barrier_signal -1
	s_barrier_wait -1
	s_and_saveexec_b32 s1, s0
	s_cbranch_execz .LBB76_290
; %bb.281:
	v_cmp_ne_u32_e32 vcc_lo, 1, v18
	s_cbranch_vccnz .LBB76_283
; %bb.282:
	v_cmp_eq_u32_e32 vcc_lo, 1, v0
	ds_load_b32 v16, v64
	v_cndmask_b32_e32 v15, v2, v3, vcc_lo
	v_cmp_eq_u32_e32 vcc_lo, 2, v0
	s_delay_alu instid0(VALU_DEP_2) | instskip(SKIP_1) | instid1(VALU_DEP_2)
	v_cndmask_b32_e32 v15, v15, v4, vcc_lo
	v_cmp_eq_u32_e32 vcc_lo, 3, v0
	v_cndmask_b32_e32 v15, v15, v5, vcc_lo
	v_cmp_eq_u32_e32 vcc_lo, 4, v0
	s_delay_alu instid0(VALU_DEP_2) | instskip(SKIP_1) | instid1(VALU_DEP_2)
	v_cndmask_b32_e32 v15, v15, v6, vcc_lo
	v_cmp_eq_u32_e32 vcc_lo, 5, v0
	;; [unrolled: 5-line block ×5, first 2 shown]
	v_cndmask_b32_e32 v15, v15, v13, vcc_lo
	v_cmp_eq_u32_e32 vcc_lo, 12, v0
	s_delay_alu instid0(VALU_DEP_2) | instskip(SKIP_1) | instid1(VALU_DEP_1)
	v_cndmask_b32_e32 v15, v15, v14, vcc_lo
	s_wait_dscnt 0x0
	v_mul_f32_e32 v15, v15, v16
	s_cbranch_execz .LBB76_284
	s_branch .LBB76_285
.LBB76_283:
                                        ; implicit-def: $vgpr15
.LBB76_284:
	ds_load_b32 v15, v64
.LBB76_285:
	s_mov_b32 s2, exec_lo
	v_cmpx_ne_u32_e32 10, v0
	s_cbranch_execz .LBB76_289
; %bb.286:
	v_mov_b64_e32 v[16:17], v[0:1]
	v_lshl_add_u32 v19, v0, 2, 0x44
	s_mov_b32 s3, 0
.LBB76_287:                             ; =>This Inner Loop Header: Depth=1
	s_delay_alu instid0(VALU_DEP_2)
	v_add_nc_u64_e32 v[16:17], 1, v[16:17]
	ds_load_b32 v21, v19
	v_add_nc_u32_e32 v19, 4, v19
	v_cmp_eq_u32_e32 vcc_lo, 1, v16
	v_cndmask_b32_e32 v20, v2, v3, vcc_lo
	v_cmp_eq_u32_e32 vcc_lo, 2, v16
	s_delay_alu instid0(VALU_DEP_2) | instskip(SKIP_1) | instid1(VALU_DEP_2)
	v_cndmask_b32_e32 v20, v20, v4, vcc_lo
	v_cmp_eq_u32_e32 vcc_lo, 3, v16
	v_cndmask_b32_e32 v20, v20, v5, vcc_lo
	v_cmp_eq_u32_e32 vcc_lo, 4, v16
	s_delay_alu instid0(VALU_DEP_2) | instskip(SKIP_1) | instid1(VALU_DEP_2)
	v_cndmask_b32_e32 v20, v20, v6, vcc_lo
	;; [unrolled: 5-line block ×5, first 2 shown]
	v_cmp_eq_u32_e32 vcc_lo, 11, v16
	v_cndmask_b32_e32 v20, v20, v13, vcc_lo
	v_cmp_eq_u32_e32 vcc_lo, 12, v16
	s_delay_alu instid0(VALU_DEP_2) | instskip(SKIP_2) | instid1(VALU_DEP_2)
	v_cndmask_b32_e32 v20, v20, v14, vcc_lo
	v_cmp_lt_u32_e32 vcc_lo, 9, v16
	s_wait_dscnt 0x0
	v_fmac_f32_e32 v15, v20, v21
	s_or_b32 s3, vcc_lo, s3
	s_delay_alu instid0(SALU_CYCLE_1)
	s_and_not1_b32 exec_lo, exec_lo, s3
	s_cbranch_execnz .LBB76_287
; %bb.288:
	s_or_b32 exec_lo, exec_lo, s3
.LBB76_289:
	s_delay_alu instid0(SALU_CYCLE_1)
	s_or_b32 exec_lo, exec_lo, s2
	v_mov_b32_e32 v13, 0
	ds_load_b32 v13, v13 offset:44
	s_wait_dscnt 0x0
	v_mul_f32_e32 v13, v15, v13
.LBB76_290:
	s_or_b32 exec_lo, exec_lo, s1
	s_delay_alu instid0(SALU_CYCLE_1)
	s_mov_b32 s1, exec_lo
	ds_store_b32 v64, v14
	s_wait_dscnt 0x0
	s_barrier_signal -1
	s_barrier_wait -1
	v_cmpx_ne_u32_e32 12, v0
	s_cbranch_execz .LBB76_300
; %bb.291:
	v_cmp_ne_u32_e32 vcc_lo, 1, v18
	s_cbranch_vccnz .LBB76_293
; %bb.292:
	v_cmp_eq_u32_e32 vcc_lo, 1, v0
	ds_load_b32 v16, v64
	v_cndmask_b32_e32 v15, v2, v3, vcc_lo
	v_cmp_eq_u32_e32 vcc_lo, 2, v0
	s_delay_alu instid0(VALU_DEP_2) | instskip(SKIP_1) | instid1(VALU_DEP_2)
	v_cndmask_b32_e32 v15, v15, v4, vcc_lo
	v_cmp_eq_u32_e32 vcc_lo, 3, v0
	v_cndmask_b32_e32 v15, v15, v5, vcc_lo
	v_cmp_eq_u32_e32 vcc_lo, 4, v0
	s_delay_alu instid0(VALU_DEP_2) | instskip(SKIP_1) | instid1(VALU_DEP_2)
	v_cndmask_b32_e32 v15, v15, v6, vcc_lo
	v_cmp_eq_u32_e32 vcc_lo, 5, v0
	;; [unrolled: 5-line block ×5, first 2 shown]
	v_cndmask_b32_e32 v15, v15, v13, vcc_lo
	v_cmp_eq_u32_e32 vcc_lo, 12, v0
	s_delay_alu instid0(VALU_DEP_2) | instskip(SKIP_1) | instid1(VALU_DEP_1)
	v_cndmask_b32_e32 v15, v15, v14, vcc_lo
	s_wait_dscnt 0x0
	v_mul_f32_e32 v15, v15, v16
	s_cbranch_execz .LBB76_294
	s_branch .LBB76_295
.LBB76_293:
                                        ; implicit-def: $vgpr15
.LBB76_294:
	ds_load_b32 v15, v64
.LBB76_295:
	s_and_saveexec_b32 s2, s0
	s_cbranch_execz .LBB76_299
; %bb.296:
	v_lshl_add_u32 v16, v0, 2, 0x44
	s_mov_b32 s0, 0
.LBB76_297:                             ; =>This Inner Loop Header: Depth=1
	v_add_nc_u64_e32 v[0:1], 1, v[0:1]
	ds_load_b32 v18, v16
	v_add_nc_u32_e32 v16, 4, v16
	v_cmp_eq_u32_e32 vcc_lo, 1, v0
	v_cndmask_b32_e32 v17, v2, v3, vcc_lo
	v_cmp_eq_u32_e32 vcc_lo, 2, v0
	s_delay_alu instid0(VALU_DEP_2) | instskip(SKIP_1) | instid1(VALU_DEP_2)
	v_cndmask_b32_e32 v17, v17, v4, vcc_lo
	v_cmp_eq_u32_e32 vcc_lo, 3, v0
	v_cndmask_b32_e32 v17, v17, v5, vcc_lo
	v_cmp_eq_u32_e32 vcc_lo, 4, v0
	s_delay_alu instid0(VALU_DEP_2) | instskip(SKIP_1) | instid1(VALU_DEP_2)
	v_cndmask_b32_e32 v17, v17, v6, vcc_lo
	;; [unrolled: 5-line block ×5, first 2 shown]
	v_cmp_eq_u32_e32 vcc_lo, 11, v0
	v_cndmask_b32_e32 v17, v17, v13, vcc_lo
	v_cmp_eq_u32_e32 vcc_lo, 12, v0
	s_delay_alu instid0(VALU_DEP_2) | instskip(SKIP_2) | instid1(VALU_DEP_2)
	v_cndmask_b32_e32 v17, v17, v14, vcc_lo
	v_cmp_lt_u32_e32 vcc_lo, 10, v0
	s_wait_dscnt 0x0
	v_fmac_f32_e32 v15, v17, v18
	s_or_b32 s0, vcc_lo, s0
	s_delay_alu instid0(SALU_CYCLE_1)
	s_and_not1_b32 exec_lo, exec_lo, s0
	s_cbranch_execnz .LBB76_297
; %bb.298:
	s_or_b32 exec_lo, exec_lo, s0
.LBB76_299:
	s_delay_alu instid0(SALU_CYCLE_1)
	s_or_b32 exec_lo, exec_lo, s2
	v_mov_b32_e32 v0, 0
	ds_load_b32 v0, v0 offset:48
	s_wait_dscnt 0x0
	v_mul_f32_e32 v14, v15, v0
.LBB76_300:
	s_or_b32 exec_lo, exec_lo, s1
	v_mov_b64_e32 v[32:33], v[16:17]
	s_delay_alu instid0(VALU_DEP_2)
	v_mov_b64_e32 v[30:31], v[14:15]
	v_mov_b64_e32 v[28:29], v[12:13]
	;; [unrolled: 1-line block ×7, first 2 shown]
.LBB76_301:
	s_wait_xcnt 0x4
	v_lshl_add_u64 v[0:1], v[34:35], 2, s[14:15]
	s_wait_loadcnt_dscnt 0x405
	v_lshl_add_u64 v[2:3], v[36:37], 2, s[14:15]
	v_lshl_add_u64 v[4:5], v[38:39], 2, s[14:15]
	;; [unrolled: 1-line block ×4, first 2 shown]
	s_wait_loadcnt_dscnt 0x304
	v_lshl_add_u64 v[10:11], v[46:47], 2, s[14:15]
	s_wait_loadcnt_dscnt 0x102
	v_lshl_add_u64 v[12:13], v[48:49], 2, s[14:15]
	;; [unrolled: 2-line block ×3, first 2 shown]
	v_lshl_add_u64 v[16:17], v[54:55], 2, s[14:15]
	v_lshl_add_u64 v[32:33], v[56:57], 2, s[14:15]
	;; [unrolled: 1-line block ×3, first 2 shown]
	s_clause 0xc
	flat_store_b32 v[44:45], v18
	flat_store_b32 v[50:51], v19
	;; [unrolled: 1-line block ×13, first 2 shown]
.LBB76_302:
	s_sendmsg sendmsg(MSG_DEALLOC_VGPRS)
	s_endpgm
	.section	.rodata,"a",@progbits
	.p2align	6, 0x0
	.amdhsa_kernel _ZN9rocsolver6v33100L18trti2_kernel_smallILi13EfPKPfEEv13rocblas_fill_17rocblas_diagonal_T1_iil
		.amdhsa_group_segment_fixed_size 116
		.amdhsa_private_segment_fixed_size 0
		.amdhsa_kernarg_size 32
		.amdhsa_user_sgpr_count 2
		.amdhsa_user_sgpr_dispatch_ptr 0
		.amdhsa_user_sgpr_queue_ptr 0
		.amdhsa_user_sgpr_kernarg_segment_ptr 1
		.amdhsa_user_sgpr_dispatch_id 0
		.amdhsa_user_sgpr_kernarg_preload_length 0
		.amdhsa_user_sgpr_kernarg_preload_offset 0
		.amdhsa_user_sgpr_private_segment_size 0
		.amdhsa_wavefront_size32 1
		.amdhsa_uses_dynamic_stack 0
		.amdhsa_enable_private_segment 0
		.amdhsa_system_sgpr_workgroup_id_x 1
		.amdhsa_system_sgpr_workgroup_id_y 0
		.amdhsa_system_sgpr_workgroup_id_z 0
		.amdhsa_system_sgpr_workgroup_info 0
		.amdhsa_system_vgpr_workitem_id 0
		.amdhsa_next_free_vgpr 75
		.amdhsa_next_free_sgpr 20
		.amdhsa_named_barrier_count 0
		.amdhsa_reserve_vcc 1
		.amdhsa_float_round_mode_32 0
		.amdhsa_float_round_mode_16_64 0
		.amdhsa_float_denorm_mode_32 3
		.amdhsa_float_denorm_mode_16_64 3
		.amdhsa_fp16_overflow 0
		.amdhsa_memory_ordered 1
		.amdhsa_forward_progress 1
		.amdhsa_inst_pref_size 115
		.amdhsa_round_robin_scheduling 0
		.amdhsa_exception_fp_ieee_invalid_op 0
		.amdhsa_exception_fp_denorm_src 0
		.amdhsa_exception_fp_ieee_div_zero 0
		.amdhsa_exception_fp_ieee_overflow 0
		.amdhsa_exception_fp_ieee_underflow 0
		.amdhsa_exception_fp_ieee_inexact 0
		.amdhsa_exception_int_div_zero 0
	.end_amdhsa_kernel
	.section	.text._ZN9rocsolver6v33100L18trti2_kernel_smallILi13EfPKPfEEv13rocblas_fill_17rocblas_diagonal_T1_iil,"axG",@progbits,_ZN9rocsolver6v33100L18trti2_kernel_smallILi13EfPKPfEEv13rocblas_fill_17rocblas_diagonal_T1_iil,comdat
.Lfunc_end76:
	.size	_ZN9rocsolver6v33100L18trti2_kernel_smallILi13EfPKPfEEv13rocblas_fill_17rocblas_diagonal_T1_iil, .Lfunc_end76-_ZN9rocsolver6v33100L18trti2_kernel_smallILi13EfPKPfEEv13rocblas_fill_17rocblas_diagonal_T1_iil
                                        ; -- End function
	.set _ZN9rocsolver6v33100L18trti2_kernel_smallILi13EfPKPfEEv13rocblas_fill_17rocblas_diagonal_T1_iil.num_vgpr, 75
	.set _ZN9rocsolver6v33100L18trti2_kernel_smallILi13EfPKPfEEv13rocblas_fill_17rocblas_diagonal_T1_iil.num_agpr, 0
	.set _ZN9rocsolver6v33100L18trti2_kernel_smallILi13EfPKPfEEv13rocblas_fill_17rocblas_diagonal_T1_iil.numbered_sgpr, 20
	.set _ZN9rocsolver6v33100L18trti2_kernel_smallILi13EfPKPfEEv13rocblas_fill_17rocblas_diagonal_T1_iil.num_named_barrier, 0
	.set _ZN9rocsolver6v33100L18trti2_kernel_smallILi13EfPKPfEEv13rocblas_fill_17rocblas_diagonal_T1_iil.private_seg_size, 0
	.set _ZN9rocsolver6v33100L18trti2_kernel_smallILi13EfPKPfEEv13rocblas_fill_17rocblas_diagonal_T1_iil.uses_vcc, 1
	.set _ZN9rocsolver6v33100L18trti2_kernel_smallILi13EfPKPfEEv13rocblas_fill_17rocblas_diagonal_T1_iil.uses_flat_scratch, 1
	.set _ZN9rocsolver6v33100L18trti2_kernel_smallILi13EfPKPfEEv13rocblas_fill_17rocblas_diagonal_T1_iil.has_dyn_sized_stack, 0
	.set _ZN9rocsolver6v33100L18trti2_kernel_smallILi13EfPKPfEEv13rocblas_fill_17rocblas_diagonal_T1_iil.has_recursion, 0
	.set _ZN9rocsolver6v33100L18trti2_kernel_smallILi13EfPKPfEEv13rocblas_fill_17rocblas_diagonal_T1_iil.has_indirect_call, 0
	.section	.AMDGPU.csdata,"",@progbits
; Kernel info:
; codeLenInByte = 14612
; TotalNumSgprs: 22
; NumVgprs: 75
; ScratchSize: 0
; MemoryBound: 0
; FloatMode: 240
; IeeeMode: 1
; LDSByteSize: 116 bytes/workgroup (compile time only)
; SGPRBlocks: 0
; VGPRBlocks: 4
; NumSGPRsForWavesPerEU: 22
; NumVGPRsForWavesPerEU: 75
; NamedBarCnt: 0
; Occupancy: 12
; WaveLimiterHint : 1
; COMPUTE_PGM_RSRC2:SCRATCH_EN: 0
; COMPUTE_PGM_RSRC2:USER_SGPR: 2
; COMPUTE_PGM_RSRC2:TRAP_HANDLER: 0
; COMPUTE_PGM_RSRC2:TGID_X_EN: 1
; COMPUTE_PGM_RSRC2:TGID_Y_EN: 0
; COMPUTE_PGM_RSRC2:TGID_Z_EN: 0
; COMPUTE_PGM_RSRC2:TIDIG_COMP_CNT: 0
	.section	.text._ZN9rocsolver6v33100L18trti2_kernel_smallILi14EfPKPfEEv13rocblas_fill_17rocblas_diagonal_T1_iil,"axG",@progbits,_ZN9rocsolver6v33100L18trti2_kernel_smallILi14EfPKPfEEv13rocblas_fill_17rocblas_diagonal_T1_iil,comdat
	.globl	_ZN9rocsolver6v33100L18trti2_kernel_smallILi14EfPKPfEEv13rocblas_fill_17rocblas_diagonal_T1_iil ; -- Begin function _ZN9rocsolver6v33100L18trti2_kernel_smallILi14EfPKPfEEv13rocblas_fill_17rocblas_diagonal_T1_iil
	.p2align	8
	.type	_ZN9rocsolver6v33100L18trti2_kernel_smallILi14EfPKPfEEv13rocblas_fill_17rocblas_diagonal_T1_iil,@function
_ZN9rocsolver6v33100L18trti2_kernel_smallILi14EfPKPfEEv13rocblas_fill_17rocblas_diagonal_T1_iil: ; @_ZN9rocsolver6v33100L18trti2_kernel_smallILi14EfPKPfEEv13rocblas_fill_17rocblas_diagonal_T1_iil
; %bb.0:
	s_mov_b32 s2, exec_lo
	v_cmpx_gt_u32_e32 14, v0
	s_cbranch_execz .LBB77_328
; %bb.1:
	s_clause 0x1
	s_load_b64 s[2:3], s[0:1], 0x10
	s_load_b128 s[16:19], s[0:1], 0x0
	s_wait_xcnt 0x0
	s_bfe_u32 s0, ttmp6, 0x4000c
	s_and_b32 s1, ttmp6, 15
	s_add_co_i32 s0, s0, 1
	s_getreg_b32 s4, hwreg(HW_REG_IB_STS2, 6, 4)
	s_mul_i32 s0, ttmp9, s0
	v_mov_b32_e32 v1, 0
	s_add_co_i32 s0, s1, s0
	s_delay_alu instid0(VALU_DEP_1)
	v_mov_b32_e32 v19, v1
	s_wait_kmcnt 0x0
	v_add3_u32 v34, s3, s3, v0
	s_ashr_i32 s1, s2, 31
	s_cmp_eq_u32 s4, 0
	s_cselect_b32 s4, ttmp9, s0
	s_delay_alu instid0(VALU_DEP_1)
	v_add_nc_u32_e32 v36, s3, v34
	s_ashr_i32 s5, s4, 31
	s_mov_b32 s0, s2
	s_lshl_b64 s[4:5], s[4:5], 3
	s_lshl_b64 s[0:1], s[0:1], 2
	v_add_nc_u32_e32 v38, s3, v36
	s_add_nc_u64 s[4:5], s[18:19], s[4:5]
	s_load_b64 s[4:5], s[4:5], 0x0
	s_delay_alu instid0(VALU_DEP_1) | instskip(NEXT) | instid1(VALU_DEP_1)
	v_add_nc_u32_e32 v40, s3, v38
	v_add_nc_u32_e32 v42, s3, v40
	s_delay_alu instid0(VALU_DEP_1) | instskip(NEXT) | instid1(VALU_DEP_1)
	v_add_nc_u32_e32 v44, s3, v42
	v_add_nc_u32_e32 v48, s3, v44
	s_wait_kmcnt 0x0
	s_add_nc_u64 s[14:15], s[4:5], s[0:1]
	s_mov_b32 s0, s3
	s_delay_alu instid0(VALU_DEP_1)
	v_add_nc_u32_e32 v50, s3, v48
	v_lshlrev_b32_e32 v18, 2, v0
	s_ashr_i32 s1, s3, 31
	s_cmp_lg_u32 s17, 0x84
	s_cselect_b32 s18, -1, 0
	v_add_nc_u32_e32 v54, s3, v50
	v_add_nc_u64_e32 v[46:47], s[14:15], v[18:19]
	s_cmp_eq_u32 s17, 0x84
	s_delay_alu instid0(VALU_DEP_2) | instskip(NEXT) | instid1(VALU_DEP_2)
	v_dual_mov_b32 v19, -1.0 :: v_dual_add_nc_u32 v56, s3, v54
	v_lshl_add_u64 v[52:53], s[0:1], 2, v[46:47]
	v_cmp_eq_u32_e64 s0, 0, v0
	s_delay_alu instid0(VALU_DEP_3)
	v_add_nc_u32_e32 v58, s3, v56
	s_clause 0x7
	flat_load_b32 v3, v[52:53]
	flat_load_b32 v4, v34, s[14:15] scale_offset
	flat_load_b32 v5, v36, s[14:15] scale_offset
	;; [unrolled: 1-line block ×7, first 2 shown]
	v_add_nc_u32_e32 v60, s3, v58
	s_clause 0x5
	flat_load_b32 v2, v0, s[14:15] scale_offset
	flat_load_b32 v11, v50, s[14:15] scale_offset
	;; [unrolled: 1-line block ×6, first 2 shown]
	s_cbranch_scc1 .LBB77_3
; %bb.2:
	v_cmp_eq_u32_e64 s1, 1, v0
	v_cmp_eq_u32_e64 s2, 2, v0
	v_cmp_eq_u32_e64 s3, 3, v0
	v_cmp_eq_u32_e64 s4, 4, v0
	v_cmp_eq_u32_e64 s5, 5, v0
	s_wait_loadcnt_dscnt 0x505
	v_cndmask_b32_e64 v16, v2, v3, s1
	v_cmp_eq_u32_e64 s6, 6, v0
	v_cmp_eq_u32_e64 s7, 7, v0
	;; [unrolled: 1-line block ×4, first 2 shown]
	v_cndmask_b32_e64 v16, v16, v4, s2
	v_cmp_eq_u32_e64 s10, 10, v0
	v_cmp_eq_u32_e64 s11, 11, v0
	v_cmp_eq_u32_e64 s12, 12, v0
	v_cmp_eq_u32_e64 s13, 13, v0
	v_cndmask_b32_e64 v16, v16, v5, s3
	s_delay_alu instid0(VALU_DEP_1) | instskip(NEXT) | instid1(VALU_DEP_1)
	v_cndmask_b32_e64 v16, v16, v6, s4
	v_cndmask_b32_e64 v16, v16, v7, s5
	s_delay_alu instid0(VALU_DEP_1) | instskip(NEXT) | instid1(VALU_DEP_1)
	v_cndmask_b32_e64 v16, v16, v8, s6
	v_cndmask_b32_e64 v16, v16, v9, s7
	s_delay_alu instid0(VALU_DEP_1) | instskip(SKIP_1) | instid1(VALU_DEP_1)
	v_cndmask_b32_e64 v16, v16, v10, s8
	s_wait_loadcnt_dscnt 0x404
	v_cndmask_b32_e64 v16, v16, v11, s9
	s_wait_loadcnt_dscnt 0x303
	s_delay_alu instid0(VALU_DEP_1) | instskip(SKIP_1) | instid1(VALU_DEP_1)
	v_cndmask_b32_e64 v16, v16, v12, s10
	s_wait_loadcnt_dscnt 0x202
	v_cndmask_b32_e64 v16, v16, v13, s11
	s_wait_loadcnt_dscnt 0x101
	s_delay_alu instid0(VALU_DEP_1) | instskip(SKIP_1) | instid1(VALU_DEP_1)
	v_cndmask_b32_e64 v16, v16, v14, s12
	s_wait_loadcnt_dscnt 0x0
	v_cndmask_b32_e64 v16, v16, v15, s13
	s_delay_alu instid0(VALU_DEP_1) | instskip(SKIP_1) | instid1(VALU_DEP_2)
	v_div_scale_f32 v17, null, v16, v16, 1.0
	v_div_scale_f32 v21, vcc_lo, 1.0, v16, 1.0
	v_rcp_f32_e32 v19, v17
	v_nop
	s_delay_alu instid0(TRANS32_DEP_1) | instskip(NEXT) | instid1(VALU_DEP_1)
	v_fma_f32 v20, -v17, v19, 1.0
	v_fmac_f32_e32 v19, v20, v19
	s_delay_alu instid0(VALU_DEP_1) | instskip(NEXT) | instid1(VALU_DEP_1)
	v_mul_f32_e32 v20, v21, v19
	v_fma_f32 v22, -v17, v20, v21
	s_delay_alu instid0(VALU_DEP_1) | instskip(NEXT) | instid1(VALU_DEP_1)
	v_fmac_f32_e32 v20, v22, v19
	v_fma_f32 v17, -v17, v20, v21
	s_delay_alu instid0(VALU_DEP_1) | instskip(NEXT) | instid1(VALU_DEP_1)
	v_div_fmas_f32 v17, v17, v19, v20
	v_div_fixup_f32 v16, v17, v16, 1.0
	s_delay_alu instid0(VALU_DEP_1)
	v_dual_cndmask_b32 v15, v15, v16, s13 :: v_dual_cndmask_b32 v14, v14, v16, s12
	v_dual_cndmask_b32 v13, v13, v16, s11 :: v_dual_cndmask_b32 v12, v12, v16, s10
	;; [unrolled: 1-line block ×7, first 2 shown]
	v_xor_b32_e32 v19, 0x80000000, v16
.LBB77_3:
	v_dual_ashrrev_i32 v35, 31, v34 :: v_dual_ashrrev_i32 v37, 31, v36
	v_dual_ashrrev_i32 v39, 31, v38 :: v_dual_ashrrev_i32 v41, 31, v40
	;; [unrolled: 1-line block ×6, first 2 shown]
	v_add_nc_u32_e32 v66, 64, v18
	s_cmp_eq_u32 s16, 0x79
	ds_store_b32 v18, v19
	s_cbranch_scc1 .LBB77_7
; %bb.4:
	s_wait_loadcnt_dscnt 0x1
	v_mov_b64_e32 v[32:33], v[16:17]
	v_mov_b64_e32 v[30:31], v[14:15]
	;; [unrolled: 1-line block ×8, first 2 shown]
	v_cmp_eq_u32_e64 s0, 13, v0
	ds_store_b32 v66, v14
	s_wait_dscnt 0x0
	s_barrier_signal -1
	s_barrier_wait -1
	s_and_saveexec_b32 s1, s0
	s_cbranch_execz .LBB77_11
; %bb.5:
	s_and_b32 vcc_lo, exec_lo, s18
	s_cbranch_vccz .LBB77_8
; %bb.6:
	v_cmp_eq_u32_e32 vcc_lo, 1, v0
	ds_load_b32 v19, v66
	v_cndmask_b32_e32 v18, v2, v3, vcc_lo
	v_cmp_eq_u32_e32 vcc_lo, 2, v0
	s_delay_alu instid0(VALU_DEP_2) | instskip(SKIP_1) | instid1(VALU_DEP_2)
	v_cndmask_b32_e32 v18, v18, v4, vcc_lo
	v_cmp_eq_u32_e32 vcc_lo, 3, v0
	v_cndmask_b32_e32 v18, v18, v5, vcc_lo
	v_cmp_eq_u32_e32 vcc_lo, 4, v0
	s_delay_alu instid0(VALU_DEP_2) | instskip(SKIP_1) | instid1(VALU_DEP_2)
	v_cndmask_b32_e32 v18, v18, v6, vcc_lo
	v_cmp_eq_u32_e32 vcc_lo, 5, v0
	;; [unrolled: 5-line block ×6, first 2 shown]
	v_cndmask_b32_e32 v18, v18, v15, vcc_lo
	s_wait_dscnt 0x0
	s_delay_alu instid0(VALU_DEP_1)
	v_mul_f32_e32 v30, v18, v19
	s_cbranch_execz .LBB77_9
	s_branch .LBB77_10
.LBB77_7:
                                        ; implicit-def: $vgpr18_vgpr19_vgpr20_vgpr21_vgpr22_vgpr23_vgpr24_vgpr25_vgpr26_vgpr27_vgpr28_vgpr29_vgpr30_vgpr31_vgpr32_vgpr33
	s_cbranch_execnz .LBB77_194
	s_branch .LBB77_327
.LBB77_8:
                                        ; implicit-def: $vgpr30
.LBB77_9:
	ds_load_b32 v30, v66
.LBB77_10:
	v_dual_mov_b32 v18, 0 :: v_dual_mov_b32 v19, v3
	v_dual_mov_b32 v21, v5 :: v_dual_mov_b32 v22, v6
	;; [unrolled: 1-line block ×3, first 2 shown]
	ds_load_b32 v31, v18 offset:48
	v_dual_mov_b32 v18, v2 :: v_dual_mov_b32 v20, v4
	v_dual_mov_b32 v25, v9 :: v_dual_mov_b32 v26, v10
	;; [unrolled: 1-line block ×3, first 2 shown]
	s_wait_dscnt 0x0
	v_dual_mov_b32 v29, v13 :: v_dual_mul_f32 v30, v30, v31
	v_mov_b32_e32 v31, v15
.LBB77_11:
	s_or_b32 exec_lo, exec_lo, s1
	v_cmp_lt_u32_e64 s1, 11, v0
	ds_store_b32 v66, v29
	s_wait_dscnt 0x0
	s_barrier_signal -1
	s_barrier_wait -1
	s_and_saveexec_b32 s2, s1
	s_cbranch_execz .LBB77_17
; %bb.12:
	s_and_not1_b32 vcc_lo, exec_lo, s18
	s_cbranch_vccnz .LBB77_14
; %bb.13:
	v_cmp_eq_u32_e32 vcc_lo, 1, v0
	ds_load_b32 v33, v66
	v_cndmask_b32_e32 v32, v18, v19, vcc_lo
	v_cmp_eq_u32_e32 vcc_lo, 2, v0
	s_delay_alu instid0(VALU_DEP_2) | instskip(SKIP_1) | instid1(VALU_DEP_2)
	v_cndmask_b32_e32 v32, v32, v20, vcc_lo
	v_cmp_eq_u32_e32 vcc_lo, 3, v0
	v_cndmask_b32_e32 v32, v32, v21, vcc_lo
	v_cmp_eq_u32_e32 vcc_lo, 4, v0
	s_delay_alu instid0(VALU_DEP_2) | instskip(SKIP_1) | instid1(VALU_DEP_2)
	v_cndmask_b32_e32 v32, v32, v22, vcc_lo
	v_cmp_eq_u32_e32 vcc_lo, 5, v0
	v_cndmask_b32_e32 v32, v32, v23, vcc_lo
	v_cmp_eq_u32_e32 vcc_lo, 6, v0
	s_delay_alu instid0(VALU_DEP_2) | instskip(SKIP_1) | instid1(VALU_DEP_2)
	v_cndmask_b32_e32 v32, v32, v24, vcc_lo
	v_cmp_eq_u32_e32 vcc_lo, 7, v0
	v_cndmask_b32_e32 v32, v32, v25, vcc_lo
	v_cmp_eq_u32_e32 vcc_lo, 8, v0
	s_delay_alu instid0(VALU_DEP_2) | instskip(SKIP_1) | instid1(VALU_DEP_2)
	v_cndmask_b32_e32 v32, v32, v26, vcc_lo
	v_cmp_eq_u32_e32 vcc_lo, 9, v0
	v_cndmask_b32_e32 v32, v32, v27, vcc_lo
	v_cmp_eq_u32_e32 vcc_lo, 10, v0
	s_delay_alu instid0(VALU_DEP_2) | instskip(SKIP_1) | instid1(VALU_DEP_2)
	v_cndmask_b32_e32 v32, v32, v28, vcc_lo
	v_cmp_eq_u32_e32 vcc_lo, 11, v0
	v_cndmask_b32_e32 v29, v32, v29, vcc_lo
	v_cmp_eq_u32_e32 vcc_lo, 12, v0
	s_delay_alu instid0(VALU_DEP_2) | instskip(SKIP_1) | instid1(VALU_DEP_2)
	v_cndmask_b32_e32 v29, v29, v30, vcc_lo
	v_cmp_eq_u32_e32 vcc_lo, 13, v0
	v_cndmask_b32_e32 v29, v29, v31, vcc_lo
	s_wait_dscnt 0x0
	s_delay_alu instid0(VALU_DEP_1)
	v_mul_f32_e32 v29, v29, v33
	s_cbranch_execz .LBB77_15
	s_branch .LBB77_16
.LBB77_14:
                                        ; implicit-def: $vgpr29
.LBB77_15:
	ds_load_b32 v29, v66
.LBB77_16:
	v_mov_b32_e32 v32, 0
	ds_load_2addr_b32 v[32:33], v32 offset0:11 offset1:28
	s_wait_dscnt 0x0
	v_fma_f32 v33, v30, v33, v29
	s_delay_alu instid0(VALU_DEP_1) | instskip(NEXT) | instid1(VALU_DEP_1)
	v_cndmask_b32_e64 v29, v29, v33, s0
	v_mul_f32_e32 v29, v29, v32
.LBB77_17:
	s_or_b32 exec_lo, exec_lo, s2
	v_cmp_lt_u32_e64 s0, 10, v0
	ds_store_b32 v66, v28
	s_wait_dscnt 0x0
	s_barrier_signal -1
	s_barrier_wait -1
	s_and_saveexec_b32 s4, s0
	s_cbranch_execz .LBB77_33
; %bb.18:
	s_and_not1_b32 vcc_lo, exec_lo, s18
	s_cbranch_vccnz .LBB77_20
; %bb.19:
	v_cmp_eq_u32_e32 vcc_lo, 1, v0
	ds_load_b32 v63, v66
	v_cndmask_b32_e32 v62, v18, v19, vcc_lo
	v_cmp_eq_u32_e32 vcc_lo, 2, v0
	s_delay_alu instid0(VALU_DEP_2) | instskip(SKIP_1) | instid1(VALU_DEP_2)
	v_cndmask_b32_e32 v62, v62, v20, vcc_lo
	v_cmp_eq_u32_e32 vcc_lo, 3, v0
	v_cndmask_b32_e32 v62, v62, v21, vcc_lo
	v_cmp_eq_u32_e32 vcc_lo, 4, v0
	s_delay_alu instid0(VALU_DEP_2) | instskip(SKIP_1) | instid1(VALU_DEP_2)
	v_cndmask_b32_e32 v62, v62, v22, vcc_lo
	v_cmp_eq_u32_e32 vcc_lo, 5, v0
	;; [unrolled: 5-line block ×6, first 2 shown]
	v_cndmask_b32_e32 v62, v62, v31, vcc_lo
	s_wait_dscnt 0x0
	s_delay_alu instid0(VALU_DEP_1)
	v_mul_f32_e32 v65, v62, v63
	s_cbranch_execz .LBB77_21
	s_branch .LBB77_22
.LBB77_20:
                                        ; implicit-def: $vgpr65
.LBB77_21:
	ds_load_b32 v65, v66
.LBB77_22:
	s_and_saveexec_b32 s5, s1
	s_cbranch_execz .LBB77_32
; %bb.23:
	v_dual_add_nc_u32 v62, -12, v0 :: v_dual_add_nc_u32 v63, -11, v0
	s_delay_alu instid0(VALU_DEP_1)
	v_cmp_lt_u32_e32 vcc_lo, 6, v62
	v_mov_b32_e32 v62, 11
	s_and_saveexec_b32 s1, vcc_lo
	s_cbranch_execz .LBB77_27
; %bb.24:
	v_and_b32_e32 v62, -8, v63
	s_mov_b32 s6, 0
	s_mov_b64 s[2:3], 18
	s_movk_i32 s7, 0x6c
	s_delay_alu instid0(VALU_DEP_1)
	v_sub_nc_u32_e32 v64, 0, v62
.LBB77_25:                              ; =>This Inner Loop Header: Depth=1
	s_add_co_i32 m0, s2, -7
	v_movrels_b32_e32 v67, v18
	v_mov_b32_e32 v62, s7
	s_add_co_i32 m0, s2, -6
	s_add_co_i32 s7, s7, 32
	v_movrels_b32_e32 v76, v18
	ds_load_2addr_b32 v[68:69], v62 offset1:1
	ds_load_2addr_b32 v[70:71], v62 offset0:2 offset1:3
	s_add_co_i32 m0, s2, -5
	s_wait_dscnt 0x1
	v_fmac_f32_e32 v65, v67, v68
	ds_load_2addr_b32 v[72:73], v62 offset0:4 offset1:5
	ds_load_2addr_b32 v[74:75], v62 offset0:6 offset1:7
	v_movrels_b32_e32 v62, v18
	s_add_co_i32 m0, s2, -4
	v_fmac_f32_e32 v65, v76, v69
	v_movrels_b32_e32 v67, v18
	s_add_co_i32 m0, s2, -3
	s_wait_dscnt 0x2
	s_delay_alu instid0(VALU_DEP_2) | instskip(SKIP_2) | instid1(VALU_DEP_2)
	v_fmac_f32_e32 v65, v62, v70
	v_movrels_b32_e32 v62, v18
	s_add_co_i32 m0, s2, -2
	v_fmac_f32_e32 v65, v67, v71
	v_movrels_b32_e32 v67, v18
	s_add_co_i32 m0, s2, -1
	s_wait_dscnt 0x1
	s_delay_alu instid0(VALU_DEP_2)
	v_fmac_f32_e32 v65, v62, v72
	v_movrels_b32_e32 v62, v18
	s_mov_b32 m0, s2
	s_add_nc_u64 s[2:3], s[2:3], 8
	v_movrels_b32_e32 v68, v18
	v_dual_fmac_f32 v65, v67, v73 :: v_dual_add_nc_u32 v67, s2, v64
	s_add_co_i32 s8, s2, -7
	s_wait_dscnt 0x0
	s_delay_alu instid0(VALU_DEP_1) | instskip(NEXT) | instid1(VALU_DEP_2)
	v_fmac_f32_e32 v65, v62, v74
	v_cmp_eq_u32_e32 vcc_lo, 18, v67
	s_delay_alu instid0(VALU_DEP_2) | instskip(SKIP_1) | instid1(SALU_CYCLE_1)
	v_dual_mov_b32 v62, s8 :: v_dual_fmac_f32 v65, v68, v75
	s_or_b32 s6, vcc_lo, s6
	s_and_not1_b32 exec_lo, exec_lo, s6
	s_cbranch_execnz .LBB77_25
; %bb.26:
	s_or_b32 exec_lo, exec_lo, s6
.LBB77_27:
	s_delay_alu instid0(SALU_CYCLE_1) | instskip(SKIP_3) | instid1(VALU_DEP_1)
	s_or_b32 exec_lo, exec_lo, s1
	v_and_b32_e32 v32, 7, v63
	s_mov_b32 s2, 0
	s_mov_b32 s1, exec_lo
	v_cmpx_ne_u32_e32 0, v32
	s_cbranch_execz .LBB77_31
; %bb.28:
	v_lshl_add_u32 v33, v62, 2, 64
	v_mov_b32_e32 v63, 0
.LBB77_29:                              ; =>This Inner Loop Header: Depth=1
	v_cmp_eq_u32_e32 vcc_lo, 1, v62
	ds_load_b32 v67, v33
	v_dual_add_nc_u32 v32, -1, v32 :: v_dual_add_nc_u32 v33, 4, v33
	v_cndmask_b32_e32 v64, v18, v19, vcc_lo
	v_cmp_eq_u32_e32 vcc_lo, 2, v62
	s_delay_alu instid0(VALU_DEP_2) | instskip(SKIP_1) | instid1(VALU_DEP_2)
	v_cndmask_b32_e32 v64, v64, v20, vcc_lo
	v_cmp_eq_u32_e32 vcc_lo, 3, v62
	v_cndmask_b32_e32 v64, v64, v21, vcc_lo
	v_cmp_eq_u32_e32 vcc_lo, 4, v62
	s_delay_alu instid0(VALU_DEP_2) | instskip(SKIP_1) | instid1(VALU_DEP_2)
	v_cndmask_b32_e32 v64, v64, v22, vcc_lo
	v_cmp_eq_u32_e32 vcc_lo, 5, v62
	;; [unrolled: 5-line block ×5, first 2 shown]
	v_cndmask_b32_e32 v64, v64, v29, vcc_lo
	v_cmp_eq_u32_e32 vcc_lo, 12, v62
	s_delay_alu instid0(VALU_DEP_2) | instskip(SKIP_2) | instid1(VALU_DEP_3)
	v_cndmask_b32_e32 v64, v64, v30, vcc_lo
	v_cmp_eq_u32_e32 vcc_lo, 13, v62
	v_add_nc_u64_e32 v[62:63], 1, v[62:63]
	v_cndmask_b32_e32 v64, v64, v31, vcc_lo
	v_cmp_eq_u32_e32 vcc_lo, 0, v32
	s_wait_dscnt 0x0
	s_delay_alu instid0(VALU_DEP_2) | instskip(SKIP_1) | instid1(SALU_CYCLE_1)
	v_fmac_f32_e32 v65, v64, v67
	s_or_b32 s2, vcc_lo, s2
	s_and_not1_b32 exec_lo, exec_lo, s2
	s_cbranch_execnz .LBB77_29
; %bb.30:
	s_or_b32 exec_lo, exec_lo, s2
.LBB77_31:
	s_delay_alu instid0(SALU_CYCLE_1)
	s_or_b32 exec_lo, exec_lo, s1
.LBB77_32:
	s_delay_alu instid0(SALU_CYCLE_1)
	s_or_b32 exec_lo, exec_lo, s5
	v_mov_b32_e32 v28, 0
	ds_load_b32 v28, v28 offset:40
	s_wait_dscnt 0x0
	v_mul_f32_e32 v28, v65, v28
.LBB77_33:
	s_or_b32 exec_lo, exec_lo, s4
	v_cmp_lt_u32_e64 s1, 9, v0
	ds_store_b32 v66, v27
	s_wait_dscnt 0x0
	s_barrier_signal -1
	s_barrier_wait -1
	s_and_saveexec_b32 s4, s1
	s_cbranch_execz .LBB77_49
; %bb.34:
	s_and_not1_b32 vcc_lo, exec_lo, s18
	s_cbranch_vccnz .LBB77_36
; %bb.35:
	v_cmp_eq_u32_e32 vcc_lo, 1, v0
	ds_load_b32 v63, v66
	v_cndmask_b32_e32 v62, v18, v19, vcc_lo
	v_cmp_eq_u32_e32 vcc_lo, 2, v0
	s_delay_alu instid0(VALU_DEP_2) | instskip(SKIP_1) | instid1(VALU_DEP_2)
	v_cndmask_b32_e32 v62, v62, v20, vcc_lo
	v_cmp_eq_u32_e32 vcc_lo, 3, v0
	v_cndmask_b32_e32 v62, v62, v21, vcc_lo
	v_cmp_eq_u32_e32 vcc_lo, 4, v0
	s_delay_alu instid0(VALU_DEP_2) | instskip(SKIP_1) | instid1(VALU_DEP_2)
	v_cndmask_b32_e32 v62, v62, v22, vcc_lo
	v_cmp_eq_u32_e32 vcc_lo, 5, v0
	;; [unrolled: 5-line block ×6, first 2 shown]
	v_cndmask_b32_e32 v62, v62, v31, vcc_lo
	s_wait_dscnt 0x0
	s_delay_alu instid0(VALU_DEP_1)
	v_mul_f32_e32 v65, v62, v63
	s_cbranch_execz .LBB77_37
	s_branch .LBB77_38
.LBB77_36:
                                        ; implicit-def: $vgpr65
.LBB77_37:
	ds_load_b32 v65, v66
.LBB77_38:
	s_and_saveexec_b32 s5, s0
	s_cbranch_execz .LBB77_48
; %bb.39:
	v_dual_add_nc_u32 v62, -11, v0 :: v_dual_add_nc_u32 v63, -10, v0
	s_delay_alu instid0(VALU_DEP_1)
	v_cmp_lt_u32_e32 vcc_lo, 6, v62
	v_mov_b32_e32 v62, 10
	s_and_saveexec_b32 s0, vcc_lo
	s_cbranch_execz .LBB77_43
; %bb.40:
	v_and_b32_e32 v62, -8, v63
	s_mov_b32 s6, 0
	s_mov_b64 s[2:3], 17
	s_movk_i32 s7, 0x68
	s_delay_alu instid0(VALU_DEP_1)
	v_sub_nc_u32_e32 v64, 0, v62
.LBB77_41:                              ; =>This Inner Loop Header: Depth=1
	s_add_co_i32 m0, s2, -7
	v_movrels_b32_e32 v67, v18
	v_mov_b32_e32 v62, s7
	s_add_co_i32 m0, s2, -6
	s_add_co_i32 s7, s7, 32
	v_movrels_b32_e32 v76, v18
	s_add_co_i32 m0, s2, -5
	ds_load_2addr_b64 v[68:71], v62 offset1:1
	ds_load_2addr_b64 v[72:75], v62 offset0:2 offset1:3
	v_movrels_b32_e32 v62, v18
	s_add_co_i32 m0, s2, -4
	s_wait_dscnt 0x1
	v_fmac_f32_e32 v65, v67, v68
	v_movrels_b32_e32 v67, v18
	s_add_co_i32 m0, s2, -3
	s_delay_alu instid0(VALU_DEP_2) | instskip(NEXT) | instid1(VALU_DEP_1)
	v_fmac_f32_e32 v65, v76, v69
	v_fmac_f32_e32 v65, v62, v70
	v_movrels_b32_e32 v62, v18
	s_add_co_i32 m0, s2, -2
	s_delay_alu instid0(VALU_DEP_2) | instskip(SKIP_3) | instid1(VALU_DEP_2)
	v_fmac_f32_e32 v65, v67, v71
	v_movrels_b32_e32 v67, v18
	s_add_co_i32 m0, s2, -1
	s_wait_dscnt 0x0
	v_fmac_f32_e32 v65, v62, v72
	v_movrels_b32_e32 v62, v18
	s_mov_b32 m0, s2
	s_add_nc_u64 s[2:3], s[2:3], 8
	v_movrels_b32_e32 v68, v18
	v_dual_fmac_f32 v65, v67, v73 :: v_dual_add_nc_u32 v67, s2, v64
	s_add_co_i32 s8, s2, -7
	s_delay_alu instid0(VALU_DEP_1) | instskip(NEXT) | instid1(VALU_DEP_2)
	v_fmac_f32_e32 v65, v62, v74
	v_cmp_eq_u32_e32 vcc_lo, 17, v67
	s_delay_alu instid0(VALU_DEP_2) | instskip(SKIP_1) | instid1(SALU_CYCLE_1)
	v_dual_mov_b32 v62, s8 :: v_dual_fmac_f32 v65, v68, v75
	s_or_b32 s6, vcc_lo, s6
	s_and_not1_b32 exec_lo, exec_lo, s6
	s_cbranch_execnz .LBB77_41
; %bb.42:
	s_or_b32 exec_lo, exec_lo, s6
.LBB77_43:
	s_delay_alu instid0(SALU_CYCLE_1) | instskip(SKIP_3) | instid1(VALU_DEP_1)
	s_or_b32 exec_lo, exec_lo, s0
	v_and_b32_e32 v32, 7, v63
	s_mov_b32 s2, 0
	s_mov_b32 s0, exec_lo
	v_cmpx_ne_u32_e32 0, v32
	s_cbranch_execz .LBB77_47
; %bb.44:
	v_lshl_add_u32 v33, v62, 2, 64
	v_mov_b32_e32 v63, 0
.LBB77_45:                              ; =>This Inner Loop Header: Depth=1
	v_cmp_eq_u32_e32 vcc_lo, 1, v62
	ds_load_b32 v67, v33
	v_dual_add_nc_u32 v32, -1, v32 :: v_dual_add_nc_u32 v33, 4, v33
	v_cndmask_b32_e32 v64, v18, v19, vcc_lo
	v_cmp_eq_u32_e32 vcc_lo, 2, v62
	s_delay_alu instid0(VALU_DEP_2) | instskip(SKIP_1) | instid1(VALU_DEP_2)
	v_cndmask_b32_e32 v64, v64, v20, vcc_lo
	v_cmp_eq_u32_e32 vcc_lo, 3, v62
	v_cndmask_b32_e32 v64, v64, v21, vcc_lo
	v_cmp_eq_u32_e32 vcc_lo, 4, v62
	s_delay_alu instid0(VALU_DEP_2) | instskip(SKIP_1) | instid1(VALU_DEP_2)
	v_cndmask_b32_e32 v64, v64, v22, vcc_lo
	v_cmp_eq_u32_e32 vcc_lo, 5, v62
	;; [unrolled: 5-line block ×5, first 2 shown]
	v_cndmask_b32_e32 v64, v64, v29, vcc_lo
	v_cmp_eq_u32_e32 vcc_lo, 12, v62
	s_delay_alu instid0(VALU_DEP_2) | instskip(SKIP_2) | instid1(VALU_DEP_3)
	v_cndmask_b32_e32 v64, v64, v30, vcc_lo
	v_cmp_eq_u32_e32 vcc_lo, 13, v62
	v_add_nc_u64_e32 v[62:63], 1, v[62:63]
	v_cndmask_b32_e32 v64, v64, v31, vcc_lo
	v_cmp_eq_u32_e32 vcc_lo, 0, v32
	s_wait_dscnt 0x0
	s_delay_alu instid0(VALU_DEP_2) | instskip(SKIP_1) | instid1(SALU_CYCLE_1)
	v_fmac_f32_e32 v65, v64, v67
	s_or_b32 s2, vcc_lo, s2
	s_and_not1_b32 exec_lo, exec_lo, s2
	s_cbranch_execnz .LBB77_45
; %bb.46:
	s_or_b32 exec_lo, exec_lo, s2
.LBB77_47:
	s_delay_alu instid0(SALU_CYCLE_1)
	s_or_b32 exec_lo, exec_lo, s0
.LBB77_48:
	s_delay_alu instid0(SALU_CYCLE_1)
	s_or_b32 exec_lo, exec_lo, s5
	v_mov_b32_e32 v27, 0
	ds_load_b32 v27, v27 offset:36
	s_wait_dscnt 0x0
	v_mul_f32_e32 v27, v65, v27
.LBB77_49:
	s_or_b32 exec_lo, exec_lo, s4
	v_cmp_lt_u32_e64 s0, 8, v0
	ds_store_b32 v66, v26
	s_wait_dscnt 0x0
	s_barrier_signal -1
	s_barrier_wait -1
	s_and_saveexec_b32 s4, s0
	s_cbranch_execz .LBB77_65
; %bb.50:
	s_and_not1_b32 vcc_lo, exec_lo, s18
	s_cbranch_vccnz .LBB77_52
; %bb.51:
	v_cmp_eq_u32_e32 vcc_lo, 1, v0
	ds_load_b32 v63, v66
	v_cndmask_b32_e32 v62, v18, v19, vcc_lo
	v_cmp_eq_u32_e32 vcc_lo, 2, v0
	s_delay_alu instid0(VALU_DEP_2) | instskip(SKIP_1) | instid1(VALU_DEP_2)
	v_cndmask_b32_e32 v62, v62, v20, vcc_lo
	v_cmp_eq_u32_e32 vcc_lo, 3, v0
	v_cndmask_b32_e32 v62, v62, v21, vcc_lo
	v_cmp_eq_u32_e32 vcc_lo, 4, v0
	s_delay_alu instid0(VALU_DEP_2) | instskip(SKIP_1) | instid1(VALU_DEP_2)
	v_cndmask_b32_e32 v62, v62, v22, vcc_lo
	v_cmp_eq_u32_e32 vcc_lo, 5, v0
	;; [unrolled: 5-line block ×6, first 2 shown]
	v_cndmask_b32_e32 v62, v62, v31, vcc_lo
	s_wait_dscnt 0x0
	s_delay_alu instid0(VALU_DEP_1)
	v_mul_f32_e32 v65, v62, v63
	s_cbranch_execz .LBB77_53
	s_branch .LBB77_54
.LBB77_52:
                                        ; implicit-def: $vgpr65
.LBB77_53:
	ds_load_b32 v65, v66
.LBB77_54:
	s_and_saveexec_b32 s5, s1
	s_cbranch_execz .LBB77_64
; %bb.55:
	v_dual_add_nc_u32 v62, -10, v0 :: v_dual_add_nc_u32 v63, -9, v0
	s_delay_alu instid0(VALU_DEP_1)
	v_cmp_lt_u32_e32 vcc_lo, 6, v62
	v_mov_b32_e32 v62, 9
	s_and_saveexec_b32 s1, vcc_lo
	s_cbranch_execz .LBB77_59
; %bb.56:
	v_and_b32_e32 v62, -8, v63
	s_mov_b32 s6, 0
	s_mov_b64 s[2:3], 16
	s_movk_i32 s7, 0x64
	s_delay_alu instid0(VALU_DEP_1)
	v_sub_nc_u32_e32 v64, 0, v62
.LBB77_57:                              ; =>This Inner Loop Header: Depth=1
	s_add_co_i32 m0, s2, -7
	v_movrels_b32_e32 v67, v18
	v_mov_b32_e32 v62, s7
	s_add_co_i32 m0, s2, -6
	s_add_co_i32 s7, s7, 32
	v_movrels_b32_e32 v76, v18
	ds_load_2addr_b32 v[68:69], v62 offset1:1
	ds_load_2addr_b32 v[70:71], v62 offset0:2 offset1:3
	s_add_co_i32 m0, s2, -5
	s_wait_dscnt 0x1
	v_fmac_f32_e32 v65, v67, v68
	ds_load_2addr_b32 v[72:73], v62 offset0:4 offset1:5
	ds_load_2addr_b32 v[74:75], v62 offset0:6 offset1:7
	v_movrels_b32_e32 v62, v18
	s_add_co_i32 m0, s2, -4
	v_fmac_f32_e32 v65, v76, v69
	v_movrels_b32_e32 v67, v18
	s_add_co_i32 m0, s2, -3
	s_wait_dscnt 0x2
	s_delay_alu instid0(VALU_DEP_2) | instskip(SKIP_2) | instid1(VALU_DEP_2)
	v_fmac_f32_e32 v65, v62, v70
	v_movrels_b32_e32 v62, v18
	s_add_co_i32 m0, s2, -2
	v_fmac_f32_e32 v65, v67, v71
	v_movrels_b32_e32 v67, v18
	s_add_co_i32 m0, s2, -1
	s_wait_dscnt 0x1
	s_delay_alu instid0(VALU_DEP_2)
	v_fmac_f32_e32 v65, v62, v72
	v_movrels_b32_e32 v62, v18
	s_mov_b32 m0, s2
	s_add_nc_u64 s[2:3], s[2:3], 8
	v_movrels_b32_e32 v68, v18
	v_dual_fmac_f32 v65, v67, v73 :: v_dual_add_nc_u32 v67, s2, v64
	s_add_co_i32 s8, s2, -7
	s_wait_dscnt 0x0
	s_delay_alu instid0(VALU_DEP_1) | instskip(NEXT) | instid1(VALU_DEP_2)
	v_fmac_f32_e32 v65, v62, v74
	v_cmp_eq_u32_e32 vcc_lo, 16, v67
	s_delay_alu instid0(VALU_DEP_2) | instskip(SKIP_1) | instid1(SALU_CYCLE_1)
	v_dual_mov_b32 v62, s8 :: v_dual_fmac_f32 v65, v68, v75
	s_or_b32 s6, vcc_lo, s6
	s_and_not1_b32 exec_lo, exec_lo, s6
	s_cbranch_execnz .LBB77_57
; %bb.58:
	s_or_b32 exec_lo, exec_lo, s6
.LBB77_59:
	s_delay_alu instid0(SALU_CYCLE_1) | instskip(SKIP_3) | instid1(VALU_DEP_1)
	s_or_b32 exec_lo, exec_lo, s1
	v_and_b32_e32 v32, 7, v63
	s_mov_b32 s2, 0
	s_mov_b32 s1, exec_lo
	v_cmpx_ne_u32_e32 0, v32
	s_cbranch_execz .LBB77_63
; %bb.60:
	v_lshl_add_u32 v33, v62, 2, 64
	v_mov_b32_e32 v63, 0
.LBB77_61:                              ; =>This Inner Loop Header: Depth=1
	v_cmp_eq_u32_e32 vcc_lo, 1, v62
	ds_load_b32 v67, v33
	v_dual_add_nc_u32 v32, -1, v32 :: v_dual_add_nc_u32 v33, 4, v33
	v_cndmask_b32_e32 v64, v18, v19, vcc_lo
	v_cmp_eq_u32_e32 vcc_lo, 2, v62
	s_delay_alu instid0(VALU_DEP_2) | instskip(SKIP_1) | instid1(VALU_DEP_2)
	v_cndmask_b32_e32 v64, v64, v20, vcc_lo
	v_cmp_eq_u32_e32 vcc_lo, 3, v62
	v_cndmask_b32_e32 v64, v64, v21, vcc_lo
	v_cmp_eq_u32_e32 vcc_lo, 4, v62
	s_delay_alu instid0(VALU_DEP_2) | instskip(SKIP_1) | instid1(VALU_DEP_2)
	v_cndmask_b32_e32 v64, v64, v22, vcc_lo
	v_cmp_eq_u32_e32 vcc_lo, 5, v62
	;; [unrolled: 5-line block ×5, first 2 shown]
	v_cndmask_b32_e32 v64, v64, v29, vcc_lo
	v_cmp_eq_u32_e32 vcc_lo, 12, v62
	s_delay_alu instid0(VALU_DEP_2) | instskip(SKIP_2) | instid1(VALU_DEP_3)
	v_cndmask_b32_e32 v64, v64, v30, vcc_lo
	v_cmp_eq_u32_e32 vcc_lo, 13, v62
	v_add_nc_u64_e32 v[62:63], 1, v[62:63]
	v_cndmask_b32_e32 v64, v64, v31, vcc_lo
	v_cmp_eq_u32_e32 vcc_lo, 0, v32
	s_wait_dscnt 0x0
	s_delay_alu instid0(VALU_DEP_2) | instskip(SKIP_1) | instid1(SALU_CYCLE_1)
	v_fmac_f32_e32 v65, v64, v67
	s_or_b32 s2, vcc_lo, s2
	s_and_not1_b32 exec_lo, exec_lo, s2
	s_cbranch_execnz .LBB77_61
; %bb.62:
	s_or_b32 exec_lo, exec_lo, s2
.LBB77_63:
	s_delay_alu instid0(SALU_CYCLE_1)
	s_or_b32 exec_lo, exec_lo, s1
.LBB77_64:
	s_delay_alu instid0(SALU_CYCLE_1)
	s_or_b32 exec_lo, exec_lo, s5
	v_mov_b32_e32 v26, 0
	ds_load_b32 v26, v26 offset:32
	s_wait_dscnt 0x0
	v_mul_f32_e32 v26, v65, v26
.LBB77_65:
	s_or_b32 exec_lo, exec_lo, s4
	v_cmp_lt_u32_e64 s1, 7, v0
	ds_store_b32 v66, v25
	s_wait_dscnt 0x0
	s_barrier_signal -1
	s_barrier_wait -1
	s_and_saveexec_b32 s4, s1
	s_cbranch_execz .LBB77_81
; %bb.66:
	s_and_not1_b32 vcc_lo, exec_lo, s18
	s_cbranch_vccnz .LBB77_68
; %bb.67:
	v_cmp_eq_u32_e32 vcc_lo, 1, v0
	ds_load_b32 v63, v66
	v_cndmask_b32_e32 v62, v18, v19, vcc_lo
	v_cmp_eq_u32_e32 vcc_lo, 2, v0
	s_delay_alu instid0(VALU_DEP_2) | instskip(SKIP_1) | instid1(VALU_DEP_2)
	v_cndmask_b32_e32 v62, v62, v20, vcc_lo
	v_cmp_eq_u32_e32 vcc_lo, 3, v0
	v_cndmask_b32_e32 v62, v62, v21, vcc_lo
	v_cmp_eq_u32_e32 vcc_lo, 4, v0
	s_delay_alu instid0(VALU_DEP_2) | instskip(SKIP_1) | instid1(VALU_DEP_2)
	v_cndmask_b32_e32 v62, v62, v22, vcc_lo
	v_cmp_eq_u32_e32 vcc_lo, 5, v0
	;; [unrolled: 5-line block ×6, first 2 shown]
	v_cndmask_b32_e32 v62, v62, v31, vcc_lo
	s_wait_dscnt 0x0
	s_delay_alu instid0(VALU_DEP_1)
	v_mul_f32_e32 v67, v62, v63
	s_cbranch_execz .LBB77_69
	s_branch .LBB77_70
.LBB77_68:
                                        ; implicit-def: $vgpr67
.LBB77_69:
	ds_load_b32 v67, v66
.LBB77_70:
	s_and_saveexec_b32 s5, s0
	s_cbranch_execz .LBB77_80
; %bb.71:
	v_add_nc_u32_e32 v62, -9, v0
	s_delay_alu instid0(VALU_DEP_1)
	v_cmp_lt_u32_e32 vcc_lo, 6, v62
	v_mov_b32_e32 v62, 8
	s_and_saveexec_b32 s0, vcc_lo
	s_cbranch_execz .LBB77_75
; %bb.72:
	v_bfe_u32 v62, v0, 3, 1
	v_mov_b32_e32 v63, 0
	s_mov_b64 s[2:3], 0xfffffff8
	s_movk_i32 s7, 0x60
	s_mov_b32 s6, 0
	s_delay_alu instid0(VALU_DEP_1)
	v_mul_u64_e32 v[64:65], s[2:3], v[62:63]
	s_mov_b64 s[2:3], 15
.LBB77_73:                              ; =>This Inner Loop Header: Depth=1
	s_delay_alu instid0(SALU_CYCLE_1)
	s_add_co_i32 m0, s2, -7
	v_movrels_b32_e32 v63, v18
	v_mov_b32_e32 v62, s7
	s_add_co_i32 m0, s2, -6
	s_add_co_i32 s7, s7, 32
	v_movrels_b32_e32 v65, v18
	s_add_co_i32 m0, s2, -5
	ds_load_b128 v[68:71], v62
	ds_load_b128 v[72:75], v62 offset:16
	v_movrels_b32_e32 v62, v18
	s_add_co_i32 m0, s2, -4
	s_wait_dscnt 0x1
	v_fmac_f32_e32 v67, v63, v68
	v_movrels_b32_e32 v63, v18
	s_add_co_i32 m0, s2, -3
	s_delay_alu instid0(VALU_DEP_2) | instskip(NEXT) | instid1(VALU_DEP_1)
	v_fmac_f32_e32 v67, v65, v69
	v_fmac_f32_e32 v67, v62, v70
	v_movrels_b32_e32 v62, v18
	s_add_co_i32 m0, s2, -2
	s_delay_alu instid0(VALU_DEP_2) | instskip(SKIP_3) | instid1(VALU_DEP_2)
	v_fmac_f32_e32 v67, v63, v71
	v_movrels_b32_e32 v63, v18
	s_add_co_i32 m0, s2, -1
	s_wait_dscnt 0x0
	v_fmac_f32_e32 v67, v62, v72
	v_movrels_b32_e32 v62, v18
	s_mov_b32 m0, s2
	s_add_nc_u64 s[2:3], s[2:3], 8
	v_movrels_b32_e32 v65, v18
	v_dual_fmac_f32 v67, v63, v73 :: v_dual_add_nc_u32 v63, s2, v64
	s_add_co_i32 s8, s2, -7
	s_delay_alu instid0(VALU_DEP_1) | instskip(NEXT) | instid1(VALU_DEP_2)
	v_fmac_f32_e32 v67, v62, v74
	v_cmp_eq_u32_e32 vcc_lo, 7, v63
	s_delay_alu instid0(VALU_DEP_2) | instskip(SKIP_1) | instid1(SALU_CYCLE_1)
	v_dual_mov_b32 v62, s8 :: v_dual_fmac_f32 v67, v65, v75
	s_or_b32 s6, vcc_lo, s6
	s_and_not1_b32 exec_lo, exec_lo, s6
	s_cbranch_execnz .LBB77_73
; %bb.74:
	s_or_b32 exec_lo, exec_lo, s6
.LBB77_75:
	s_delay_alu instid0(SALU_CYCLE_1) | instskip(SKIP_3) | instid1(VALU_DEP_1)
	s_or_b32 exec_lo, exec_lo, s0
	v_and_b32_e32 v32, 7, v0
	s_mov_b32 s2, 0
	s_mov_b32 s0, exec_lo
	v_cmpx_ne_u32_e32 0, v32
	s_cbranch_execz .LBB77_79
; %bb.76:
	v_lshl_add_u32 v33, v62, 2, 64
	v_mov_b32_e32 v63, 0
.LBB77_77:                              ; =>This Inner Loop Header: Depth=1
	v_cmp_eq_u32_e32 vcc_lo, 1, v62
	ds_load_b32 v65, v33
	v_dual_add_nc_u32 v32, -1, v32 :: v_dual_add_nc_u32 v33, 4, v33
	v_cndmask_b32_e32 v64, v18, v19, vcc_lo
	v_cmp_eq_u32_e32 vcc_lo, 2, v62
	s_delay_alu instid0(VALU_DEP_2) | instskip(SKIP_1) | instid1(VALU_DEP_2)
	v_cndmask_b32_e32 v64, v64, v20, vcc_lo
	v_cmp_eq_u32_e32 vcc_lo, 3, v62
	v_cndmask_b32_e32 v64, v64, v21, vcc_lo
	v_cmp_eq_u32_e32 vcc_lo, 4, v62
	s_delay_alu instid0(VALU_DEP_2) | instskip(SKIP_1) | instid1(VALU_DEP_2)
	v_cndmask_b32_e32 v64, v64, v22, vcc_lo
	v_cmp_eq_u32_e32 vcc_lo, 5, v62
	;; [unrolled: 5-line block ×5, first 2 shown]
	v_cndmask_b32_e32 v64, v64, v29, vcc_lo
	v_cmp_eq_u32_e32 vcc_lo, 12, v62
	s_delay_alu instid0(VALU_DEP_2) | instskip(SKIP_2) | instid1(VALU_DEP_3)
	v_cndmask_b32_e32 v64, v64, v30, vcc_lo
	v_cmp_eq_u32_e32 vcc_lo, 13, v62
	v_add_nc_u64_e32 v[62:63], 1, v[62:63]
	v_cndmask_b32_e32 v64, v64, v31, vcc_lo
	v_cmp_eq_u32_e32 vcc_lo, 0, v32
	s_wait_dscnt 0x0
	s_delay_alu instid0(VALU_DEP_2) | instskip(SKIP_1) | instid1(SALU_CYCLE_1)
	v_fmac_f32_e32 v67, v64, v65
	s_or_b32 s2, vcc_lo, s2
	s_and_not1_b32 exec_lo, exec_lo, s2
	s_cbranch_execnz .LBB77_77
; %bb.78:
	s_or_b32 exec_lo, exec_lo, s2
.LBB77_79:
	s_delay_alu instid0(SALU_CYCLE_1)
	s_or_b32 exec_lo, exec_lo, s0
.LBB77_80:
	s_delay_alu instid0(SALU_CYCLE_1)
	s_or_b32 exec_lo, exec_lo, s5
	v_mov_b32_e32 v25, 0
	ds_load_b32 v25, v25 offset:28
	s_wait_dscnt 0x0
	v_mul_f32_e32 v25, v67, v25
.LBB77_81:
	s_or_b32 exec_lo, exec_lo, s4
	v_cmp_lt_u32_e64 s0, 6, v0
	ds_store_b32 v66, v24
	s_wait_dscnt 0x0
	s_barrier_signal -1
	s_barrier_wait -1
	s_and_saveexec_b32 s4, s0
	s_cbranch_execz .LBB77_97
; %bb.82:
	s_and_not1_b32 vcc_lo, exec_lo, s18
	s_cbranch_vccnz .LBB77_84
; %bb.83:
	v_cmp_eq_u32_e32 vcc_lo, 1, v0
	ds_load_b32 v63, v66
	v_cndmask_b32_e32 v62, v18, v19, vcc_lo
	v_cmp_eq_u32_e32 vcc_lo, 2, v0
	s_delay_alu instid0(VALU_DEP_2) | instskip(SKIP_1) | instid1(VALU_DEP_2)
	v_cndmask_b32_e32 v62, v62, v20, vcc_lo
	v_cmp_eq_u32_e32 vcc_lo, 3, v0
	v_cndmask_b32_e32 v62, v62, v21, vcc_lo
	v_cmp_eq_u32_e32 vcc_lo, 4, v0
	s_delay_alu instid0(VALU_DEP_2) | instskip(SKIP_1) | instid1(VALU_DEP_2)
	v_cndmask_b32_e32 v62, v62, v22, vcc_lo
	v_cmp_eq_u32_e32 vcc_lo, 5, v0
	;; [unrolled: 5-line block ×6, first 2 shown]
	v_cndmask_b32_e32 v62, v62, v31, vcc_lo
	s_wait_dscnt 0x0
	s_delay_alu instid0(VALU_DEP_1)
	v_mul_f32_e32 v65, v62, v63
	s_cbranch_execz .LBB77_85
	s_branch .LBB77_86
.LBB77_84:
                                        ; implicit-def: $vgpr65
.LBB77_85:
	ds_load_b32 v65, v66
.LBB77_86:
	s_and_saveexec_b32 s5, s1
	s_cbranch_execz .LBB77_96
; %bb.87:
	v_dual_add_nc_u32 v62, -8, v0 :: v_dual_add_nc_u32 v63, -7, v0
	s_delay_alu instid0(VALU_DEP_1)
	v_cmp_lt_u32_e32 vcc_lo, 6, v62
	v_mov_b32_e32 v62, 7
	s_and_saveexec_b32 s1, vcc_lo
	s_cbranch_execz .LBB77_91
; %bb.88:
	v_and_b32_e32 v62, -8, v63
	s_mov_b32 s6, 0
	s_mov_b64 s[2:3], 14
	s_movk_i32 s7, 0x5c
	s_delay_alu instid0(VALU_DEP_1)
	v_sub_nc_u32_e32 v64, 0, v62
.LBB77_89:                              ; =>This Inner Loop Header: Depth=1
	s_add_co_i32 m0, s2, -7
	v_movrels_b32_e32 v67, v18
	v_mov_b32_e32 v62, s7
	s_add_co_i32 m0, s2, -6
	s_add_co_i32 s7, s7, 32
	v_movrels_b32_e32 v76, v18
	ds_load_2addr_b32 v[68:69], v62 offset1:1
	ds_load_2addr_b32 v[70:71], v62 offset0:2 offset1:3
	s_add_co_i32 m0, s2, -5
	s_wait_dscnt 0x1
	v_fmac_f32_e32 v65, v67, v68
	ds_load_2addr_b32 v[72:73], v62 offset0:4 offset1:5
	ds_load_2addr_b32 v[74:75], v62 offset0:6 offset1:7
	v_movrels_b32_e32 v62, v18
	s_add_co_i32 m0, s2, -4
	v_fmac_f32_e32 v65, v76, v69
	v_movrels_b32_e32 v67, v18
	s_add_co_i32 m0, s2, -3
	s_wait_dscnt 0x2
	s_delay_alu instid0(VALU_DEP_2) | instskip(SKIP_2) | instid1(VALU_DEP_2)
	v_fmac_f32_e32 v65, v62, v70
	v_movrels_b32_e32 v62, v18
	s_add_co_i32 m0, s2, -2
	v_fmac_f32_e32 v65, v67, v71
	v_movrels_b32_e32 v67, v18
	s_add_co_i32 m0, s2, -1
	s_wait_dscnt 0x1
	s_delay_alu instid0(VALU_DEP_2)
	v_fmac_f32_e32 v65, v62, v72
	v_movrels_b32_e32 v62, v18
	s_mov_b32 m0, s2
	s_add_nc_u64 s[2:3], s[2:3], 8
	v_movrels_b32_e32 v68, v18
	v_dual_fmac_f32 v65, v67, v73 :: v_dual_add_nc_u32 v67, s2, v64
	s_add_co_i32 s8, s2, -7
	s_wait_dscnt 0x0
	s_delay_alu instid0(VALU_DEP_1) | instskip(NEXT) | instid1(VALU_DEP_2)
	v_fmac_f32_e32 v65, v62, v74
	v_cmp_eq_u32_e32 vcc_lo, 14, v67
	s_delay_alu instid0(VALU_DEP_2) | instskip(SKIP_1) | instid1(SALU_CYCLE_1)
	v_dual_mov_b32 v62, s8 :: v_dual_fmac_f32 v65, v68, v75
	s_or_b32 s6, vcc_lo, s6
	s_and_not1_b32 exec_lo, exec_lo, s6
	s_cbranch_execnz .LBB77_89
; %bb.90:
	s_or_b32 exec_lo, exec_lo, s6
.LBB77_91:
	s_delay_alu instid0(SALU_CYCLE_1) | instskip(SKIP_3) | instid1(VALU_DEP_1)
	s_or_b32 exec_lo, exec_lo, s1
	v_and_b32_e32 v32, 7, v63
	s_mov_b32 s2, 0
	s_mov_b32 s1, exec_lo
	v_cmpx_ne_u32_e32 0, v32
	s_cbranch_execz .LBB77_95
; %bb.92:
	v_lshl_add_u32 v33, v62, 2, 64
	v_mov_b32_e32 v63, 0
.LBB77_93:                              ; =>This Inner Loop Header: Depth=1
	v_cmp_eq_u32_e32 vcc_lo, 1, v62
	ds_load_b32 v67, v33
	v_dual_add_nc_u32 v32, -1, v32 :: v_dual_add_nc_u32 v33, 4, v33
	v_cndmask_b32_e32 v64, v18, v19, vcc_lo
	v_cmp_eq_u32_e32 vcc_lo, 2, v62
	s_delay_alu instid0(VALU_DEP_2) | instskip(SKIP_1) | instid1(VALU_DEP_2)
	v_cndmask_b32_e32 v64, v64, v20, vcc_lo
	v_cmp_eq_u32_e32 vcc_lo, 3, v62
	v_cndmask_b32_e32 v64, v64, v21, vcc_lo
	v_cmp_eq_u32_e32 vcc_lo, 4, v62
	s_delay_alu instid0(VALU_DEP_2) | instskip(SKIP_1) | instid1(VALU_DEP_2)
	v_cndmask_b32_e32 v64, v64, v22, vcc_lo
	v_cmp_eq_u32_e32 vcc_lo, 5, v62
	;; [unrolled: 5-line block ×5, first 2 shown]
	v_cndmask_b32_e32 v64, v64, v29, vcc_lo
	v_cmp_eq_u32_e32 vcc_lo, 12, v62
	s_delay_alu instid0(VALU_DEP_2) | instskip(SKIP_2) | instid1(VALU_DEP_3)
	v_cndmask_b32_e32 v64, v64, v30, vcc_lo
	v_cmp_eq_u32_e32 vcc_lo, 13, v62
	v_add_nc_u64_e32 v[62:63], 1, v[62:63]
	v_cndmask_b32_e32 v64, v64, v31, vcc_lo
	v_cmp_eq_u32_e32 vcc_lo, 0, v32
	s_wait_dscnt 0x0
	s_delay_alu instid0(VALU_DEP_2) | instskip(SKIP_1) | instid1(SALU_CYCLE_1)
	v_fmac_f32_e32 v65, v64, v67
	s_or_b32 s2, vcc_lo, s2
	s_and_not1_b32 exec_lo, exec_lo, s2
	s_cbranch_execnz .LBB77_93
; %bb.94:
	s_or_b32 exec_lo, exec_lo, s2
.LBB77_95:
	s_delay_alu instid0(SALU_CYCLE_1)
	s_or_b32 exec_lo, exec_lo, s1
.LBB77_96:
	s_delay_alu instid0(SALU_CYCLE_1)
	s_or_b32 exec_lo, exec_lo, s5
	v_mov_b32_e32 v24, 0
	ds_load_b32 v24, v24 offset:24
	s_wait_dscnt 0x0
	v_mul_f32_e32 v24, v65, v24
.LBB77_97:
	s_or_b32 exec_lo, exec_lo, s4
	v_cmp_lt_u32_e64 s1, 5, v0
	ds_store_b32 v66, v23
	s_wait_dscnt 0x0
	s_barrier_signal -1
	s_barrier_wait -1
	s_and_saveexec_b32 s4, s1
	s_cbranch_execz .LBB77_113
; %bb.98:
	s_and_not1_b32 vcc_lo, exec_lo, s18
	s_cbranch_vccnz .LBB77_100
; %bb.99:
	v_cmp_eq_u32_e32 vcc_lo, 1, v0
	ds_load_b32 v63, v66
	v_cndmask_b32_e32 v62, v18, v19, vcc_lo
	v_cmp_eq_u32_e32 vcc_lo, 2, v0
	s_delay_alu instid0(VALU_DEP_2) | instskip(SKIP_1) | instid1(VALU_DEP_2)
	v_cndmask_b32_e32 v62, v62, v20, vcc_lo
	v_cmp_eq_u32_e32 vcc_lo, 3, v0
	v_cndmask_b32_e32 v62, v62, v21, vcc_lo
	v_cmp_eq_u32_e32 vcc_lo, 4, v0
	s_delay_alu instid0(VALU_DEP_2) | instskip(SKIP_1) | instid1(VALU_DEP_2)
	v_cndmask_b32_e32 v62, v62, v22, vcc_lo
	v_cmp_eq_u32_e32 vcc_lo, 5, v0
	;; [unrolled: 5-line block ×6, first 2 shown]
	v_cndmask_b32_e32 v62, v62, v31, vcc_lo
	s_wait_dscnt 0x0
	s_delay_alu instid0(VALU_DEP_1)
	v_mul_f32_e32 v65, v62, v63
	s_cbranch_execz .LBB77_101
	s_branch .LBB77_102
.LBB77_100:
                                        ; implicit-def: $vgpr65
.LBB77_101:
	ds_load_b32 v65, v66
.LBB77_102:
	s_and_saveexec_b32 s5, s0
	s_cbranch_execz .LBB77_112
; %bb.103:
	v_dual_add_nc_u32 v64, -7, v0 :: v_dual_add_nc_u32 v63, -6, v0
	v_mov_b32_e32 v62, 6
	s_mov_b32 s0, exec_lo
	s_delay_alu instid0(VALU_DEP_2)
	v_cmpx_lt_u32_e32 6, v64
	s_cbranch_execz .LBB77_107
; %bb.104:
	v_and_b32_e32 v62, -8, v63
	s_mov_b32 s6, 0
	s_mov_b64 s[2:3], 13
	s_movk_i32 s7, 0x58
	s_delay_alu instid0(VALU_DEP_1)
	v_sub_nc_u32_e32 v64, 0, v62
.LBB77_105:                             ; =>This Inner Loop Header: Depth=1
	s_add_co_i32 m0, s2, -7
	v_movrels_b32_e32 v67, v18
	v_mov_b32_e32 v62, s7
	s_add_co_i32 m0, s2, -6
	s_add_co_i32 s7, s7, 32
	v_movrels_b32_e32 v76, v18
	s_add_co_i32 m0, s2, -5
	ds_load_2addr_b64 v[68:71], v62 offset1:1
	ds_load_2addr_b64 v[72:75], v62 offset0:2 offset1:3
	v_movrels_b32_e32 v62, v18
	s_add_co_i32 m0, s2, -4
	s_wait_dscnt 0x1
	v_fmac_f32_e32 v65, v67, v68
	v_movrels_b32_e32 v67, v18
	s_add_co_i32 m0, s2, -3
	s_delay_alu instid0(VALU_DEP_2) | instskip(NEXT) | instid1(VALU_DEP_1)
	v_fmac_f32_e32 v65, v76, v69
	v_fmac_f32_e32 v65, v62, v70
	v_movrels_b32_e32 v62, v18
	s_add_co_i32 m0, s2, -2
	s_delay_alu instid0(VALU_DEP_2) | instskip(SKIP_3) | instid1(VALU_DEP_2)
	v_fmac_f32_e32 v65, v67, v71
	v_movrels_b32_e32 v67, v18
	s_add_co_i32 m0, s2, -1
	s_wait_dscnt 0x0
	v_fmac_f32_e32 v65, v62, v72
	v_movrels_b32_e32 v62, v18
	s_mov_b32 m0, s2
	s_add_nc_u64 s[2:3], s[2:3], 8
	v_movrels_b32_e32 v68, v18
	v_dual_fmac_f32 v65, v67, v73 :: v_dual_add_nc_u32 v67, s2, v64
	s_add_co_i32 s8, s2, -7
	s_delay_alu instid0(VALU_DEP_1) | instskip(NEXT) | instid1(VALU_DEP_2)
	v_fmac_f32_e32 v65, v62, v74
	v_cmp_eq_u32_e32 vcc_lo, 13, v67
	s_delay_alu instid0(VALU_DEP_2) | instskip(SKIP_1) | instid1(SALU_CYCLE_1)
	v_dual_mov_b32 v62, s8 :: v_dual_fmac_f32 v65, v68, v75
	s_or_b32 s6, vcc_lo, s6
	s_and_not1_b32 exec_lo, exec_lo, s6
	s_cbranch_execnz .LBB77_105
; %bb.106:
	s_or_b32 exec_lo, exec_lo, s6
.LBB77_107:
	s_delay_alu instid0(SALU_CYCLE_1) | instskip(SKIP_3) | instid1(VALU_DEP_1)
	s_or_b32 exec_lo, exec_lo, s0
	v_and_b32_e32 v32, 7, v63
	s_mov_b32 s2, 0
	s_mov_b32 s0, exec_lo
	v_cmpx_ne_u32_e32 0, v32
	s_cbranch_execz .LBB77_111
; %bb.108:
	v_lshl_add_u32 v33, v62, 2, 64
	v_mov_b32_e32 v63, 0
.LBB77_109:                             ; =>This Inner Loop Header: Depth=1
	v_cmp_eq_u32_e32 vcc_lo, 1, v62
	ds_load_b32 v67, v33
	v_dual_add_nc_u32 v32, -1, v32 :: v_dual_add_nc_u32 v33, 4, v33
	v_cndmask_b32_e32 v64, v18, v19, vcc_lo
	v_cmp_eq_u32_e32 vcc_lo, 2, v62
	s_delay_alu instid0(VALU_DEP_2) | instskip(SKIP_1) | instid1(VALU_DEP_2)
	v_cndmask_b32_e32 v64, v64, v20, vcc_lo
	v_cmp_eq_u32_e32 vcc_lo, 3, v62
	v_cndmask_b32_e32 v64, v64, v21, vcc_lo
	v_cmp_eq_u32_e32 vcc_lo, 4, v62
	s_delay_alu instid0(VALU_DEP_2) | instskip(SKIP_1) | instid1(VALU_DEP_2)
	v_cndmask_b32_e32 v64, v64, v22, vcc_lo
	v_cmp_eq_u32_e32 vcc_lo, 5, v62
	;; [unrolled: 5-line block ×5, first 2 shown]
	v_cndmask_b32_e32 v64, v64, v29, vcc_lo
	v_cmp_eq_u32_e32 vcc_lo, 12, v62
	s_delay_alu instid0(VALU_DEP_2) | instskip(SKIP_2) | instid1(VALU_DEP_3)
	v_cndmask_b32_e32 v64, v64, v30, vcc_lo
	v_cmp_eq_u32_e32 vcc_lo, 13, v62
	v_add_nc_u64_e32 v[62:63], 1, v[62:63]
	v_cndmask_b32_e32 v64, v64, v31, vcc_lo
	v_cmp_eq_u32_e32 vcc_lo, 0, v32
	s_wait_dscnt 0x0
	s_delay_alu instid0(VALU_DEP_2) | instskip(SKIP_1) | instid1(SALU_CYCLE_1)
	v_fmac_f32_e32 v65, v64, v67
	s_or_b32 s2, vcc_lo, s2
	s_and_not1_b32 exec_lo, exec_lo, s2
	s_cbranch_execnz .LBB77_109
; %bb.110:
	s_or_b32 exec_lo, exec_lo, s2
.LBB77_111:
	s_delay_alu instid0(SALU_CYCLE_1)
	s_or_b32 exec_lo, exec_lo, s0
.LBB77_112:
	s_delay_alu instid0(SALU_CYCLE_1)
	s_or_b32 exec_lo, exec_lo, s5
	v_mov_b32_e32 v23, 0
	ds_load_b32 v23, v23 offset:20
	s_wait_dscnt 0x0
	v_mul_f32_e32 v23, v65, v23
.LBB77_113:
	s_or_b32 exec_lo, exec_lo, s4
	v_cmp_lt_u32_e64 s0, 4, v0
	ds_store_b32 v66, v22
	s_wait_dscnt 0x0
	s_barrier_signal -1
	s_barrier_wait -1
	s_and_saveexec_b32 s4, s0
	s_cbranch_execz .LBB77_129
; %bb.114:
	s_and_not1_b32 vcc_lo, exec_lo, s18
	s_cbranch_vccnz .LBB77_116
; %bb.115:
	v_cmp_eq_u32_e32 vcc_lo, 1, v0
	ds_load_b32 v63, v66
	v_cndmask_b32_e32 v62, v18, v19, vcc_lo
	v_cmp_eq_u32_e32 vcc_lo, 2, v0
	s_delay_alu instid0(VALU_DEP_2) | instskip(SKIP_1) | instid1(VALU_DEP_2)
	v_cndmask_b32_e32 v62, v62, v20, vcc_lo
	v_cmp_eq_u32_e32 vcc_lo, 3, v0
	v_cndmask_b32_e32 v62, v62, v21, vcc_lo
	v_cmp_eq_u32_e32 vcc_lo, 4, v0
	s_delay_alu instid0(VALU_DEP_2) | instskip(SKIP_1) | instid1(VALU_DEP_2)
	v_cndmask_b32_e32 v62, v62, v22, vcc_lo
	v_cmp_eq_u32_e32 vcc_lo, 5, v0
	;; [unrolled: 5-line block ×6, first 2 shown]
	v_cndmask_b32_e32 v62, v62, v31, vcc_lo
	s_wait_dscnt 0x0
	s_delay_alu instid0(VALU_DEP_1)
	v_mul_f32_e32 v65, v62, v63
	s_cbranch_execz .LBB77_117
	s_branch .LBB77_118
.LBB77_116:
                                        ; implicit-def: $vgpr65
.LBB77_117:
	ds_load_b32 v65, v66
.LBB77_118:
	s_and_saveexec_b32 s5, s1
	s_cbranch_execz .LBB77_128
; %bb.119:
	v_dual_add_nc_u32 v62, -6, v0 :: v_dual_add_nc_u32 v63, -5, v0
	s_delay_alu instid0(VALU_DEP_1)
	v_cmp_lt_u32_e32 vcc_lo, 6, v62
	v_mov_b32_e32 v62, 5
	s_and_saveexec_b32 s1, vcc_lo
	s_cbranch_execz .LBB77_123
; %bb.120:
	v_and_b32_e32 v62, -8, v63
	s_mov_b32 s6, 0
	s_mov_b64 s[2:3], 12
	s_movk_i32 s7, 0x54
	s_delay_alu instid0(VALU_DEP_1)
	v_sub_nc_u32_e32 v64, 0, v62
.LBB77_121:                             ; =>This Inner Loop Header: Depth=1
	s_add_co_i32 m0, s2, -7
	v_movrels_b32_e32 v67, v18
	v_mov_b32_e32 v62, s7
	s_add_co_i32 m0, s2, -6
	s_add_co_i32 s7, s7, 32
	v_movrels_b32_e32 v76, v18
	ds_load_2addr_b32 v[68:69], v62 offset1:1
	ds_load_2addr_b32 v[70:71], v62 offset0:2 offset1:3
	s_add_co_i32 m0, s2, -5
	s_wait_dscnt 0x1
	v_fmac_f32_e32 v65, v67, v68
	ds_load_2addr_b32 v[72:73], v62 offset0:4 offset1:5
	ds_load_2addr_b32 v[74:75], v62 offset0:6 offset1:7
	v_movrels_b32_e32 v62, v18
	s_add_co_i32 m0, s2, -4
	v_fmac_f32_e32 v65, v76, v69
	v_movrels_b32_e32 v67, v18
	s_add_co_i32 m0, s2, -3
	s_wait_dscnt 0x2
	s_delay_alu instid0(VALU_DEP_2) | instskip(SKIP_2) | instid1(VALU_DEP_2)
	v_fmac_f32_e32 v65, v62, v70
	v_movrels_b32_e32 v62, v18
	s_add_co_i32 m0, s2, -2
	v_fmac_f32_e32 v65, v67, v71
	v_movrels_b32_e32 v67, v18
	s_add_co_i32 m0, s2, -1
	s_wait_dscnt 0x1
	s_delay_alu instid0(VALU_DEP_2)
	v_fmac_f32_e32 v65, v62, v72
	v_movrels_b32_e32 v62, v18
	s_mov_b32 m0, s2
	s_add_nc_u64 s[2:3], s[2:3], 8
	v_movrels_b32_e32 v68, v18
	v_dual_fmac_f32 v65, v67, v73 :: v_dual_add_nc_u32 v67, s2, v64
	s_add_co_i32 s8, s2, -7
	s_wait_dscnt 0x0
	s_delay_alu instid0(VALU_DEP_1) | instskip(NEXT) | instid1(VALU_DEP_2)
	v_fmac_f32_e32 v65, v62, v74
	v_cmp_eq_u32_e32 vcc_lo, 12, v67
	s_delay_alu instid0(VALU_DEP_2) | instskip(SKIP_1) | instid1(SALU_CYCLE_1)
	v_dual_mov_b32 v62, s8 :: v_dual_fmac_f32 v65, v68, v75
	s_or_b32 s6, vcc_lo, s6
	s_and_not1_b32 exec_lo, exec_lo, s6
	s_cbranch_execnz .LBB77_121
; %bb.122:
	s_or_b32 exec_lo, exec_lo, s6
.LBB77_123:
	s_delay_alu instid0(SALU_CYCLE_1) | instskip(SKIP_3) | instid1(VALU_DEP_1)
	s_or_b32 exec_lo, exec_lo, s1
	v_and_b32_e32 v32, 7, v63
	s_mov_b32 s2, 0
	s_mov_b32 s1, exec_lo
	v_cmpx_ne_u32_e32 0, v32
	s_cbranch_execz .LBB77_127
; %bb.124:
	v_lshl_add_u32 v33, v62, 2, 64
	v_mov_b32_e32 v63, 0
.LBB77_125:                             ; =>This Inner Loop Header: Depth=1
	v_cmp_eq_u32_e32 vcc_lo, 1, v62
	ds_load_b32 v67, v33
	v_dual_add_nc_u32 v32, -1, v32 :: v_dual_add_nc_u32 v33, 4, v33
	v_cndmask_b32_e32 v64, v18, v19, vcc_lo
	v_cmp_eq_u32_e32 vcc_lo, 2, v62
	s_delay_alu instid0(VALU_DEP_2) | instskip(SKIP_1) | instid1(VALU_DEP_2)
	v_cndmask_b32_e32 v64, v64, v20, vcc_lo
	v_cmp_eq_u32_e32 vcc_lo, 3, v62
	v_cndmask_b32_e32 v64, v64, v21, vcc_lo
	v_cmp_eq_u32_e32 vcc_lo, 4, v62
	s_delay_alu instid0(VALU_DEP_2) | instskip(SKIP_1) | instid1(VALU_DEP_2)
	v_cndmask_b32_e32 v64, v64, v22, vcc_lo
	v_cmp_eq_u32_e32 vcc_lo, 5, v62
	;; [unrolled: 5-line block ×5, first 2 shown]
	v_cndmask_b32_e32 v64, v64, v29, vcc_lo
	v_cmp_eq_u32_e32 vcc_lo, 12, v62
	s_delay_alu instid0(VALU_DEP_2) | instskip(SKIP_2) | instid1(VALU_DEP_3)
	v_cndmask_b32_e32 v64, v64, v30, vcc_lo
	v_cmp_eq_u32_e32 vcc_lo, 13, v62
	v_add_nc_u64_e32 v[62:63], 1, v[62:63]
	v_cndmask_b32_e32 v64, v64, v31, vcc_lo
	v_cmp_eq_u32_e32 vcc_lo, 0, v32
	s_wait_dscnt 0x0
	s_delay_alu instid0(VALU_DEP_2) | instskip(SKIP_1) | instid1(SALU_CYCLE_1)
	v_fmac_f32_e32 v65, v64, v67
	s_or_b32 s2, vcc_lo, s2
	s_and_not1_b32 exec_lo, exec_lo, s2
	s_cbranch_execnz .LBB77_125
; %bb.126:
	s_or_b32 exec_lo, exec_lo, s2
.LBB77_127:
	s_delay_alu instid0(SALU_CYCLE_1)
	s_or_b32 exec_lo, exec_lo, s1
.LBB77_128:
	s_delay_alu instid0(SALU_CYCLE_1)
	s_or_b32 exec_lo, exec_lo, s5
	v_mov_b32_e32 v22, 0
	ds_load_b32 v22, v22 offset:16
	s_wait_dscnt 0x0
	v_mul_f32_e32 v22, v65, v22
.LBB77_129:
	s_or_b32 exec_lo, exec_lo, s4
	v_cmp_lt_u32_e64 s1, 3, v0
	ds_store_b32 v66, v21
	s_wait_dscnt 0x0
	s_barrier_signal -1
	s_barrier_wait -1
	s_and_saveexec_b32 s4, s1
	s_cbranch_execz .LBB77_145
; %bb.130:
	s_and_not1_b32 vcc_lo, exec_lo, s18
	s_cbranch_vccnz .LBB77_132
; %bb.131:
	v_cmp_eq_u32_e32 vcc_lo, 1, v0
	ds_load_b32 v63, v66
	v_cndmask_b32_e32 v62, v18, v19, vcc_lo
	v_cmp_eq_u32_e32 vcc_lo, 2, v0
	s_delay_alu instid0(VALU_DEP_2) | instskip(SKIP_1) | instid1(VALU_DEP_2)
	v_cndmask_b32_e32 v62, v62, v20, vcc_lo
	v_cmp_eq_u32_e32 vcc_lo, 3, v0
	v_cndmask_b32_e32 v62, v62, v21, vcc_lo
	v_cmp_eq_u32_e32 vcc_lo, 4, v0
	s_delay_alu instid0(VALU_DEP_2) | instskip(SKIP_1) | instid1(VALU_DEP_2)
	v_cndmask_b32_e32 v62, v62, v22, vcc_lo
	v_cmp_eq_u32_e32 vcc_lo, 5, v0
	;; [unrolled: 5-line block ×6, first 2 shown]
	v_cndmask_b32_e32 v62, v62, v31, vcc_lo
	s_wait_dscnt 0x0
	s_delay_alu instid0(VALU_DEP_1)
	v_mul_f32_e32 v65, v62, v63
	s_cbranch_execz .LBB77_133
	s_branch .LBB77_134
.LBB77_132:
                                        ; implicit-def: $vgpr65
.LBB77_133:
	ds_load_b32 v65, v66
.LBB77_134:
	s_and_saveexec_b32 s5, s0
	s_cbranch_execz .LBB77_144
; %bb.135:
	v_dual_add_nc_u32 v62, -5, v0 :: v_dual_add_nc_u32 v63, -4, v0
	s_delay_alu instid0(VALU_DEP_1)
	v_cmp_lt_u32_e32 vcc_lo, 6, v62
	v_mov_b32_e32 v62, 4
	s_and_saveexec_b32 s0, vcc_lo
	s_cbranch_execz .LBB77_139
; %bb.136:
	v_and_b32_e32 v62, -8, v63
	s_mov_b32 s6, 0
	s_mov_b64 s[2:3], 5
	s_movk_i32 s7, 0x50
	s_delay_alu instid0(VALU_DEP_1)
	v_sub_nc_u32_e32 v64, 0, v62
.LBB77_137:                             ; =>This Inner Loop Header: Depth=1
	s_add_co_i32 m0, s2, -1
	v_movrels_b32_e32 v67, v18
	v_mov_b32_e32 v62, s7
	s_mov_b32 m0, s2
	s_add_co_i32 s7, s7, 32
	v_movrels_b32_e32 v76, v18
	s_add_co_i32 m0, s2, 1
	ds_load_b128 v[68:71], v62
	ds_load_b128 v[72:75], v62 offset:16
	v_movrels_b32_e32 v62, v18
	s_add_co_i32 m0, s2, 2
	s_wait_dscnt 0x1
	v_fmac_f32_e32 v65, v67, v68
	v_movrels_b32_e32 v67, v18
	s_add_co_i32 m0, s2, 3
	s_delay_alu instid0(VALU_DEP_2) | instskip(NEXT) | instid1(VALU_DEP_1)
	v_fmac_f32_e32 v65, v76, v69
	v_fmac_f32_e32 v65, v62, v70
	v_movrels_b32_e32 v62, v18
	s_add_co_i32 m0, s2, 4
	s_delay_alu instid0(VALU_DEP_2) | instskip(SKIP_3) | instid1(VALU_DEP_2)
	v_fmac_f32_e32 v65, v67, v71
	v_movrels_b32_e32 v67, v18
	s_add_co_i32 m0, s2, 5
	s_wait_dscnt 0x0
	v_fmac_f32_e32 v65, v62, v72
	v_movrels_b32_e32 v62, v18
	s_add_co_i32 m0, s2, 6
	s_add_nc_u64 s[2:3], s[2:3], 8
	v_movrels_b32_e32 v68, v18
	v_dual_fmac_f32 v65, v67, v73 :: v_dual_add_nc_u32 v67, s2, v64
	s_add_co_i32 s8, s2, -1
	s_delay_alu instid0(VALU_DEP_1) | instskip(NEXT) | instid1(VALU_DEP_2)
	v_fmac_f32_e32 v65, v62, v74
	v_cmp_eq_u32_e32 vcc_lo, 5, v67
	s_delay_alu instid0(VALU_DEP_2) | instskip(SKIP_1) | instid1(SALU_CYCLE_1)
	v_dual_mov_b32 v62, s8 :: v_dual_fmac_f32 v65, v68, v75
	s_or_b32 s6, vcc_lo, s6
	s_and_not1_b32 exec_lo, exec_lo, s6
	s_cbranch_execnz .LBB77_137
; %bb.138:
	s_or_b32 exec_lo, exec_lo, s6
.LBB77_139:
	s_delay_alu instid0(SALU_CYCLE_1) | instskip(SKIP_3) | instid1(VALU_DEP_1)
	s_or_b32 exec_lo, exec_lo, s0
	v_and_b32_e32 v32, 7, v63
	s_mov_b32 s2, 0
	s_mov_b32 s0, exec_lo
	v_cmpx_ne_u32_e32 0, v32
	s_cbranch_execz .LBB77_143
; %bb.140:
	v_lshl_add_u32 v33, v62, 2, 64
	v_mov_b32_e32 v63, 0
.LBB77_141:                             ; =>This Inner Loop Header: Depth=1
	v_cmp_eq_u32_e32 vcc_lo, 1, v62
	ds_load_b32 v67, v33
	v_dual_add_nc_u32 v32, -1, v32 :: v_dual_add_nc_u32 v33, 4, v33
	v_cndmask_b32_e32 v64, v18, v19, vcc_lo
	v_cmp_eq_u32_e32 vcc_lo, 2, v62
	s_delay_alu instid0(VALU_DEP_2) | instskip(SKIP_1) | instid1(VALU_DEP_2)
	v_cndmask_b32_e32 v64, v64, v20, vcc_lo
	v_cmp_eq_u32_e32 vcc_lo, 3, v62
	v_cndmask_b32_e32 v64, v64, v21, vcc_lo
	v_cmp_eq_u32_e32 vcc_lo, 4, v62
	s_delay_alu instid0(VALU_DEP_2) | instskip(SKIP_1) | instid1(VALU_DEP_2)
	v_cndmask_b32_e32 v64, v64, v22, vcc_lo
	v_cmp_eq_u32_e32 vcc_lo, 5, v62
	;; [unrolled: 5-line block ×5, first 2 shown]
	v_cndmask_b32_e32 v64, v64, v29, vcc_lo
	v_cmp_eq_u32_e32 vcc_lo, 12, v62
	s_delay_alu instid0(VALU_DEP_2) | instskip(SKIP_2) | instid1(VALU_DEP_3)
	v_cndmask_b32_e32 v64, v64, v30, vcc_lo
	v_cmp_eq_u32_e32 vcc_lo, 13, v62
	v_add_nc_u64_e32 v[62:63], 1, v[62:63]
	v_cndmask_b32_e32 v64, v64, v31, vcc_lo
	v_cmp_eq_u32_e32 vcc_lo, 0, v32
	s_wait_dscnt 0x0
	s_delay_alu instid0(VALU_DEP_2) | instskip(SKIP_1) | instid1(SALU_CYCLE_1)
	v_fmac_f32_e32 v65, v64, v67
	s_or_b32 s2, vcc_lo, s2
	s_and_not1_b32 exec_lo, exec_lo, s2
	s_cbranch_execnz .LBB77_141
; %bb.142:
	s_or_b32 exec_lo, exec_lo, s2
.LBB77_143:
	s_delay_alu instid0(SALU_CYCLE_1)
	s_or_b32 exec_lo, exec_lo, s0
.LBB77_144:
	s_delay_alu instid0(SALU_CYCLE_1)
	s_or_b32 exec_lo, exec_lo, s5
	v_mov_b32_e32 v21, 0
	ds_load_b32 v21, v21 offset:12
	s_wait_dscnt 0x0
	v_mul_f32_e32 v21, v65, v21
.LBB77_145:
	s_or_b32 exec_lo, exec_lo, s4
	v_cmp_lt_u32_e64 s0, 2, v0
	ds_store_b32 v66, v20
	s_wait_dscnt 0x0
	s_barrier_signal -1
	s_barrier_wait -1
	s_and_saveexec_b32 s4, s0
	s_cbranch_execz .LBB77_161
; %bb.146:
	s_and_not1_b32 vcc_lo, exec_lo, s18
	s_cbranch_vccnz .LBB77_148
; %bb.147:
	v_cmp_eq_u32_e32 vcc_lo, 1, v0
	ds_load_b32 v63, v66
	v_cndmask_b32_e32 v62, v18, v19, vcc_lo
	v_cmp_eq_u32_e32 vcc_lo, 2, v0
	s_delay_alu instid0(VALU_DEP_2) | instskip(SKIP_1) | instid1(VALU_DEP_2)
	v_cndmask_b32_e32 v62, v62, v20, vcc_lo
	v_cmp_eq_u32_e32 vcc_lo, 3, v0
	v_cndmask_b32_e32 v62, v62, v21, vcc_lo
	v_cmp_eq_u32_e32 vcc_lo, 4, v0
	s_delay_alu instid0(VALU_DEP_2) | instskip(SKIP_1) | instid1(VALU_DEP_2)
	v_cndmask_b32_e32 v62, v62, v22, vcc_lo
	v_cmp_eq_u32_e32 vcc_lo, 5, v0
	v_cndmask_b32_e32 v62, v62, v23, vcc_lo
	v_cmp_eq_u32_e32 vcc_lo, 6, v0
	s_delay_alu instid0(VALU_DEP_2) | instskip(SKIP_1) | instid1(VALU_DEP_2)
	v_cndmask_b32_e32 v62, v62, v24, vcc_lo
	v_cmp_eq_u32_e32 vcc_lo, 7, v0
	v_cndmask_b32_e32 v62, v62, v25, vcc_lo
	v_cmp_eq_u32_e32 vcc_lo, 8, v0
	s_delay_alu instid0(VALU_DEP_2) | instskip(SKIP_1) | instid1(VALU_DEP_2)
	v_cndmask_b32_e32 v62, v62, v26, vcc_lo
	v_cmp_eq_u32_e32 vcc_lo, 9, v0
	v_cndmask_b32_e32 v62, v62, v27, vcc_lo
	v_cmp_eq_u32_e32 vcc_lo, 10, v0
	s_delay_alu instid0(VALU_DEP_2) | instskip(SKIP_1) | instid1(VALU_DEP_2)
	v_cndmask_b32_e32 v62, v62, v28, vcc_lo
	v_cmp_eq_u32_e32 vcc_lo, 11, v0
	v_cndmask_b32_e32 v62, v62, v29, vcc_lo
	v_cmp_eq_u32_e32 vcc_lo, 12, v0
	s_delay_alu instid0(VALU_DEP_2) | instskip(SKIP_1) | instid1(VALU_DEP_2)
	v_cndmask_b32_e32 v62, v62, v30, vcc_lo
	v_cmp_eq_u32_e32 vcc_lo, 13, v0
	v_cndmask_b32_e32 v62, v62, v31, vcc_lo
	s_wait_dscnt 0x0
	s_delay_alu instid0(VALU_DEP_1)
	v_mul_f32_e32 v65, v62, v63
	s_cbranch_execz .LBB77_149
	s_branch .LBB77_150
.LBB77_148:
                                        ; implicit-def: $vgpr65
.LBB77_149:
	ds_load_b32 v65, v66
.LBB77_150:
	s_and_saveexec_b32 s5, s1
	s_cbranch_execz .LBB77_160
; %bb.151:
	v_dual_add_nc_u32 v62, -4, v0 :: v_dual_add_nc_u32 v63, -3, v0
	s_delay_alu instid0(VALU_DEP_1)
	v_cmp_lt_u32_e32 vcc_lo, 6, v62
	v_mov_b32_e32 v62, 3
	s_and_saveexec_b32 s1, vcc_lo
	s_cbranch_execz .LBB77_155
; %bb.152:
	v_and_b32_e32 v62, -8, v63
	s_mov_b32 s6, 0
	s_mov_b64 s[2:3], 10
	s_movk_i32 s7, 0x4c
	s_delay_alu instid0(VALU_DEP_1)
	v_sub_nc_u32_e32 v64, 0, v62
.LBB77_153:                             ; =>This Inner Loop Header: Depth=1
	s_add_co_i32 m0, s2, -7
	v_movrels_b32_e32 v67, v18
	v_mov_b32_e32 v62, s7
	s_add_co_i32 m0, s2, -6
	s_add_co_i32 s7, s7, 32
	v_movrels_b32_e32 v76, v18
	ds_load_2addr_b32 v[68:69], v62 offset1:1
	ds_load_2addr_b32 v[70:71], v62 offset0:2 offset1:3
	s_add_co_i32 m0, s2, -5
	s_wait_dscnt 0x1
	v_fmac_f32_e32 v65, v67, v68
	ds_load_2addr_b32 v[72:73], v62 offset0:4 offset1:5
	ds_load_2addr_b32 v[74:75], v62 offset0:6 offset1:7
	v_movrels_b32_e32 v62, v18
	s_add_co_i32 m0, s2, -4
	v_fmac_f32_e32 v65, v76, v69
	v_movrels_b32_e32 v67, v18
	s_add_co_i32 m0, s2, -3
	s_wait_dscnt 0x2
	s_delay_alu instid0(VALU_DEP_2) | instskip(SKIP_2) | instid1(VALU_DEP_2)
	v_fmac_f32_e32 v65, v62, v70
	v_movrels_b32_e32 v62, v18
	s_add_co_i32 m0, s2, -2
	v_fmac_f32_e32 v65, v67, v71
	v_movrels_b32_e32 v67, v18
	s_add_co_i32 m0, s2, -1
	s_wait_dscnt 0x1
	s_delay_alu instid0(VALU_DEP_2)
	v_fmac_f32_e32 v65, v62, v72
	v_movrels_b32_e32 v62, v18
	s_mov_b32 m0, s2
	s_add_nc_u64 s[2:3], s[2:3], 8
	v_movrels_b32_e32 v68, v18
	v_dual_fmac_f32 v65, v67, v73 :: v_dual_add_nc_u32 v67, s2, v64
	s_add_co_i32 s8, s2, -7
	s_wait_dscnt 0x0
	s_delay_alu instid0(VALU_DEP_1) | instskip(NEXT) | instid1(VALU_DEP_2)
	v_fmac_f32_e32 v65, v62, v74
	v_cmp_eq_u32_e32 vcc_lo, 10, v67
	s_delay_alu instid0(VALU_DEP_2) | instskip(SKIP_1) | instid1(SALU_CYCLE_1)
	v_dual_mov_b32 v62, s8 :: v_dual_fmac_f32 v65, v68, v75
	s_or_b32 s6, vcc_lo, s6
	s_and_not1_b32 exec_lo, exec_lo, s6
	s_cbranch_execnz .LBB77_153
; %bb.154:
	s_or_b32 exec_lo, exec_lo, s6
.LBB77_155:
	s_delay_alu instid0(SALU_CYCLE_1) | instskip(SKIP_3) | instid1(VALU_DEP_1)
	s_or_b32 exec_lo, exec_lo, s1
	v_and_b32_e32 v32, 7, v63
	s_mov_b32 s2, 0
	s_mov_b32 s1, exec_lo
	v_cmpx_ne_u32_e32 0, v32
	s_cbranch_execz .LBB77_159
; %bb.156:
	v_lshl_add_u32 v33, v62, 2, 64
	v_mov_b32_e32 v63, 0
.LBB77_157:                             ; =>This Inner Loop Header: Depth=1
	v_cmp_eq_u32_e32 vcc_lo, 1, v62
	ds_load_b32 v67, v33
	v_dual_add_nc_u32 v32, -1, v32 :: v_dual_add_nc_u32 v33, 4, v33
	v_cndmask_b32_e32 v64, v18, v19, vcc_lo
	v_cmp_eq_u32_e32 vcc_lo, 2, v62
	s_delay_alu instid0(VALU_DEP_2) | instskip(SKIP_1) | instid1(VALU_DEP_2)
	v_cndmask_b32_e32 v64, v64, v20, vcc_lo
	v_cmp_eq_u32_e32 vcc_lo, 3, v62
	v_cndmask_b32_e32 v64, v64, v21, vcc_lo
	v_cmp_eq_u32_e32 vcc_lo, 4, v62
	s_delay_alu instid0(VALU_DEP_2) | instskip(SKIP_1) | instid1(VALU_DEP_2)
	v_cndmask_b32_e32 v64, v64, v22, vcc_lo
	v_cmp_eq_u32_e32 vcc_lo, 5, v62
	;; [unrolled: 5-line block ×5, first 2 shown]
	v_cndmask_b32_e32 v64, v64, v29, vcc_lo
	v_cmp_eq_u32_e32 vcc_lo, 12, v62
	s_delay_alu instid0(VALU_DEP_2) | instskip(SKIP_2) | instid1(VALU_DEP_3)
	v_cndmask_b32_e32 v64, v64, v30, vcc_lo
	v_cmp_eq_u32_e32 vcc_lo, 13, v62
	v_add_nc_u64_e32 v[62:63], 1, v[62:63]
	v_cndmask_b32_e32 v64, v64, v31, vcc_lo
	v_cmp_eq_u32_e32 vcc_lo, 0, v32
	s_wait_dscnt 0x0
	s_delay_alu instid0(VALU_DEP_2) | instskip(SKIP_1) | instid1(SALU_CYCLE_1)
	v_fmac_f32_e32 v65, v64, v67
	s_or_b32 s2, vcc_lo, s2
	s_and_not1_b32 exec_lo, exec_lo, s2
	s_cbranch_execnz .LBB77_157
; %bb.158:
	s_or_b32 exec_lo, exec_lo, s2
.LBB77_159:
	s_delay_alu instid0(SALU_CYCLE_1)
	s_or_b32 exec_lo, exec_lo, s1
.LBB77_160:
	s_delay_alu instid0(SALU_CYCLE_1)
	s_or_b32 exec_lo, exec_lo, s5
	v_mov_b32_e32 v20, 0
	ds_load_b32 v20, v20 offset:8
	s_wait_dscnt 0x0
	v_mul_f32_e32 v20, v65, v20
.LBB77_161:
	s_or_b32 exec_lo, exec_lo, s4
	v_cmp_lt_u32_e64 s1, 1, v0
	ds_store_b32 v66, v19
	s_wait_dscnt 0x0
	s_barrier_signal -1
	s_barrier_wait -1
	s_and_saveexec_b32 s4, s1
	s_cbranch_execz .LBB77_177
; %bb.162:
	s_and_not1_b32 vcc_lo, exec_lo, s18
	s_cbranch_vccnz .LBB77_164
; %bb.163:
	v_cmp_eq_u32_e32 vcc_lo, 1, v0
	ds_load_b32 v63, v66
	v_cndmask_b32_e32 v62, v18, v19, vcc_lo
	v_cmp_eq_u32_e32 vcc_lo, 2, v0
	s_delay_alu instid0(VALU_DEP_2) | instskip(SKIP_1) | instid1(VALU_DEP_2)
	v_cndmask_b32_e32 v62, v62, v20, vcc_lo
	v_cmp_eq_u32_e32 vcc_lo, 3, v0
	v_cndmask_b32_e32 v62, v62, v21, vcc_lo
	v_cmp_eq_u32_e32 vcc_lo, 4, v0
	s_delay_alu instid0(VALU_DEP_2) | instskip(SKIP_1) | instid1(VALU_DEP_2)
	v_cndmask_b32_e32 v62, v62, v22, vcc_lo
	v_cmp_eq_u32_e32 vcc_lo, 5, v0
	;; [unrolled: 5-line block ×6, first 2 shown]
	v_cndmask_b32_e32 v62, v62, v31, vcc_lo
	s_wait_dscnt 0x0
	s_delay_alu instid0(VALU_DEP_1)
	v_mul_f32_e32 v65, v62, v63
	s_cbranch_execz .LBB77_165
	s_branch .LBB77_166
.LBB77_164:
                                        ; implicit-def: $vgpr65
.LBB77_165:
	ds_load_b32 v65, v66
.LBB77_166:
	s_and_saveexec_b32 s5, s0
	s_cbranch_execz .LBB77_176
; %bb.167:
	v_dual_add_nc_u32 v62, -3, v0 :: v_dual_add_nc_u32 v63, -2, v0
	s_delay_alu instid0(VALU_DEP_1)
	v_cmp_lt_u32_e32 vcc_lo, 6, v62
	v_mov_b32_e32 v62, 2
	s_and_saveexec_b32 s0, vcc_lo
	s_cbranch_execz .LBB77_171
; %bb.168:
	v_and_b32_e32 v62, -8, v63
	s_mov_b32 s6, 0
	s_mov_b64 s[2:3], 9
	s_movk_i32 s7, 0x48
	s_delay_alu instid0(VALU_DEP_1)
	v_sub_nc_u32_e32 v64, 0, v62
.LBB77_169:                             ; =>This Inner Loop Header: Depth=1
	s_add_co_i32 m0, s2, -7
	v_movrels_b32_e32 v67, v18
	v_mov_b32_e32 v62, s7
	s_add_co_i32 m0, s2, -6
	s_add_co_i32 s7, s7, 32
	v_movrels_b32_e32 v76, v18
	s_add_co_i32 m0, s2, -5
	ds_load_2addr_b64 v[68:71], v62 offset1:1
	ds_load_2addr_b64 v[72:75], v62 offset0:2 offset1:3
	v_movrels_b32_e32 v62, v18
	s_add_co_i32 m0, s2, -4
	s_wait_dscnt 0x1
	v_fmac_f32_e32 v65, v67, v68
	v_movrels_b32_e32 v67, v18
	s_add_co_i32 m0, s2, -3
	s_delay_alu instid0(VALU_DEP_2) | instskip(NEXT) | instid1(VALU_DEP_1)
	v_fmac_f32_e32 v65, v76, v69
	v_fmac_f32_e32 v65, v62, v70
	v_movrels_b32_e32 v62, v18
	s_add_co_i32 m0, s2, -2
	s_delay_alu instid0(VALU_DEP_2) | instskip(SKIP_3) | instid1(VALU_DEP_2)
	v_fmac_f32_e32 v65, v67, v71
	v_movrels_b32_e32 v67, v18
	s_add_co_i32 m0, s2, -1
	s_wait_dscnt 0x0
	v_fmac_f32_e32 v65, v62, v72
	v_movrels_b32_e32 v62, v18
	s_mov_b32 m0, s2
	s_add_nc_u64 s[2:3], s[2:3], 8
	v_movrels_b32_e32 v68, v18
	v_dual_fmac_f32 v65, v67, v73 :: v_dual_add_nc_u32 v67, s2, v64
	s_add_co_i32 s8, s2, -7
	s_delay_alu instid0(VALU_DEP_1) | instskip(NEXT) | instid1(VALU_DEP_2)
	v_fmac_f32_e32 v65, v62, v74
	v_cmp_eq_u32_e32 vcc_lo, 9, v67
	s_delay_alu instid0(VALU_DEP_2) | instskip(SKIP_1) | instid1(SALU_CYCLE_1)
	v_dual_mov_b32 v62, s8 :: v_dual_fmac_f32 v65, v68, v75
	s_or_b32 s6, vcc_lo, s6
	s_and_not1_b32 exec_lo, exec_lo, s6
	s_cbranch_execnz .LBB77_169
; %bb.170:
	s_or_b32 exec_lo, exec_lo, s6
.LBB77_171:
	s_delay_alu instid0(SALU_CYCLE_1) | instskip(SKIP_3) | instid1(VALU_DEP_1)
	s_or_b32 exec_lo, exec_lo, s0
	v_and_b32_e32 v32, 7, v63
	s_mov_b32 s2, 0
	s_mov_b32 s0, exec_lo
	v_cmpx_ne_u32_e32 0, v32
	s_cbranch_execz .LBB77_175
; %bb.172:
	v_lshl_add_u32 v33, v62, 2, 64
	v_mov_b32_e32 v63, 0
.LBB77_173:                             ; =>This Inner Loop Header: Depth=1
	v_cmp_eq_u32_e32 vcc_lo, 1, v62
	ds_load_b32 v67, v33
	v_dual_add_nc_u32 v32, -1, v32 :: v_dual_add_nc_u32 v33, 4, v33
	v_cndmask_b32_e32 v64, v18, v19, vcc_lo
	v_cmp_eq_u32_e32 vcc_lo, 2, v62
	s_delay_alu instid0(VALU_DEP_2) | instskip(SKIP_1) | instid1(VALU_DEP_2)
	v_cndmask_b32_e32 v64, v64, v20, vcc_lo
	v_cmp_eq_u32_e32 vcc_lo, 3, v62
	v_cndmask_b32_e32 v64, v64, v21, vcc_lo
	v_cmp_eq_u32_e32 vcc_lo, 4, v62
	s_delay_alu instid0(VALU_DEP_2) | instskip(SKIP_1) | instid1(VALU_DEP_2)
	v_cndmask_b32_e32 v64, v64, v22, vcc_lo
	v_cmp_eq_u32_e32 vcc_lo, 5, v62
	;; [unrolled: 5-line block ×5, first 2 shown]
	v_cndmask_b32_e32 v64, v64, v29, vcc_lo
	v_cmp_eq_u32_e32 vcc_lo, 12, v62
	s_delay_alu instid0(VALU_DEP_2) | instskip(SKIP_2) | instid1(VALU_DEP_3)
	v_cndmask_b32_e32 v64, v64, v30, vcc_lo
	v_cmp_eq_u32_e32 vcc_lo, 13, v62
	v_add_nc_u64_e32 v[62:63], 1, v[62:63]
	v_cndmask_b32_e32 v64, v64, v31, vcc_lo
	v_cmp_eq_u32_e32 vcc_lo, 0, v32
	s_wait_dscnt 0x0
	s_delay_alu instid0(VALU_DEP_2) | instskip(SKIP_1) | instid1(SALU_CYCLE_1)
	v_fmac_f32_e32 v65, v64, v67
	s_or_b32 s2, vcc_lo, s2
	s_and_not1_b32 exec_lo, exec_lo, s2
	s_cbranch_execnz .LBB77_173
; %bb.174:
	s_or_b32 exec_lo, exec_lo, s2
.LBB77_175:
	s_delay_alu instid0(SALU_CYCLE_1)
	s_or_b32 exec_lo, exec_lo, s0
.LBB77_176:
	s_delay_alu instid0(SALU_CYCLE_1)
	s_or_b32 exec_lo, exec_lo, s5
	v_mov_b32_e32 v19, 0
	ds_load_b32 v19, v19 offset:4
	s_wait_dscnt 0x0
	v_mul_f32_e32 v19, v65, v19
.LBB77_177:
	s_or_b32 exec_lo, exec_lo, s4
	s_mov_b32 s2, 0
	s_mov_b32 s3, exec_lo
	ds_store_b32 v66, v18
	s_wait_dscnt 0x0
	s_barrier_signal -1
	s_barrier_wait -1
	v_cmpx_ne_u32_e32 0, v0
	s_cbranch_execz .LBB77_193
; %bb.178:
	s_and_not1_b32 vcc_lo, exec_lo, s18
	s_cbranch_vccnz .LBB77_180
; %bb.179:
	v_cmp_eq_u32_e32 vcc_lo, 1, v0
	ds_load_b32 v63, v66
	v_cndmask_b32_e32 v62, v18, v19, vcc_lo
	v_cmp_eq_u32_e32 vcc_lo, 2, v0
	s_delay_alu instid0(VALU_DEP_2) | instskip(SKIP_1) | instid1(VALU_DEP_2)
	v_cndmask_b32_e32 v62, v62, v20, vcc_lo
	v_cmp_eq_u32_e32 vcc_lo, 3, v0
	v_cndmask_b32_e32 v62, v62, v21, vcc_lo
	v_cmp_eq_u32_e32 vcc_lo, 4, v0
	s_delay_alu instid0(VALU_DEP_2) | instskip(SKIP_1) | instid1(VALU_DEP_2)
	v_cndmask_b32_e32 v62, v62, v22, vcc_lo
	v_cmp_eq_u32_e32 vcc_lo, 5, v0
	;; [unrolled: 5-line block ×6, first 2 shown]
	v_cndmask_b32_e32 v62, v62, v31, vcc_lo
	s_wait_dscnt 0x0
	s_delay_alu instid0(VALU_DEP_1)
	v_mul_f32_e32 v65, v62, v63
	s_cbranch_execz .LBB77_181
	s_branch .LBB77_182
.LBB77_180:
                                        ; implicit-def: $vgpr65
.LBB77_181:
	ds_load_b32 v65, v66
.LBB77_182:
	s_and_saveexec_b32 s4, s1
	s_cbranch_execz .LBB77_192
; %bb.183:
	v_dual_add_nc_u32 v62, -2, v0 :: v_dual_add_nc_u32 v63, -1, v0
	s_delay_alu instid0(VALU_DEP_1)
	v_cmp_lt_u32_e32 vcc_lo, 6, v62
	v_mov_b32_e32 v62, 1
	s_and_saveexec_b32 s5, vcc_lo
	s_cbranch_execz .LBB77_187
; %bb.184:
	v_and_b32_e32 v62, -8, v63
	s_mov_b32 s6, 0
	s_mov_b64 s[0:1], 8
	s_movk_i32 s7, 0x44
	s_delay_alu instid0(VALU_DEP_1)
	v_sub_nc_u32_e32 v64, 0, v62
.LBB77_185:                             ; =>This Inner Loop Header: Depth=1
	s_add_co_i32 m0, s0, -7
	v_movrels_b32_e32 v67, v18
	v_mov_b32_e32 v62, s7
	s_add_co_i32 m0, s0, -6
	s_add_co_i32 s7, s7, 32
	v_movrels_b32_e32 v76, v18
	ds_load_2addr_b32 v[68:69], v62 offset1:1
	ds_load_2addr_b32 v[70:71], v62 offset0:2 offset1:3
	s_add_co_i32 m0, s0, -5
	s_wait_dscnt 0x1
	v_fmac_f32_e32 v65, v67, v68
	ds_load_2addr_b32 v[72:73], v62 offset0:4 offset1:5
	ds_load_2addr_b32 v[74:75], v62 offset0:6 offset1:7
	v_movrels_b32_e32 v62, v18
	s_add_co_i32 m0, s0, -4
	v_fmac_f32_e32 v65, v76, v69
	v_movrels_b32_e32 v67, v18
	s_add_co_i32 m0, s0, -3
	s_wait_dscnt 0x2
	s_delay_alu instid0(VALU_DEP_2) | instskip(SKIP_2) | instid1(VALU_DEP_2)
	v_fmac_f32_e32 v65, v62, v70
	v_movrels_b32_e32 v62, v18
	s_add_co_i32 m0, s0, -2
	v_fmac_f32_e32 v65, v67, v71
	v_movrels_b32_e32 v67, v18
	s_add_co_i32 m0, s0, -1
	s_wait_dscnt 0x1
	s_delay_alu instid0(VALU_DEP_2)
	v_fmac_f32_e32 v65, v62, v72
	v_movrels_b32_e32 v62, v18
	s_mov_b32 m0, s0
	s_add_nc_u64 s[0:1], s[0:1], 8
	v_movrels_b32_e32 v68, v18
	v_dual_fmac_f32 v65, v67, v73 :: v_dual_add_nc_u32 v67, s0, v64
	s_add_co_i32 s8, s0, -7
	s_wait_dscnt 0x0
	s_delay_alu instid0(VALU_DEP_1) | instskip(NEXT) | instid1(VALU_DEP_2)
	v_fmac_f32_e32 v65, v62, v74
	v_cmp_eq_u32_e32 vcc_lo, 8, v67
	s_delay_alu instid0(VALU_DEP_2) | instskip(SKIP_1) | instid1(SALU_CYCLE_1)
	v_dual_mov_b32 v62, s8 :: v_dual_fmac_f32 v65, v68, v75
	s_or_b32 s6, vcc_lo, s6
	s_and_not1_b32 exec_lo, exec_lo, s6
	s_cbranch_execnz .LBB77_185
; %bb.186:
	s_or_b32 exec_lo, exec_lo, s6
.LBB77_187:
	s_delay_alu instid0(SALU_CYCLE_1) | instskip(SKIP_3) | instid1(VALU_DEP_1)
	s_or_b32 exec_lo, exec_lo, s5
	v_and_b32_e32 v32, 7, v63
	s_mov_b32 s1, 0
	s_mov_b32 s0, exec_lo
	v_cmpx_ne_u32_e32 0, v32
	s_cbranch_execz .LBB77_191
; %bb.188:
	v_lshl_add_u32 v33, v62, 2, 64
	v_mov_b32_e32 v63, 0
.LBB77_189:                             ; =>This Inner Loop Header: Depth=1
	v_cmp_eq_u32_e32 vcc_lo, 1, v62
	ds_load_b32 v67, v33
	v_dual_add_nc_u32 v32, -1, v32 :: v_dual_add_nc_u32 v33, 4, v33
	v_cndmask_b32_e32 v64, v18, v19, vcc_lo
	v_cmp_eq_u32_e32 vcc_lo, 2, v62
	s_delay_alu instid0(VALU_DEP_2) | instskip(SKIP_1) | instid1(VALU_DEP_2)
	v_cndmask_b32_e32 v64, v64, v20, vcc_lo
	v_cmp_eq_u32_e32 vcc_lo, 3, v62
	v_cndmask_b32_e32 v64, v64, v21, vcc_lo
	v_cmp_eq_u32_e32 vcc_lo, 4, v62
	s_delay_alu instid0(VALU_DEP_2) | instskip(SKIP_1) | instid1(VALU_DEP_2)
	v_cndmask_b32_e32 v64, v64, v22, vcc_lo
	v_cmp_eq_u32_e32 vcc_lo, 5, v62
	;; [unrolled: 5-line block ×5, first 2 shown]
	v_cndmask_b32_e32 v64, v64, v29, vcc_lo
	v_cmp_eq_u32_e32 vcc_lo, 12, v62
	s_delay_alu instid0(VALU_DEP_2) | instskip(SKIP_2) | instid1(VALU_DEP_3)
	v_cndmask_b32_e32 v64, v64, v30, vcc_lo
	v_cmp_eq_u32_e32 vcc_lo, 13, v62
	v_add_nc_u64_e32 v[62:63], 1, v[62:63]
	v_cndmask_b32_e32 v64, v64, v31, vcc_lo
	v_cmp_eq_u32_e32 vcc_lo, 0, v32
	s_wait_dscnt 0x0
	s_delay_alu instid0(VALU_DEP_2) | instskip(SKIP_1) | instid1(SALU_CYCLE_1)
	v_fmac_f32_e32 v65, v64, v67
	s_or_b32 s1, vcc_lo, s1
	s_and_not1_b32 exec_lo, exec_lo, s1
	s_cbranch_execnz .LBB77_189
; %bb.190:
	s_or_b32 exec_lo, exec_lo, s1
.LBB77_191:
	s_delay_alu instid0(SALU_CYCLE_1)
	s_or_b32 exec_lo, exec_lo, s0
.LBB77_192:
	s_delay_alu instid0(SALU_CYCLE_1)
	s_or_b32 exec_lo, exec_lo, s4
	v_mov_b32_e32 v18, 0
	ds_load_b32 v18, v18
	s_wait_dscnt 0x0
	v_mul_f32_e32 v18, v65, v18
.LBB77_193:
	s_or_b32 exec_lo, exec_lo, s3
	s_delay_alu instid0(SALU_CYCLE_1)
	s_and_b32 vcc_lo, exec_lo, s2
	s_cbranch_vccz .LBB77_327
.LBB77_194:
	v_cmp_eq_u32_e64 s0, 0, v0
	s_wait_loadcnt_dscnt 0xd0e
	ds_store_b32 v66, v3
	s_wait_loadcnt_dscnt 0x0
	s_barrier_signal -1
	s_barrier_wait -1
	s_and_saveexec_b32 s1, s0
	s_cbranch_execz .LBB77_200
; %bb.195:
	s_and_b32 vcc_lo, exec_lo, s18
	s_cbranch_vccz .LBB77_197
; %bb.196:
	v_cmp_eq_u32_e32 vcc_lo, 1, v0
	ds_load_b32 v16, v66
	v_cndmask_b32_e32 v3, v2, v3, vcc_lo
	v_cmp_eq_u32_e32 vcc_lo, 2, v0
	s_delay_alu instid0(VALU_DEP_2) | instskip(SKIP_1) | instid1(VALU_DEP_2)
	v_cndmask_b32_e32 v3, v3, v4, vcc_lo
	v_cmp_eq_u32_e32 vcc_lo, 3, v0
	v_cndmask_b32_e32 v3, v3, v5, vcc_lo
	v_cmp_eq_u32_e32 vcc_lo, 4, v0
	s_delay_alu instid0(VALU_DEP_2) | instskip(SKIP_1) | instid1(VALU_DEP_2)
	v_cndmask_b32_e32 v3, v3, v6, vcc_lo
	v_cmp_eq_u32_e32 vcc_lo, 5, v0
	;; [unrolled: 5-line block ×6, first 2 shown]
	v_cndmask_b32_e32 v3, v3, v15, vcc_lo
	s_wait_dscnt 0x0
	s_delay_alu instid0(VALU_DEP_1)
	v_mul_f32_e32 v3, v3, v16
	s_cbranch_execz .LBB77_198
	s_branch .LBB77_199
.LBB77_197:
                                        ; implicit-def: $vgpr3
.LBB77_198:
	ds_load_b32 v3, v66
.LBB77_199:
	v_mov_b32_e32 v16, 0
	ds_load_b32 v16, v16 offset:4
	s_wait_dscnt 0x0
	v_mul_f32_e32 v3, v3, v16
.LBB77_200:
	s_or_b32 exec_lo, exec_lo, s1
	v_cndmask_b32_e64 v18, 0, 1, s18
	s_mov_b32 s1, exec_lo
	ds_store_b32 v66, v4
	s_wait_dscnt 0x0
	s_barrier_signal -1
	s_barrier_wait -1
	v_cmpx_gt_u32_e32 2, v0
	s_cbranch_execz .LBB77_206
; %bb.201:
	s_and_not1_b32 vcc_lo, exec_lo, s18
	s_cbranch_vccnz .LBB77_203
; %bb.202:
	v_cmp_eq_u32_e32 vcc_lo, 1, v0
	v_cndmask_b32_e32 v16, v2, v3, vcc_lo
	v_cmp_eq_u32_e32 vcc_lo, 2, v0
	s_delay_alu instid0(VALU_DEP_2) | instskip(SKIP_4) | instid1(VALU_DEP_2)
	v_cndmask_b32_e32 v4, v16, v4, vcc_lo
	v_cmp_eq_u32_e32 vcc_lo, 3, v0
	ds_load_b32 v16, v66
	v_cndmask_b32_e32 v4, v4, v5, vcc_lo
	v_cmp_eq_u32_e32 vcc_lo, 4, v0
	v_cndmask_b32_e32 v4, v4, v6, vcc_lo
	v_cmp_eq_u32_e32 vcc_lo, 5, v0
	s_delay_alu instid0(VALU_DEP_2) | instskip(SKIP_1) | instid1(VALU_DEP_2)
	v_cndmask_b32_e32 v4, v4, v7, vcc_lo
	v_cmp_eq_u32_e32 vcc_lo, 6, v0
	v_cndmask_b32_e32 v4, v4, v8, vcc_lo
	v_cmp_eq_u32_e32 vcc_lo, 7, v0
	s_delay_alu instid0(VALU_DEP_2) | instskip(SKIP_1) | instid1(VALU_DEP_2)
	;; [unrolled: 5-line block ×4, first 2 shown]
	v_cndmask_b32_e32 v4, v4, v13, vcc_lo
	v_cmp_eq_u32_e32 vcc_lo, 12, v0
	v_cndmask_b32_e32 v4, v4, v14, vcc_lo
	v_cmp_eq_u32_e32 vcc_lo, 13, v0
	s_delay_alu instid0(VALU_DEP_2) | instskip(SKIP_1) | instid1(VALU_DEP_1)
	v_cndmask_b32_e32 v4, v4, v15, vcc_lo
	s_wait_dscnt 0x0
	v_mul_f32_e32 v4, v4, v16
	s_cbranch_execz .LBB77_204
	s_branch .LBB77_205
.LBB77_203:
                                        ; implicit-def: $vgpr4
.LBB77_204:
	ds_load_b32 v4, v66
.LBB77_205:
	v_mov_b32_e32 v16, 0
	ds_load_2addr_b32 v[16:17], v16 offset0:2 offset1:17
	s_wait_dscnt 0x0
	v_fma_f32 v17, v3, v17, v4
	s_delay_alu instid0(VALU_DEP_1) | instskip(NEXT) | instid1(VALU_DEP_1)
	v_cndmask_b32_e64 v4, v4, v17, s0
	v_mul_f32_e32 v4, v4, v16
.LBB77_206:
	s_or_b32 exec_lo, exec_lo, s1
	v_add_nc_u32_e32 v19, 1, v0
	v_cmp_gt_u32_e64 s1, 3, v0
	ds_store_b32 v66, v5
	s_wait_dscnt 0x0
	s_barrier_signal -1
	s_barrier_wait -1
	s_and_saveexec_b32 s2, s1
	s_cbranch_execz .LBB77_214
; %bb.207:
	v_cmp_ne_u32_e32 vcc_lo, 1, v18
	s_cbranch_vccnz .LBB77_209
; %bb.208:
	v_cmp_eq_u32_e32 vcc_lo, 1, v0
	ds_load_b32 v17, v66
	v_cndmask_b32_e32 v16, v2, v3, vcc_lo
	v_cmp_eq_u32_e32 vcc_lo, 2, v0
	s_delay_alu instid0(VALU_DEP_2) | instskip(SKIP_1) | instid1(VALU_DEP_2)
	v_cndmask_b32_e32 v16, v16, v4, vcc_lo
	v_cmp_eq_u32_e32 vcc_lo, 3, v0
	v_cndmask_b32_e32 v16, v16, v5, vcc_lo
	v_cmp_eq_u32_e32 vcc_lo, 4, v0
	s_delay_alu instid0(VALU_DEP_2) | instskip(SKIP_1) | instid1(VALU_DEP_2)
	v_cndmask_b32_e32 v16, v16, v6, vcc_lo
	v_cmp_eq_u32_e32 vcc_lo, 5, v0
	;; [unrolled: 5-line block ×6, first 2 shown]
	v_cndmask_b32_e32 v16, v16, v15, vcc_lo
	s_wait_dscnt 0x0
	s_delay_alu instid0(VALU_DEP_1)
	v_mul_f32_e32 v16, v16, v17
	s_cbranch_execz .LBB77_210
	s_branch .LBB77_211
.LBB77_209:
                                        ; implicit-def: $vgpr16
.LBB77_210:
	ds_load_b32 v16, v66
.LBB77_211:
	s_mov_b32 s3, exec_lo
	v_cmpx_ne_u32_e32 2, v0
	s_cbranch_execz .LBB77_213
; %bb.212:
	v_cmp_eq_u32_e32 vcc_lo, 1, v19
	v_dual_mov_b32 v20, 0 :: v_dual_cndmask_b32 v17, v2, v3
	v_cmp_eq_u32_e32 vcc_lo, 2, v19
	ds_load_b32 v20, v20 offset:72
	v_cndmask_b32_e32 v17, v17, v4, vcc_lo
	v_cmp_eq_u32_e32 vcc_lo, 3, v19
	s_delay_alu instid0(VALU_DEP_2) | instskip(SKIP_4) | instid1(VALU_DEP_2)
	v_cndmask_b32_e32 v5, v17, v5, vcc_lo
	v_cmp_eq_u32_e32 vcc_lo, 4, v19
	ds_load_b32 v17, v66 offset:4
	v_cndmask_b32_e32 v5, v5, v6, vcc_lo
	v_cmp_eq_u32_e32 vcc_lo, 5, v19
	v_cndmask_b32_e32 v5, v5, v7, vcc_lo
	v_cmp_eq_u32_e32 vcc_lo, 6, v19
	s_delay_alu instid0(VALU_DEP_2) | instskip(SKIP_1) | instid1(VALU_DEP_2)
	v_cndmask_b32_e32 v5, v5, v8, vcc_lo
	v_cmp_eq_u32_e32 vcc_lo, 7, v19
	v_cndmask_b32_e32 v5, v5, v9, vcc_lo
	v_cmp_eq_u32_e32 vcc_lo, 8, v19
	s_delay_alu instid0(VALU_DEP_2) | instskip(SKIP_1) | instid1(VALU_DEP_2)
	;; [unrolled: 5-line block ×4, first 2 shown]
	v_cndmask_b32_e32 v5, v5, v14, vcc_lo
	v_cmp_eq_u32_e32 vcc_lo, 13, v19
	v_cndmask_b32_e32 v5, v5, v15, vcc_lo
	s_wait_dscnt 0x0
	s_delay_alu instid0(VALU_DEP_1) | instskip(NEXT) | instid1(VALU_DEP_1)
	v_fmac_f32_e32 v16, v5, v17
	v_fma_f32 v5, v4, v20, v16
	s_delay_alu instid0(VALU_DEP_1)
	v_cndmask_b32_e64 v16, v16, v5, s0
.LBB77_213:
	s_or_b32 exec_lo, exec_lo, s3
	v_mov_b32_e32 v5, 0
	ds_load_b32 v5, v5 offset:12
	s_wait_dscnt 0x0
	v_mul_f32_e32 v5, v16, v5
.LBB77_214:
	s_or_b32 exec_lo, exec_lo, s2
	s_delay_alu instid0(SALU_CYCLE_1)
	s_mov_b32 s2, exec_lo
	ds_store_b32 v66, v6
	s_wait_dscnt 0x0
	s_barrier_signal -1
	s_barrier_wait -1
	v_cmpx_gt_u32_e32 4, v0
	s_cbranch_execz .LBB77_224
; %bb.215:
	v_cmp_ne_u32_e32 vcc_lo, 1, v18
	s_cbranch_vccnz .LBB77_217
; %bb.216:
	v_cmp_eq_u32_e32 vcc_lo, 1, v0
	ds_load_b32 v17, v66
	v_cndmask_b32_e32 v16, v2, v3, vcc_lo
	v_cmp_eq_u32_e32 vcc_lo, 2, v0
	s_delay_alu instid0(VALU_DEP_2) | instskip(SKIP_1) | instid1(VALU_DEP_2)
	v_cndmask_b32_e32 v16, v16, v4, vcc_lo
	v_cmp_eq_u32_e32 vcc_lo, 3, v0
	v_cndmask_b32_e32 v16, v16, v5, vcc_lo
	v_cmp_eq_u32_e32 vcc_lo, 4, v0
	s_delay_alu instid0(VALU_DEP_2) | instskip(SKIP_1) | instid1(VALU_DEP_2)
	v_cndmask_b32_e32 v16, v16, v6, vcc_lo
	v_cmp_eq_u32_e32 vcc_lo, 5, v0
	;; [unrolled: 5-line block ×6, first 2 shown]
	v_cndmask_b32_e32 v16, v16, v15, vcc_lo
	s_wait_dscnt 0x0
	s_delay_alu instid0(VALU_DEP_1)
	v_mul_f32_e32 v20, v16, v17
	s_cbranch_execz .LBB77_218
	s_branch .LBB77_219
.LBB77_217:
                                        ; implicit-def: $vgpr20
.LBB77_218:
	ds_load_b32 v20, v66
.LBB77_219:
	s_mov_b32 s3, exec_lo
	v_cmpx_ne_u32_e32 3, v0
	s_cbranch_execz .LBB77_223
; %bb.220:
	v_mov_b64_e32 v[16:17], v[0:1]
	v_lshl_add_u32 v21, v0, 2, 0x44
	s_mov_b32 s4, 0
.LBB77_221:                             ; =>This Inner Loop Header: Depth=1
	s_delay_alu instid0(VALU_DEP_2)
	v_add_nc_u64_e32 v[16:17], 1, v[16:17]
	ds_load_b32 v23, v21
	v_add_nc_u32_e32 v21, 4, v21
	v_cmp_eq_u32_e32 vcc_lo, 1, v16
	v_cndmask_b32_e32 v22, v2, v3, vcc_lo
	v_cmp_eq_u32_e32 vcc_lo, 2, v16
	s_delay_alu instid0(VALU_DEP_2) | instskip(SKIP_1) | instid1(VALU_DEP_2)
	v_cndmask_b32_e32 v22, v22, v4, vcc_lo
	v_cmp_eq_u32_e32 vcc_lo, 3, v16
	v_cndmask_b32_e32 v22, v22, v5, vcc_lo
	v_cmp_eq_u32_e32 vcc_lo, 4, v16
	s_delay_alu instid0(VALU_DEP_2) | instskip(SKIP_1) | instid1(VALU_DEP_2)
	v_cndmask_b32_e32 v22, v22, v6, vcc_lo
	;; [unrolled: 5-line block ×6, first 2 shown]
	v_cmp_eq_u32_e32 vcc_lo, 13, v16
	v_cndmask_b32_e32 v22, v22, v15, vcc_lo
	v_cmp_lt_u32_e32 vcc_lo, 2, v16
	s_wait_dscnt 0x0
	s_delay_alu instid0(VALU_DEP_2) | instskip(SKIP_1) | instid1(SALU_CYCLE_1)
	v_fmac_f32_e32 v20, v22, v23
	s_or_b32 s4, vcc_lo, s4
	s_and_not1_b32 exec_lo, exec_lo, s4
	s_cbranch_execnz .LBB77_221
; %bb.222:
	s_or_b32 exec_lo, exec_lo, s4
.LBB77_223:
	s_delay_alu instid0(SALU_CYCLE_1)
	s_or_b32 exec_lo, exec_lo, s3
	v_mov_b32_e32 v6, 0
	ds_load_b32 v6, v6 offset:16
	s_wait_dscnt 0x0
	v_mul_f32_e32 v6, v20, v6
.LBB77_224:
	s_or_b32 exec_lo, exec_lo, s2
	v_cmp_gt_u32_e64 s2, 5, v0
	ds_store_b32 v66, v7
	s_wait_dscnt 0x0
	s_barrier_signal -1
	s_barrier_wait -1
	s_and_saveexec_b32 s3, s2
	s_cbranch_execz .LBB77_234
; %bb.225:
	v_cmp_ne_u32_e32 vcc_lo, 1, v18
	s_cbranch_vccnz .LBB77_227
; %bb.226:
	v_cmp_eq_u32_e32 vcc_lo, 1, v0
	ds_load_b32 v17, v66
	v_cndmask_b32_e32 v16, v2, v3, vcc_lo
	v_cmp_eq_u32_e32 vcc_lo, 2, v0
	s_delay_alu instid0(VALU_DEP_2) | instskip(SKIP_1) | instid1(VALU_DEP_2)
	v_cndmask_b32_e32 v16, v16, v4, vcc_lo
	v_cmp_eq_u32_e32 vcc_lo, 3, v0
	v_cndmask_b32_e32 v16, v16, v5, vcc_lo
	v_cmp_eq_u32_e32 vcc_lo, 4, v0
	s_delay_alu instid0(VALU_DEP_2) | instskip(SKIP_1) | instid1(VALU_DEP_2)
	v_cndmask_b32_e32 v16, v16, v6, vcc_lo
	v_cmp_eq_u32_e32 vcc_lo, 5, v0
	;; [unrolled: 5-line block ×6, first 2 shown]
	v_cndmask_b32_e32 v16, v16, v15, vcc_lo
	s_wait_dscnt 0x0
	s_delay_alu instid0(VALU_DEP_1)
	v_mul_f32_e32 v20, v16, v17
	s_cbranch_execz .LBB77_228
	s_branch .LBB77_229
.LBB77_227:
                                        ; implicit-def: $vgpr20
.LBB77_228:
	ds_load_b32 v20, v66
.LBB77_229:
	s_mov_b32 s4, exec_lo
	v_cmpx_ne_u32_e32 4, v0
	s_cbranch_execz .LBB77_233
; %bb.230:
	v_mov_b64_e32 v[16:17], v[0:1]
	v_lshl_add_u32 v21, v0, 2, 0x44
	s_mov_b32 s5, 0
.LBB77_231:                             ; =>This Inner Loop Header: Depth=1
	s_delay_alu instid0(VALU_DEP_2)
	v_add_nc_u64_e32 v[16:17], 1, v[16:17]
	ds_load_b32 v23, v21
	v_add_nc_u32_e32 v21, 4, v21
	v_cmp_eq_u32_e32 vcc_lo, 1, v16
	v_cndmask_b32_e32 v22, v2, v3, vcc_lo
	v_cmp_eq_u32_e32 vcc_lo, 2, v16
	s_delay_alu instid0(VALU_DEP_2) | instskip(SKIP_1) | instid1(VALU_DEP_2)
	v_cndmask_b32_e32 v22, v22, v4, vcc_lo
	v_cmp_eq_u32_e32 vcc_lo, 3, v16
	v_cndmask_b32_e32 v22, v22, v5, vcc_lo
	v_cmp_eq_u32_e32 vcc_lo, 4, v16
	s_delay_alu instid0(VALU_DEP_2) | instskip(SKIP_1) | instid1(VALU_DEP_2)
	v_cndmask_b32_e32 v22, v22, v6, vcc_lo
	;; [unrolled: 5-line block ×6, first 2 shown]
	v_cmp_eq_u32_e32 vcc_lo, 13, v16
	v_cndmask_b32_e32 v22, v22, v15, vcc_lo
	v_cmp_lt_u32_e32 vcc_lo, 3, v16
	s_wait_dscnt 0x0
	s_delay_alu instid0(VALU_DEP_2) | instskip(SKIP_1) | instid1(SALU_CYCLE_1)
	v_fmac_f32_e32 v20, v22, v23
	s_or_b32 s5, vcc_lo, s5
	s_and_not1_b32 exec_lo, exec_lo, s5
	s_cbranch_execnz .LBB77_231
; %bb.232:
	s_or_b32 exec_lo, exec_lo, s5
.LBB77_233:
	s_delay_alu instid0(SALU_CYCLE_1)
	s_or_b32 exec_lo, exec_lo, s4
	v_mov_b32_e32 v7, 0
	ds_load_b32 v7, v7 offset:20
	s_wait_dscnt 0x0
	v_mul_f32_e32 v7, v20, v7
.LBB77_234:
	s_or_b32 exec_lo, exec_lo, s3
	s_delay_alu instid0(SALU_CYCLE_1)
	s_mov_b32 s3, exec_lo
	ds_store_b32 v66, v8
	s_wait_dscnt 0x0
	s_barrier_signal -1
	s_barrier_wait -1
	v_cmpx_gt_u32_e32 6, v0
	s_cbranch_execz .LBB77_244
; %bb.235:
	v_cmp_ne_u32_e32 vcc_lo, 1, v18
	s_cbranch_vccnz .LBB77_237
; %bb.236:
	v_cmp_eq_u32_e32 vcc_lo, 1, v0
	ds_load_b32 v17, v66
	v_cndmask_b32_e32 v16, v2, v3, vcc_lo
	v_cmp_eq_u32_e32 vcc_lo, 2, v0
	s_delay_alu instid0(VALU_DEP_2) | instskip(SKIP_1) | instid1(VALU_DEP_2)
	v_cndmask_b32_e32 v16, v16, v4, vcc_lo
	v_cmp_eq_u32_e32 vcc_lo, 3, v0
	v_cndmask_b32_e32 v16, v16, v5, vcc_lo
	v_cmp_eq_u32_e32 vcc_lo, 4, v0
	s_delay_alu instid0(VALU_DEP_2) | instskip(SKIP_1) | instid1(VALU_DEP_2)
	v_cndmask_b32_e32 v16, v16, v6, vcc_lo
	v_cmp_eq_u32_e32 vcc_lo, 5, v0
	;; [unrolled: 5-line block ×6, first 2 shown]
	v_cndmask_b32_e32 v16, v16, v15, vcc_lo
	s_wait_dscnt 0x0
	s_delay_alu instid0(VALU_DEP_1)
	v_mul_f32_e32 v20, v16, v17
	s_cbranch_execz .LBB77_238
	s_branch .LBB77_239
.LBB77_237:
                                        ; implicit-def: $vgpr20
.LBB77_238:
	ds_load_b32 v20, v66
.LBB77_239:
	s_mov_b32 s4, exec_lo
	v_cmpx_ne_u32_e32 5, v0
	s_cbranch_execz .LBB77_243
; %bb.240:
	v_mov_b64_e32 v[16:17], v[0:1]
	v_lshl_add_u32 v21, v0, 2, 0x44
	s_mov_b32 s5, 0
.LBB77_241:                             ; =>This Inner Loop Header: Depth=1
	s_delay_alu instid0(VALU_DEP_2)
	v_add_nc_u64_e32 v[16:17], 1, v[16:17]
	ds_load_b32 v23, v21
	v_add_nc_u32_e32 v21, 4, v21
	v_cmp_eq_u32_e32 vcc_lo, 1, v16
	v_cndmask_b32_e32 v22, v2, v3, vcc_lo
	v_cmp_eq_u32_e32 vcc_lo, 2, v16
	s_delay_alu instid0(VALU_DEP_2) | instskip(SKIP_1) | instid1(VALU_DEP_2)
	v_cndmask_b32_e32 v22, v22, v4, vcc_lo
	v_cmp_eq_u32_e32 vcc_lo, 3, v16
	v_cndmask_b32_e32 v22, v22, v5, vcc_lo
	v_cmp_eq_u32_e32 vcc_lo, 4, v16
	s_delay_alu instid0(VALU_DEP_2) | instskip(SKIP_1) | instid1(VALU_DEP_2)
	v_cndmask_b32_e32 v22, v22, v6, vcc_lo
	;; [unrolled: 5-line block ×6, first 2 shown]
	v_cmp_eq_u32_e32 vcc_lo, 13, v16
	v_cndmask_b32_e32 v22, v22, v15, vcc_lo
	v_cmp_lt_u32_e32 vcc_lo, 4, v16
	s_wait_dscnt 0x0
	s_delay_alu instid0(VALU_DEP_2) | instskip(SKIP_1) | instid1(SALU_CYCLE_1)
	v_fmac_f32_e32 v20, v22, v23
	s_or_b32 s5, vcc_lo, s5
	s_and_not1_b32 exec_lo, exec_lo, s5
	s_cbranch_execnz .LBB77_241
; %bb.242:
	s_or_b32 exec_lo, exec_lo, s5
.LBB77_243:
	s_delay_alu instid0(SALU_CYCLE_1)
	s_or_b32 exec_lo, exec_lo, s4
	v_mov_b32_e32 v8, 0
	ds_load_b32 v8, v8 offset:24
	s_wait_dscnt 0x0
	v_mul_f32_e32 v8, v20, v8
.LBB77_244:
	s_or_b32 exec_lo, exec_lo, s3
	v_cmp_gt_u32_e64 s3, 7, v0
	ds_store_b32 v66, v9
	s_wait_dscnt 0x0
	s_barrier_signal -1
	s_barrier_wait -1
	s_and_saveexec_b32 s4, s3
	s_cbranch_execz .LBB77_254
; %bb.245:
	v_cmp_ne_u32_e32 vcc_lo, 1, v18
	s_cbranch_vccnz .LBB77_247
; %bb.246:
	v_cmp_eq_u32_e32 vcc_lo, 1, v0
	ds_load_b32 v17, v66
	v_cndmask_b32_e32 v16, v2, v3, vcc_lo
	v_cmp_eq_u32_e32 vcc_lo, 2, v0
	s_delay_alu instid0(VALU_DEP_2) | instskip(SKIP_1) | instid1(VALU_DEP_2)
	v_cndmask_b32_e32 v16, v16, v4, vcc_lo
	v_cmp_eq_u32_e32 vcc_lo, 3, v0
	v_cndmask_b32_e32 v16, v16, v5, vcc_lo
	v_cmp_eq_u32_e32 vcc_lo, 4, v0
	s_delay_alu instid0(VALU_DEP_2) | instskip(SKIP_1) | instid1(VALU_DEP_2)
	v_cndmask_b32_e32 v16, v16, v6, vcc_lo
	v_cmp_eq_u32_e32 vcc_lo, 5, v0
	;; [unrolled: 5-line block ×6, first 2 shown]
	v_cndmask_b32_e32 v16, v16, v15, vcc_lo
	s_wait_dscnt 0x0
	s_delay_alu instid0(VALU_DEP_1)
	v_mul_f32_e32 v20, v16, v17
	s_cbranch_execz .LBB77_248
	s_branch .LBB77_249
.LBB77_247:
                                        ; implicit-def: $vgpr20
.LBB77_248:
	ds_load_b32 v20, v66
.LBB77_249:
	s_mov_b32 s5, exec_lo
	v_cmpx_ne_u32_e32 6, v0
	s_cbranch_execz .LBB77_253
; %bb.250:
	v_mov_b64_e32 v[16:17], v[0:1]
	v_lshl_add_u32 v21, v0, 2, 0x44
	s_mov_b32 s6, 0
.LBB77_251:                             ; =>This Inner Loop Header: Depth=1
	s_delay_alu instid0(VALU_DEP_2)
	v_add_nc_u64_e32 v[16:17], 1, v[16:17]
	ds_load_b32 v23, v21
	v_add_nc_u32_e32 v21, 4, v21
	v_cmp_eq_u32_e32 vcc_lo, 1, v16
	v_cndmask_b32_e32 v22, v2, v3, vcc_lo
	v_cmp_eq_u32_e32 vcc_lo, 2, v16
	s_delay_alu instid0(VALU_DEP_2) | instskip(SKIP_1) | instid1(VALU_DEP_2)
	v_cndmask_b32_e32 v22, v22, v4, vcc_lo
	v_cmp_eq_u32_e32 vcc_lo, 3, v16
	v_cndmask_b32_e32 v22, v22, v5, vcc_lo
	v_cmp_eq_u32_e32 vcc_lo, 4, v16
	s_delay_alu instid0(VALU_DEP_2) | instskip(SKIP_1) | instid1(VALU_DEP_2)
	v_cndmask_b32_e32 v22, v22, v6, vcc_lo
	;; [unrolled: 5-line block ×6, first 2 shown]
	v_cmp_eq_u32_e32 vcc_lo, 13, v16
	v_cndmask_b32_e32 v22, v22, v15, vcc_lo
	v_cmp_lt_u32_e32 vcc_lo, 5, v16
	s_wait_dscnt 0x0
	s_delay_alu instid0(VALU_DEP_2) | instskip(SKIP_1) | instid1(SALU_CYCLE_1)
	v_fmac_f32_e32 v20, v22, v23
	s_or_b32 s6, vcc_lo, s6
	s_and_not1_b32 exec_lo, exec_lo, s6
	s_cbranch_execnz .LBB77_251
; %bb.252:
	s_or_b32 exec_lo, exec_lo, s6
.LBB77_253:
	s_delay_alu instid0(SALU_CYCLE_1)
	s_or_b32 exec_lo, exec_lo, s5
	v_mov_b32_e32 v9, 0
	ds_load_b32 v9, v9 offset:28
	s_wait_dscnt 0x0
	v_mul_f32_e32 v9, v20, v9
.LBB77_254:
	s_or_b32 exec_lo, exec_lo, s4
	s_delay_alu instid0(SALU_CYCLE_1)
	s_mov_b32 s4, exec_lo
	ds_store_b32 v66, v10
	s_wait_dscnt 0x0
	s_barrier_signal -1
	s_barrier_wait -1
	v_cmpx_gt_u32_e32 8, v0
	s_cbranch_execz .LBB77_264
; %bb.255:
	v_cmp_ne_u32_e32 vcc_lo, 1, v18
	s_cbranch_vccnz .LBB77_257
; %bb.256:
	v_cmp_eq_u32_e32 vcc_lo, 1, v0
	ds_load_b32 v17, v66
	v_cndmask_b32_e32 v16, v2, v3, vcc_lo
	v_cmp_eq_u32_e32 vcc_lo, 2, v0
	s_delay_alu instid0(VALU_DEP_2) | instskip(SKIP_1) | instid1(VALU_DEP_2)
	v_cndmask_b32_e32 v16, v16, v4, vcc_lo
	v_cmp_eq_u32_e32 vcc_lo, 3, v0
	v_cndmask_b32_e32 v16, v16, v5, vcc_lo
	v_cmp_eq_u32_e32 vcc_lo, 4, v0
	s_delay_alu instid0(VALU_DEP_2) | instskip(SKIP_1) | instid1(VALU_DEP_2)
	v_cndmask_b32_e32 v16, v16, v6, vcc_lo
	v_cmp_eq_u32_e32 vcc_lo, 5, v0
	;; [unrolled: 5-line block ×6, first 2 shown]
	v_cndmask_b32_e32 v16, v16, v15, vcc_lo
	s_wait_dscnt 0x0
	s_delay_alu instid0(VALU_DEP_1)
	v_mul_f32_e32 v20, v16, v17
	s_cbranch_execz .LBB77_258
	s_branch .LBB77_259
.LBB77_257:
                                        ; implicit-def: $vgpr20
.LBB77_258:
	ds_load_b32 v20, v66
.LBB77_259:
	s_mov_b32 s5, exec_lo
	v_cmpx_ne_u32_e32 7, v0
	s_cbranch_execz .LBB77_263
; %bb.260:
	v_mov_b64_e32 v[16:17], v[0:1]
	v_lshl_add_u32 v21, v0, 2, 0x44
	s_mov_b32 s6, 0
.LBB77_261:                             ; =>This Inner Loop Header: Depth=1
	s_delay_alu instid0(VALU_DEP_2)
	v_add_nc_u64_e32 v[16:17], 1, v[16:17]
	ds_load_b32 v23, v21
	v_add_nc_u32_e32 v21, 4, v21
	v_cmp_eq_u32_e32 vcc_lo, 1, v16
	v_cndmask_b32_e32 v22, v2, v3, vcc_lo
	v_cmp_eq_u32_e32 vcc_lo, 2, v16
	s_delay_alu instid0(VALU_DEP_2) | instskip(SKIP_1) | instid1(VALU_DEP_2)
	v_cndmask_b32_e32 v22, v22, v4, vcc_lo
	v_cmp_eq_u32_e32 vcc_lo, 3, v16
	v_cndmask_b32_e32 v22, v22, v5, vcc_lo
	v_cmp_eq_u32_e32 vcc_lo, 4, v16
	s_delay_alu instid0(VALU_DEP_2) | instskip(SKIP_1) | instid1(VALU_DEP_2)
	v_cndmask_b32_e32 v22, v22, v6, vcc_lo
	v_cmp_eq_u32_e32 vcc_lo, 5, v16
	v_cndmask_b32_e32 v22, v22, v7, vcc_lo
	v_cmp_eq_u32_e32 vcc_lo, 6, v16
	s_delay_alu instid0(VALU_DEP_2) | instskip(SKIP_1) | instid1(VALU_DEP_2)
	v_cndmask_b32_e32 v22, v22, v8, vcc_lo
	v_cmp_eq_u32_e32 vcc_lo, 7, v16
	v_cndmask_b32_e32 v22, v22, v9, vcc_lo
	v_cmp_eq_u32_e32 vcc_lo, 8, v16
	s_delay_alu instid0(VALU_DEP_2) | instskip(SKIP_1) | instid1(VALU_DEP_2)
	v_cndmask_b32_e32 v22, v22, v10, vcc_lo
	v_cmp_eq_u32_e32 vcc_lo, 9, v16
	v_cndmask_b32_e32 v22, v22, v11, vcc_lo
	v_cmp_eq_u32_e32 vcc_lo, 10, v16
	s_delay_alu instid0(VALU_DEP_2) | instskip(SKIP_1) | instid1(VALU_DEP_2)
	v_cndmask_b32_e32 v22, v22, v12, vcc_lo
	v_cmp_eq_u32_e32 vcc_lo, 11, v16
	v_cndmask_b32_e32 v22, v22, v13, vcc_lo
	v_cmp_eq_u32_e32 vcc_lo, 12, v16
	s_delay_alu instid0(VALU_DEP_2) | instskip(SKIP_1) | instid1(VALU_DEP_2)
	v_cndmask_b32_e32 v22, v22, v14, vcc_lo
	v_cmp_eq_u32_e32 vcc_lo, 13, v16
	v_cndmask_b32_e32 v22, v22, v15, vcc_lo
	v_cmp_lt_u32_e32 vcc_lo, 6, v16
	s_wait_dscnt 0x0
	s_delay_alu instid0(VALU_DEP_2) | instskip(SKIP_1) | instid1(SALU_CYCLE_1)
	v_fmac_f32_e32 v20, v22, v23
	s_or_b32 s6, vcc_lo, s6
	s_and_not1_b32 exec_lo, exec_lo, s6
	s_cbranch_execnz .LBB77_261
; %bb.262:
	s_or_b32 exec_lo, exec_lo, s6
.LBB77_263:
	s_delay_alu instid0(SALU_CYCLE_1)
	s_or_b32 exec_lo, exec_lo, s5
	v_mov_b32_e32 v10, 0
	ds_load_b32 v10, v10 offset:32
	s_wait_dscnt 0x0
	v_mul_f32_e32 v10, v20, v10
.LBB77_264:
	s_or_b32 exec_lo, exec_lo, s4
	s_delay_alu instid0(SALU_CYCLE_1)
	s_mov_b32 s4, exec_lo
	ds_store_b32 v66, v11
	s_wait_dscnt 0x0
	s_barrier_signal -1
	s_barrier_wait -1
	v_cmpx_gt_u32_e32 9, v0
	s_cbranch_execz .LBB77_286
; %bb.265:
	v_cmp_ne_u32_e32 vcc_lo, 1, v18
	s_cbranch_vccnz .LBB77_267
; %bb.266:
	v_cmp_eq_u32_e32 vcc_lo, 1, v0
	ds_load_b32 v17, v66
	v_cndmask_b32_e32 v16, v2, v3, vcc_lo
	v_cmp_eq_u32_e32 vcc_lo, 2, v0
	s_delay_alu instid0(VALU_DEP_2) | instskip(SKIP_1) | instid1(VALU_DEP_2)
	v_cndmask_b32_e32 v16, v16, v4, vcc_lo
	v_cmp_eq_u32_e32 vcc_lo, 3, v0
	v_cndmask_b32_e32 v16, v16, v5, vcc_lo
	v_cmp_eq_u32_e32 vcc_lo, 4, v0
	s_delay_alu instid0(VALU_DEP_2) | instskip(SKIP_1) | instid1(VALU_DEP_2)
	v_cndmask_b32_e32 v16, v16, v6, vcc_lo
	v_cmp_eq_u32_e32 vcc_lo, 5, v0
	;; [unrolled: 5-line block ×6, first 2 shown]
	v_cndmask_b32_e32 v16, v16, v15, vcc_lo
	s_wait_dscnt 0x0
	s_delay_alu instid0(VALU_DEP_1)
	v_mul_f32_e32 v16, v16, v17
	s_cbranch_execz .LBB77_268
	s_branch .LBB77_269
.LBB77_267:
                                        ; implicit-def: $vgpr16
.LBB77_268:
	ds_load_b32 v16, v66
.LBB77_269:
	s_mov_b32 s5, exec_lo
	v_cmpx_ne_u32_e32 8, v0
	s_cbranch_execz .LBB77_285
; %bb.270:
	v_cmp_eq_u32_e32 vcc_lo, 1, v19
	ds_load_b32 v20, v66 offset:4
	v_cndmask_b32_e32 v17, v2, v3, vcc_lo
	v_cmp_eq_u32_e32 vcc_lo, 2, v19
	s_delay_alu instid0(VALU_DEP_2) | instskip(SKIP_1) | instid1(VALU_DEP_2)
	v_cndmask_b32_e32 v17, v17, v4, vcc_lo
	v_cmp_eq_u32_e32 vcc_lo, 3, v19
	v_cndmask_b32_e32 v17, v17, v5, vcc_lo
	v_cmp_eq_u32_e32 vcc_lo, 4, v19
	s_delay_alu instid0(VALU_DEP_2) | instskip(SKIP_1) | instid1(VALU_DEP_2)
	v_cndmask_b32_e32 v17, v17, v6, vcc_lo
	v_cmp_eq_u32_e32 vcc_lo, 5, v19
	;; [unrolled: 5-line block ×6, first 2 shown]
	v_cndmask_b32_e32 v17, v17, v15, vcc_lo
	s_wait_dscnt 0x0
	s_delay_alu instid0(VALU_DEP_1)
	v_fmac_f32_e32 v16, v17, v20
	s_and_saveexec_b32 s6, s3
	s_cbranch_execz .LBB77_284
; %bb.271:
	v_add_nc_u32_e32 v17, 2, v0
	ds_load_b32 v20, v66 offset:8
	s_mov_b32 s3, exec_lo
	v_cmp_eq_u32_e32 vcc_lo, 1, v17
	v_cndmask_b32_e32 v19, v2, v3, vcc_lo
	v_cmp_eq_u32_e32 vcc_lo, 2, v17
	s_delay_alu instid0(VALU_DEP_2) | instskip(SKIP_1) | instid1(VALU_DEP_2)
	v_cndmask_b32_e32 v19, v19, v4, vcc_lo
	v_cmp_eq_u32_e32 vcc_lo, 3, v17
	v_cndmask_b32_e32 v19, v19, v5, vcc_lo
	v_cmp_eq_u32_e32 vcc_lo, 4, v17
	s_delay_alu instid0(VALU_DEP_2) | instskip(SKIP_1) | instid1(VALU_DEP_2)
	v_cndmask_b32_e32 v19, v19, v6, vcc_lo
	;; [unrolled: 5-line block ×6, first 2 shown]
	v_cmp_eq_u32_e32 vcc_lo, 13, v17
	v_cndmask_b32_e32 v17, v19, v15, vcc_lo
	s_wait_dscnt 0x0
	s_delay_alu instid0(VALU_DEP_1)
	v_fmac_f32_e32 v16, v17, v20
	v_cmpx_ne_u32_e32 6, v0
	s_cbranch_execz .LBB77_283
; %bb.272:
	v_add_nc_u32_e32 v17, 3, v0
	ds_load_b32 v20, v66 offset:12
	v_cmp_eq_u32_e32 vcc_lo, 1, v17
	v_cndmask_b32_e32 v19, v2, v3, vcc_lo
	v_cmp_eq_u32_e32 vcc_lo, 2, v17
	s_delay_alu instid0(VALU_DEP_2) | instskip(SKIP_1) | instid1(VALU_DEP_2)
	v_cndmask_b32_e32 v19, v19, v4, vcc_lo
	v_cmp_eq_u32_e32 vcc_lo, 3, v17
	v_cndmask_b32_e32 v19, v19, v5, vcc_lo
	v_cmp_eq_u32_e32 vcc_lo, 4, v17
	s_delay_alu instid0(VALU_DEP_2) | instskip(SKIP_1) | instid1(VALU_DEP_2)
	v_cndmask_b32_e32 v19, v19, v6, vcc_lo
	;; [unrolled: 5-line block ×6, first 2 shown]
	v_cmp_eq_u32_e32 vcc_lo, 13, v17
	v_cndmask_b32_e32 v17, v19, v15, vcc_lo
	s_wait_dscnt 0x0
	s_delay_alu instid0(VALU_DEP_1)
	v_fmac_f32_e32 v16, v17, v20
	s_and_saveexec_b32 s7, s2
	s_cbranch_execz .LBB77_282
; %bb.273:
	v_add_nc_u32_e32 v17, 4, v0
	ds_load_b32 v20, v66 offset:16
	s_mov_b32 s2, exec_lo
	v_cmp_eq_u32_e32 vcc_lo, 1, v17
	v_cndmask_b32_e32 v19, v2, v3, vcc_lo
	v_cmp_eq_u32_e32 vcc_lo, 2, v17
	s_delay_alu instid0(VALU_DEP_2) | instskip(SKIP_1) | instid1(VALU_DEP_2)
	v_cndmask_b32_e32 v19, v19, v4, vcc_lo
	v_cmp_eq_u32_e32 vcc_lo, 3, v17
	v_cndmask_b32_e32 v19, v19, v5, vcc_lo
	v_cmp_eq_u32_e32 vcc_lo, 4, v17
	s_delay_alu instid0(VALU_DEP_2) | instskip(SKIP_1) | instid1(VALU_DEP_2)
	v_cndmask_b32_e32 v19, v19, v6, vcc_lo
	;; [unrolled: 5-line block ×6, first 2 shown]
	v_cmp_eq_u32_e32 vcc_lo, 13, v17
	v_cndmask_b32_e32 v17, v19, v15, vcc_lo
	s_wait_dscnt 0x0
	s_delay_alu instid0(VALU_DEP_1)
	v_fmac_f32_e32 v16, v17, v20
	v_cmpx_ne_u32_e32 4, v0
	s_cbranch_execz .LBB77_281
; %bb.274:
	v_add_nc_u32_e32 v17, 5, v0
	ds_load_b32 v20, v66 offset:20
	v_cmp_eq_u32_e32 vcc_lo, 1, v17
	v_cndmask_b32_e32 v19, v2, v3, vcc_lo
	v_cmp_eq_u32_e32 vcc_lo, 2, v17
	s_delay_alu instid0(VALU_DEP_2) | instskip(SKIP_1) | instid1(VALU_DEP_2)
	v_cndmask_b32_e32 v19, v19, v4, vcc_lo
	v_cmp_eq_u32_e32 vcc_lo, 3, v17
	v_cndmask_b32_e32 v19, v19, v5, vcc_lo
	v_cmp_eq_u32_e32 vcc_lo, 4, v17
	s_delay_alu instid0(VALU_DEP_2) | instskip(SKIP_1) | instid1(VALU_DEP_2)
	v_cndmask_b32_e32 v19, v19, v6, vcc_lo
	;; [unrolled: 5-line block ×6, first 2 shown]
	v_cmp_eq_u32_e32 vcc_lo, 13, v17
	v_cndmask_b32_e32 v17, v19, v15, vcc_lo
	s_wait_dscnt 0x0
	s_delay_alu instid0(VALU_DEP_1)
	v_fmac_f32_e32 v16, v17, v20
	s_and_saveexec_b32 s8, s1
	s_cbranch_execz .LBB77_280
; %bb.275:
	v_add_nc_u32_e32 v17, 6, v0
	ds_load_b32 v20, v66 offset:24
	s_mov_b32 s1, exec_lo
	v_cmp_eq_u32_e32 vcc_lo, 1, v17
	v_cndmask_b32_e32 v19, v2, v3, vcc_lo
	v_cmp_eq_u32_e32 vcc_lo, 2, v17
	s_delay_alu instid0(VALU_DEP_2) | instskip(SKIP_1) | instid1(VALU_DEP_2)
	v_cndmask_b32_e32 v19, v19, v4, vcc_lo
	v_cmp_eq_u32_e32 vcc_lo, 3, v17
	v_cndmask_b32_e32 v19, v19, v5, vcc_lo
	v_cmp_eq_u32_e32 vcc_lo, 4, v17
	s_delay_alu instid0(VALU_DEP_2) | instskip(SKIP_1) | instid1(VALU_DEP_2)
	v_cndmask_b32_e32 v19, v19, v6, vcc_lo
	;; [unrolled: 5-line block ×6, first 2 shown]
	v_cmp_eq_u32_e32 vcc_lo, 13, v17
	v_cndmask_b32_e32 v17, v19, v15, vcc_lo
	s_wait_dscnt 0x0
	s_delay_alu instid0(VALU_DEP_1)
	v_fmac_f32_e32 v16, v17, v20
	v_cmpx_ne_u32_e32 2, v0
	s_cbranch_execz .LBB77_279
; %bb.276:
	v_add_nc_u32_e32 v17, 7, v0
	s_delay_alu instid0(VALU_DEP_1) | instskip(SKIP_2) | instid1(VALU_DEP_2)
	v_cmp_eq_u32_e32 vcc_lo, 1, v17
	v_cndmask_b32_e32 v19, v2, v3, vcc_lo
	v_cmp_eq_u32_e32 vcc_lo, 2, v17
	v_cndmask_b32_e32 v19, v19, v4, vcc_lo
	v_cmp_eq_u32_e32 vcc_lo, 3, v17
	s_delay_alu instid0(VALU_DEP_2) | instskip(SKIP_1) | instid1(VALU_DEP_2)
	v_cndmask_b32_e32 v19, v19, v5, vcc_lo
	v_cmp_eq_u32_e32 vcc_lo, 4, v17
	v_cndmask_b32_e32 v19, v19, v6, vcc_lo
	v_cmp_eq_u32_e32 vcc_lo, 5, v17
	s_delay_alu instid0(VALU_DEP_2) | instskip(SKIP_1) | instid1(VALU_DEP_2)
	;; [unrolled: 5-line block ×3, first 2 shown]
	v_cndmask_b32_e32 v19, v19, v9, vcc_lo
	v_cmp_eq_u32_e32 vcc_lo, 8, v17
	v_cndmask_b32_e32 v19, v19, v10, vcc_lo
	v_cmp_eq_u32_e32 vcc_lo, 9, v17
	s_delay_alu instid0(VALU_DEP_2) | instskip(SKIP_4) | instid1(VALU_DEP_2)
	v_cndmask_b32_e32 v11, v19, v11, vcc_lo
	v_cmp_eq_u32_e32 vcc_lo, 10, v17
	ds_load_b32 v19, v66 offset:28
	v_cndmask_b32_e32 v11, v11, v12, vcc_lo
	v_cmp_eq_u32_e32 vcc_lo, 11, v17
	v_cndmask_b32_e32 v11, v11, v13, vcc_lo
	v_cmp_eq_u32_e32 vcc_lo, 12, v17
	s_delay_alu instid0(VALU_DEP_2) | instskip(SKIP_1) | instid1(VALU_DEP_2)
	v_cndmask_b32_e32 v11, v11, v14, vcc_lo
	v_cmp_eq_u32_e32 vcc_lo, 13, v17
	v_cndmask_b32_e32 v11, v11, v15, vcc_lo
	s_wait_dscnt 0x0
	s_delay_alu instid0(VALU_DEP_1)
	v_fmac_f32_e32 v16, v11, v19
	s_and_saveexec_b32 s9, s0
	s_cbranch_execz .LBB77_278
; %bb.277:
	ds_load_b32 v11, v66 offset:32
	s_wait_dscnt 0x0
	v_fmac_f32_e32 v16, v10, v11
.LBB77_278:
	s_or_b32 exec_lo, exec_lo, s9
.LBB77_279:
	s_delay_alu instid0(SALU_CYCLE_1)
	s_or_b32 exec_lo, exec_lo, s1
.LBB77_280:
	s_delay_alu instid0(SALU_CYCLE_1)
	s_or_b32 exec_lo, exec_lo, s8
.LBB77_281:
	s_delay_alu instid0(SALU_CYCLE_1)
	s_or_b32 exec_lo, exec_lo, s2
.LBB77_282:
	s_delay_alu instid0(SALU_CYCLE_1)
	s_or_b32 exec_lo, exec_lo, s7
.LBB77_283:
	s_delay_alu instid0(SALU_CYCLE_1)
	s_or_b32 exec_lo, exec_lo, s3
.LBB77_284:
	s_delay_alu instid0(SALU_CYCLE_1)
	s_or_b32 exec_lo, exec_lo, s6
.LBB77_285:
	s_delay_alu instid0(SALU_CYCLE_1)
	s_or_b32 exec_lo, exec_lo, s5
	v_mov_b32_e32 v11, 0
	ds_load_b32 v11, v11 offset:36
	s_wait_dscnt 0x0
	v_mul_f32_e32 v11, v16, v11
.LBB77_286:
	s_or_b32 exec_lo, exec_lo, s4
	s_delay_alu instid0(SALU_CYCLE_1)
	s_mov_b32 s0, exec_lo
	ds_store_b32 v66, v12
	s_wait_dscnt 0x0
	s_barrier_signal -1
	s_barrier_wait -1
	v_cmpx_gt_u32_e32 10, v0
	s_cbranch_execz .LBB77_296
; %bb.287:
	v_cmp_ne_u32_e32 vcc_lo, 1, v18
	s_cbranch_vccnz .LBB77_289
; %bb.288:
	v_cmp_eq_u32_e32 vcc_lo, 1, v0
	ds_load_b32 v17, v66
	v_cndmask_b32_e32 v16, v2, v3, vcc_lo
	v_cmp_eq_u32_e32 vcc_lo, 2, v0
	s_delay_alu instid0(VALU_DEP_2) | instskip(SKIP_1) | instid1(VALU_DEP_2)
	v_cndmask_b32_e32 v16, v16, v4, vcc_lo
	v_cmp_eq_u32_e32 vcc_lo, 3, v0
	v_cndmask_b32_e32 v16, v16, v5, vcc_lo
	v_cmp_eq_u32_e32 vcc_lo, 4, v0
	s_delay_alu instid0(VALU_DEP_2) | instskip(SKIP_1) | instid1(VALU_DEP_2)
	v_cndmask_b32_e32 v16, v16, v6, vcc_lo
	v_cmp_eq_u32_e32 vcc_lo, 5, v0
	;; [unrolled: 5-line block ×6, first 2 shown]
	v_cndmask_b32_e32 v16, v16, v15, vcc_lo
	s_wait_dscnt 0x0
	s_delay_alu instid0(VALU_DEP_1)
	v_mul_f32_e32 v19, v16, v17
	s_cbranch_execz .LBB77_290
	s_branch .LBB77_291
.LBB77_289:
                                        ; implicit-def: $vgpr19
.LBB77_290:
	ds_load_b32 v19, v66
.LBB77_291:
	s_mov_b32 s1, exec_lo
	v_cmpx_ne_u32_e32 9, v0
	s_cbranch_execz .LBB77_295
; %bb.292:
	v_mov_b64_e32 v[16:17], v[0:1]
	v_lshl_add_u32 v20, v0, 2, 0x44
	s_mov_b32 s2, 0
.LBB77_293:                             ; =>This Inner Loop Header: Depth=1
	s_delay_alu instid0(VALU_DEP_2)
	v_add_nc_u64_e32 v[16:17], 1, v[16:17]
	ds_load_b32 v22, v20
	v_add_nc_u32_e32 v20, 4, v20
	v_cmp_eq_u32_e32 vcc_lo, 1, v16
	v_cndmask_b32_e32 v21, v2, v3, vcc_lo
	v_cmp_eq_u32_e32 vcc_lo, 2, v16
	s_delay_alu instid0(VALU_DEP_2) | instskip(SKIP_1) | instid1(VALU_DEP_2)
	v_cndmask_b32_e32 v21, v21, v4, vcc_lo
	v_cmp_eq_u32_e32 vcc_lo, 3, v16
	v_cndmask_b32_e32 v21, v21, v5, vcc_lo
	v_cmp_eq_u32_e32 vcc_lo, 4, v16
	s_delay_alu instid0(VALU_DEP_2) | instskip(SKIP_1) | instid1(VALU_DEP_2)
	v_cndmask_b32_e32 v21, v21, v6, vcc_lo
	;; [unrolled: 5-line block ×6, first 2 shown]
	v_cmp_eq_u32_e32 vcc_lo, 13, v16
	v_cndmask_b32_e32 v21, v21, v15, vcc_lo
	v_cmp_lt_u32_e32 vcc_lo, 8, v16
	s_wait_dscnt 0x0
	s_delay_alu instid0(VALU_DEP_2) | instskip(SKIP_1) | instid1(SALU_CYCLE_1)
	v_fmac_f32_e32 v19, v21, v22
	s_or_b32 s2, vcc_lo, s2
	s_and_not1_b32 exec_lo, exec_lo, s2
	s_cbranch_execnz .LBB77_293
; %bb.294:
	s_or_b32 exec_lo, exec_lo, s2
.LBB77_295:
	s_delay_alu instid0(SALU_CYCLE_1)
	s_or_b32 exec_lo, exec_lo, s1
	v_mov_b32_e32 v12, 0
	ds_load_b32 v12, v12 offset:40
	s_wait_dscnt 0x0
	v_mul_f32_e32 v12, v19, v12
.LBB77_296:
	s_or_b32 exec_lo, exec_lo, s0
	s_delay_alu instid0(SALU_CYCLE_1)
	s_mov_b32 s0, exec_lo
	ds_store_b32 v66, v13
	s_wait_dscnt 0x0
	s_barrier_signal -1
	s_barrier_wait -1
	v_cmpx_gt_u32_e32 11, v0
	s_cbranch_execz .LBB77_306
; %bb.297:
	v_cmp_ne_u32_e32 vcc_lo, 1, v18
	s_cbranch_vccnz .LBB77_299
; %bb.298:
	v_cmp_eq_u32_e32 vcc_lo, 1, v0
	ds_load_b32 v17, v66
	v_cndmask_b32_e32 v16, v2, v3, vcc_lo
	v_cmp_eq_u32_e32 vcc_lo, 2, v0
	s_delay_alu instid0(VALU_DEP_2) | instskip(SKIP_1) | instid1(VALU_DEP_2)
	v_cndmask_b32_e32 v16, v16, v4, vcc_lo
	v_cmp_eq_u32_e32 vcc_lo, 3, v0
	v_cndmask_b32_e32 v16, v16, v5, vcc_lo
	v_cmp_eq_u32_e32 vcc_lo, 4, v0
	s_delay_alu instid0(VALU_DEP_2) | instskip(SKIP_1) | instid1(VALU_DEP_2)
	v_cndmask_b32_e32 v16, v16, v6, vcc_lo
	v_cmp_eq_u32_e32 vcc_lo, 5, v0
	;; [unrolled: 5-line block ×6, first 2 shown]
	v_cndmask_b32_e32 v16, v16, v15, vcc_lo
	s_wait_dscnt 0x0
	s_delay_alu instid0(VALU_DEP_1)
	v_mul_f32_e32 v19, v16, v17
	s_cbranch_execz .LBB77_300
	s_branch .LBB77_301
.LBB77_299:
                                        ; implicit-def: $vgpr19
.LBB77_300:
	ds_load_b32 v19, v66
.LBB77_301:
	s_mov_b32 s1, exec_lo
	v_cmpx_ne_u32_e32 10, v0
	s_cbranch_execz .LBB77_305
; %bb.302:
	v_mov_b64_e32 v[16:17], v[0:1]
	v_lshl_add_u32 v20, v0, 2, 0x44
	s_mov_b32 s2, 0
.LBB77_303:                             ; =>This Inner Loop Header: Depth=1
	s_delay_alu instid0(VALU_DEP_2)
	v_add_nc_u64_e32 v[16:17], 1, v[16:17]
	ds_load_b32 v22, v20
	v_add_nc_u32_e32 v20, 4, v20
	v_cmp_eq_u32_e32 vcc_lo, 1, v16
	v_cndmask_b32_e32 v21, v2, v3, vcc_lo
	v_cmp_eq_u32_e32 vcc_lo, 2, v16
	s_delay_alu instid0(VALU_DEP_2) | instskip(SKIP_1) | instid1(VALU_DEP_2)
	v_cndmask_b32_e32 v21, v21, v4, vcc_lo
	v_cmp_eq_u32_e32 vcc_lo, 3, v16
	v_cndmask_b32_e32 v21, v21, v5, vcc_lo
	v_cmp_eq_u32_e32 vcc_lo, 4, v16
	s_delay_alu instid0(VALU_DEP_2) | instskip(SKIP_1) | instid1(VALU_DEP_2)
	v_cndmask_b32_e32 v21, v21, v6, vcc_lo
	;; [unrolled: 5-line block ×6, first 2 shown]
	v_cmp_eq_u32_e32 vcc_lo, 13, v16
	v_cndmask_b32_e32 v21, v21, v15, vcc_lo
	v_cmp_lt_u32_e32 vcc_lo, 9, v16
	s_wait_dscnt 0x0
	s_delay_alu instid0(VALU_DEP_2) | instskip(SKIP_1) | instid1(SALU_CYCLE_1)
	v_fmac_f32_e32 v19, v21, v22
	s_or_b32 s2, vcc_lo, s2
	s_and_not1_b32 exec_lo, exec_lo, s2
	s_cbranch_execnz .LBB77_303
; %bb.304:
	s_or_b32 exec_lo, exec_lo, s2
.LBB77_305:
	s_delay_alu instid0(SALU_CYCLE_1)
	s_or_b32 exec_lo, exec_lo, s1
	v_mov_b32_e32 v13, 0
	ds_load_b32 v13, v13 offset:44
	s_wait_dscnt 0x0
	v_mul_f32_e32 v13, v19, v13
.LBB77_306:
	s_or_b32 exec_lo, exec_lo, s0
	v_cmp_gt_u32_e64 s0, 12, v0
	ds_store_b32 v66, v14
	s_wait_dscnt 0x0
	s_barrier_signal -1
	s_barrier_wait -1
	s_and_saveexec_b32 s1, s0
	s_cbranch_execz .LBB77_316
; %bb.307:
	v_cmp_ne_u32_e32 vcc_lo, 1, v18
	s_cbranch_vccnz .LBB77_309
; %bb.308:
	v_cmp_eq_u32_e32 vcc_lo, 1, v0
	ds_load_b32 v17, v66
	v_cndmask_b32_e32 v16, v2, v3, vcc_lo
	v_cmp_eq_u32_e32 vcc_lo, 2, v0
	s_delay_alu instid0(VALU_DEP_2) | instskip(SKIP_1) | instid1(VALU_DEP_2)
	v_cndmask_b32_e32 v16, v16, v4, vcc_lo
	v_cmp_eq_u32_e32 vcc_lo, 3, v0
	v_cndmask_b32_e32 v16, v16, v5, vcc_lo
	v_cmp_eq_u32_e32 vcc_lo, 4, v0
	s_delay_alu instid0(VALU_DEP_2) | instskip(SKIP_1) | instid1(VALU_DEP_2)
	v_cndmask_b32_e32 v16, v16, v6, vcc_lo
	v_cmp_eq_u32_e32 vcc_lo, 5, v0
	;; [unrolled: 5-line block ×6, first 2 shown]
	v_cndmask_b32_e32 v16, v16, v15, vcc_lo
	s_wait_dscnt 0x0
	s_delay_alu instid0(VALU_DEP_1)
	v_mul_f32_e32 v19, v16, v17
	s_cbranch_execz .LBB77_310
	s_branch .LBB77_311
.LBB77_309:
                                        ; implicit-def: $vgpr19
.LBB77_310:
	ds_load_b32 v19, v66
.LBB77_311:
	s_mov_b32 s2, exec_lo
	v_cmpx_ne_u32_e32 11, v0
	s_cbranch_execz .LBB77_315
; %bb.312:
	v_mov_b64_e32 v[16:17], v[0:1]
	v_lshl_add_u32 v20, v0, 2, 0x44
	s_mov_b32 s3, 0
.LBB77_313:                             ; =>This Inner Loop Header: Depth=1
	s_delay_alu instid0(VALU_DEP_2)
	v_add_nc_u64_e32 v[16:17], 1, v[16:17]
	ds_load_b32 v22, v20
	v_add_nc_u32_e32 v20, 4, v20
	v_cmp_eq_u32_e32 vcc_lo, 1, v16
	v_cndmask_b32_e32 v21, v2, v3, vcc_lo
	v_cmp_eq_u32_e32 vcc_lo, 2, v16
	s_delay_alu instid0(VALU_DEP_2) | instskip(SKIP_1) | instid1(VALU_DEP_2)
	v_cndmask_b32_e32 v21, v21, v4, vcc_lo
	v_cmp_eq_u32_e32 vcc_lo, 3, v16
	v_cndmask_b32_e32 v21, v21, v5, vcc_lo
	v_cmp_eq_u32_e32 vcc_lo, 4, v16
	s_delay_alu instid0(VALU_DEP_2) | instskip(SKIP_1) | instid1(VALU_DEP_2)
	v_cndmask_b32_e32 v21, v21, v6, vcc_lo
	;; [unrolled: 5-line block ×6, first 2 shown]
	v_cmp_eq_u32_e32 vcc_lo, 13, v16
	v_cndmask_b32_e32 v21, v21, v15, vcc_lo
	v_cmp_lt_u32_e32 vcc_lo, 10, v16
	s_wait_dscnt 0x0
	s_delay_alu instid0(VALU_DEP_2) | instskip(SKIP_1) | instid1(SALU_CYCLE_1)
	v_fmac_f32_e32 v19, v21, v22
	s_or_b32 s3, vcc_lo, s3
	s_and_not1_b32 exec_lo, exec_lo, s3
	s_cbranch_execnz .LBB77_313
; %bb.314:
	s_or_b32 exec_lo, exec_lo, s3
.LBB77_315:
	s_delay_alu instid0(SALU_CYCLE_1)
	s_or_b32 exec_lo, exec_lo, s2
	v_mov_b32_e32 v14, 0
	ds_load_b32 v14, v14 offset:48
	s_wait_dscnt 0x0
	v_mul_f32_e32 v14, v19, v14
.LBB77_316:
	s_or_b32 exec_lo, exec_lo, s1
	s_delay_alu instid0(SALU_CYCLE_1)
	s_mov_b32 s1, exec_lo
	ds_store_b32 v66, v15
	s_wait_dscnt 0x0
	s_barrier_signal -1
	s_barrier_wait -1
	v_cmpx_ne_u32_e32 13, v0
	s_cbranch_execz .LBB77_326
; %bb.317:
	v_cmp_ne_u32_e32 vcc_lo, 1, v18
	s_cbranch_vccnz .LBB77_319
; %bb.318:
	v_cmp_eq_u32_e32 vcc_lo, 1, v0
	ds_load_b32 v17, v66
	v_cndmask_b32_e32 v16, v2, v3, vcc_lo
	v_cmp_eq_u32_e32 vcc_lo, 2, v0
	s_delay_alu instid0(VALU_DEP_2) | instskip(SKIP_1) | instid1(VALU_DEP_2)
	v_cndmask_b32_e32 v16, v16, v4, vcc_lo
	v_cmp_eq_u32_e32 vcc_lo, 3, v0
	v_cndmask_b32_e32 v16, v16, v5, vcc_lo
	v_cmp_eq_u32_e32 vcc_lo, 4, v0
	s_delay_alu instid0(VALU_DEP_2) | instskip(SKIP_1) | instid1(VALU_DEP_2)
	v_cndmask_b32_e32 v16, v16, v6, vcc_lo
	v_cmp_eq_u32_e32 vcc_lo, 5, v0
	;; [unrolled: 5-line block ×6, first 2 shown]
	v_cndmask_b32_e32 v16, v16, v15, vcc_lo
	s_wait_dscnt 0x0
	s_delay_alu instid0(VALU_DEP_1)
	v_mul_f32_e32 v16, v16, v17
	s_cbranch_execz .LBB77_320
	s_branch .LBB77_321
.LBB77_319:
                                        ; implicit-def: $vgpr16
.LBB77_320:
	ds_load_b32 v16, v66
.LBB77_321:
	s_and_saveexec_b32 s2, s0
	s_cbranch_execz .LBB77_325
; %bb.322:
	v_lshl_add_u32 v17, v0, 2, 0x44
	s_mov_b32 s0, 0
.LBB77_323:                             ; =>This Inner Loop Header: Depth=1
	v_add_nc_u64_e32 v[0:1], 1, v[0:1]
	ds_load_b32 v19, v17
	v_add_nc_u32_e32 v17, 4, v17
	v_cmp_eq_u32_e32 vcc_lo, 1, v0
	v_cndmask_b32_e32 v18, v2, v3, vcc_lo
	v_cmp_eq_u32_e32 vcc_lo, 2, v0
	s_delay_alu instid0(VALU_DEP_2) | instskip(SKIP_1) | instid1(VALU_DEP_2)
	v_cndmask_b32_e32 v18, v18, v4, vcc_lo
	v_cmp_eq_u32_e32 vcc_lo, 3, v0
	v_cndmask_b32_e32 v18, v18, v5, vcc_lo
	v_cmp_eq_u32_e32 vcc_lo, 4, v0
	s_delay_alu instid0(VALU_DEP_2) | instskip(SKIP_1) | instid1(VALU_DEP_2)
	v_cndmask_b32_e32 v18, v18, v6, vcc_lo
	;; [unrolled: 5-line block ×6, first 2 shown]
	v_cmp_eq_u32_e32 vcc_lo, 13, v0
	v_cndmask_b32_e32 v18, v18, v15, vcc_lo
	v_cmp_lt_u32_e32 vcc_lo, 11, v0
	s_wait_dscnt 0x0
	s_delay_alu instid0(VALU_DEP_2) | instskip(SKIP_1) | instid1(SALU_CYCLE_1)
	v_fmac_f32_e32 v16, v18, v19
	s_or_b32 s0, vcc_lo, s0
	s_and_not1_b32 exec_lo, exec_lo, s0
	s_cbranch_execnz .LBB77_323
; %bb.324:
	s_or_b32 exec_lo, exec_lo, s0
.LBB77_325:
	s_delay_alu instid0(SALU_CYCLE_1)
	s_or_b32 exec_lo, exec_lo, s2
	v_mov_b32_e32 v0, 0
	ds_load_b32 v0, v0 offset:52
	s_wait_dscnt 0x0
	v_mul_f32_e32 v15, v16, v0
.LBB77_326:
	s_or_b32 exec_lo, exec_lo, s1
	v_mov_b64_e32 v[32:33], v[16:17]
	s_delay_alu instid0(VALU_DEP_2)
	v_mov_b64_e32 v[30:31], v[14:15]
	v_mov_b64_e32 v[28:29], v[12:13]
	;; [unrolled: 1-line block ×7, first 2 shown]
.LBB77_327:
	s_wait_xcnt 0x5
	v_lshl_add_u64 v[0:1], v[34:35], 2, s[14:15]
	s_wait_loadcnt_dscnt 0x506
	v_lshl_add_u64 v[2:3], v[36:37], 2, s[14:15]
	v_lshl_add_u64 v[4:5], v[38:39], 2, s[14:15]
	;; [unrolled: 1-line block ×4, first 2 shown]
	s_wait_loadcnt_dscnt 0x405
	v_lshl_add_u64 v[10:11], v[44:45], 2, s[14:15]
	s_wait_loadcnt_dscnt 0x203
	v_lshl_add_u64 v[12:13], v[48:49], 2, s[14:15]
	;; [unrolled: 2-line block ×3, first 2 shown]
	v_lshl_add_u64 v[16:17], v[54:55], 2, s[14:15]
	v_lshl_add_u64 v[32:33], v[56:57], 2, s[14:15]
	;; [unrolled: 1-line block ×4, first 2 shown]
	s_clause 0xd
	flat_store_b32 v[46:47], v18
	flat_store_b32 v[52:53], v19
	;; [unrolled: 1-line block ×14, first 2 shown]
.LBB77_328:
	s_sendmsg sendmsg(MSG_DEALLOC_VGPRS)
	s_endpgm
	.section	.rodata,"a",@progbits
	.p2align	6, 0x0
	.amdhsa_kernel _ZN9rocsolver6v33100L18trti2_kernel_smallILi14EfPKPfEEv13rocblas_fill_17rocblas_diagonal_T1_iil
		.amdhsa_group_segment_fixed_size 120
		.amdhsa_private_segment_fixed_size 0
		.amdhsa_kernarg_size 32
		.amdhsa_user_sgpr_count 2
		.amdhsa_user_sgpr_dispatch_ptr 0
		.amdhsa_user_sgpr_queue_ptr 0
		.amdhsa_user_sgpr_kernarg_segment_ptr 1
		.amdhsa_user_sgpr_dispatch_id 0
		.amdhsa_user_sgpr_kernarg_preload_length 0
		.amdhsa_user_sgpr_kernarg_preload_offset 0
		.amdhsa_user_sgpr_private_segment_size 0
		.amdhsa_wavefront_size32 1
		.amdhsa_uses_dynamic_stack 0
		.amdhsa_enable_private_segment 0
		.amdhsa_system_sgpr_workgroup_id_x 1
		.amdhsa_system_sgpr_workgroup_id_y 0
		.amdhsa_system_sgpr_workgroup_id_z 0
		.amdhsa_system_sgpr_workgroup_info 0
		.amdhsa_system_vgpr_workitem_id 0
		.amdhsa_next_free_vgpr 77
		.amdhsa_next_free_sgpr 20
		.amdhsa_named_barrier_count 0
		.amdhsa_reserve_vcc 1
		.amdhsa_float_round_mode_32 0
		.amdhsa_float_round_mode_16_64 0
		.amdhsa_float_denorm_mode_32 3
		.amdhsa_float_denorm_mode_16_64 3
		.amdhsa_fp16_overflow 0
		.amdhsa_memory_ordered 1
		.amdhsa_forward_progress 1
		.amdhsa_inst_pref_size 129
		.amdhsa_round_robin_scheduling 0
		.amdhsa_exception_fp_ieee_invalid_op 0
		.amdhsa_exception_fp_denorm_src 0
		.amdhsa_exception_fp_ieee_div_zero 0
		.amdhsa_exception_fp_ieee_overflow 0
		.amdhsa_exception_fp_ieee_underflow 0
		.amdhsa_exception_fp_ieee_inexact 0
		.amdhsa_exception_int_div_zero 0
	.end_amdhsa_kernel
	.section	.text._ZN9rocsolver6v33100L18trti2_kernel_smallILi14EfPKPfEEv13rocblas_fill_17rocblas_diagonal_T1_iil,"axG",@progbits,_ZN9rocsolver6v33100L18trti2_kernel_smallILi14EfPKPfEEv13rocblas_fill_17rocblas_diagonal_T1_iil,comdat
.Lfunc_end77:
	.size	_ZN9rocsolver6v33100L18trti2_kernel_smallILi14EfPKPfEEv13rocblas_fill_17rocblas_diagonal_T1_iil, .Lfunc_end77-_ZN9rocsolver6v33100L18trti2_kernel_smallILi14EfPKPfEEv13rocblas_fill_17rocblas_diagonal_T1_iil
                                        ; -- End function
	.set _ZN9rocsolver6v33100L18trti2_kernel_smallILi14EfPKPfEEv13rocblas_fill_17rocblas_diagonal_T1_iil.num_vgpr, 77
	.set _ZN9rocsolver6v33100L18trti2_kernel_smallILi14EfPKPfEEv13rocblas_fill_17rocblas_diagonal_T1_iil.num_agpr, 0
	.set _ZN9rocsolver6v33100L18trti2_kernel_smallILi14EfPKPfEEv13rocblas_fill_17rocblas_diagonal_T1_iil.numbered_sgpr, 20
	.set _ZN9rocsolver6v33100L18trti2_kernel_smallILi14EfPKPfEEv13rocblas_fill_17rocblas_diagonal_T1_iil.num_named_barrier, 0
	.set _ZN9rocsolver6v33100L18trti2_kernel_smallILi14EfPKPfEEv13rocblas_fill_17rocblas_diagonal_T1_iil.private_seg_size, 0
	.set _ZN9rocsolver6v33100L18trti2_kernel_smallILi14EfPKPfEEv13rocblas_fill_17rocblas_diagonal_T1_iil.uses_vcc, 1
	.set _ZN9rocsolver6v33100L18trti2_kernel_smallILi14EfPKPfEEv13rocblas_fill_17rocblas_diagonal_T1_iil.uses_flat_scratch, 1
	.set _ZN9rocsolver6v33100L18trti2_kernel_smallILi14EfPKPfEEv13rocblas_fill_17rocblas_diagonal_T1_iil.has_dyn_sized_stack, 0
	.set _ZN9rocsolver6v33100L18trti2_kernel_smallILi14EfPKPfEEv13rocblas_fill_17rocblas_diagonal_T1_iil.has_recursion, 0
	.set _ZN9rocsolver6v33100L18trti2_kernel_smallILi14EfPKPfEEv13rocblas_fill_17rocblas_diagonal_T1_iil.has_indirect_call, 0
	.section	.AMDGPU.csdata,"",@progbits
; Kernel info:
; codeLenInByte = 16404
; TotalNumSgprs: 22
; NumVgprs: 77
; ScratchSize: 0
; MemoryBound: 0
; FloatMode: 240
; IeeeMode: 1
; LDSByteSize: 120 bytes/workgroup (compile time only)
; SGPRBlocks: 0
; VGPRBlocks: 4
; NumSGPRsForWavesPerEU: 22
; NumVGPRsForWavesPerEU: 77
; NamedBarCnt: 0
; Occupancy: 12
; WaveLimiterHint : 1
; COMPUTE_PGM_RSRC2:SCRATCH_EN: 0
; COMPUTE_PGM_RSRC2:USER_SGPR: 2
; COMPUTE_PGM_RSRC2:TRAP_HANDLER: 0
; COMPUTE_PGM_RSRC2:TGID_X_EN: 1
; COMPUTE_PGM_RSRC2:TGID_Y_EN: 0
; COMPUTE_PGM_RSRC2:TGID_Z_EN: 0
; COMPUTE_PGM_RSRC2:TIDIG_COMP_CNT: 0
	.section	.text._ZN9rocsolver6v33100L18trti2_kernel_smallILi15EfPKPfEEv13rocblas_fill_17rocblas_diagonal_T1_iil,"axG",@progbits,_ZN9rocsolver6v33100L18trti2_kernel_smallILi15EfPKPfEEv13rocblas_fill_17rocblas_diagonal_T1_iil,comdat
	.globl	_ZN9rocsolver6v33100L18trti2_kernel_smallILi15EfPKPfEEv13rocblas_fill_17rocblas_diagonal_T1_iil ; -- Begin function _ZN9rocsolver6v33100L18trti2_kernel_smallILi15EfPKPfEEv13rocblas_fill_17rocblas_diagonal_T1_iil
	.p2align	8
	.type	_ZN9rocsolver6v33100L18trti2_kernel_smallILi15EfPKPfEEv13rocblas_fill_17rocblas_diagonal_T1_iil,@function
_ZN9rocsolver6v33100L18trti2_kernel_smallILi15EfPKPfEEv13rocblas_fill_17rocblas_diagonal_T1_iil: ; @_ZN9rocsolver6v33100L18trti2_kernel_smallILi15EfPKPfEEv13rocblas_fill_17rocblas_diagonal_T1_iil
; %bb.0:
	s_mov_b32 s2, exec_lo
	v_cmpx_gt_u32_e32 15, v0
	s_cbranch_execz .LBB78_354
; %bb.1:
	s_clause 0x1
	s_load_b64 s[2:3], s[0:1], 0x10
	s_load_b128 s[16:19], s[0:1], 0x0
	s_wait_xcnt 0x0
	s_bfe_u32 s0, ttmp6, 0x4000c
	s_and_b32 s1, ttmp6, 15
	s_add_co_i32 s0, s0, 1
	s_getreg_b32 s4, hwreg(HW_REG_IB_STS2, 6, 4)
	s_mul_i32 s0, ttmp9, s0
	s_delay_alu instid0(SALU_CYCLE_1)
	s_add_co_i32 s0, s1, s0
	s_wait_kmcnt 0x0
	v_add3_u32 v34, s3, s3, v0
	s_ashr_i32 s1, s2, 31
	s_cmp_eq_u32 s4, 0
	s_cselect_b32 s4, ttmp9, s0
	s_delay_alu instid0(VALU_DEP_1)
	v_add_nc_u32_e32 v36, s3, v34
	s_ashr_i32 s5, s4, 31
	s_mov_b32 s0, s2
	s_lshl_b64 s[4:5], s[4:5], 3
	s_lshl_b64 s[0:1], s[0:1], 2
	v_add_nc_u32_e32 v38, s3, v36
	s_add_nc_u64 s[4:5], s[18:19], s[4:5]
	s_load_b64 s[4:5], s[4:5], 0x0
	s_delay_alu instid0(VALU_DEP_1) | instskip(NEXT) | instid1(VALU_DEP_1)
	v_add_nc_u32_e32 v40, s3, v38
	v_add_nc_u32_e32 v42, s3, v40
	s_delay_alu instid0(VALU_DEP_1) | instskip(NEXT) | instid1(VALU_DEP_1)
	v_add_nc_u32_e32 v44, s3, v42
	v_dual_mov_b32 v1, 0 :: v_dual_add_nc_u32 v46, s3, v44
	s_wait_kmcnt 0x0
	s_add_nc_u64 s[18:19], s[4:5], s[0:1]
	s_mov_b32 s0, s3
	s_delay_alu instid0(VALU_DEP_1) | instskip(SKIP_3) | instid1(VALU_DEP_2)
	v_dual_add_nc_u32 v50, s3, v46 :: v_dual_lshlrev_b32 v18, 2, v0
	v_mov_b32_e32 v19, v1
	s_ashr_i32 s1, s3, 31
	s_cmp_lg_u32 s17, 0x84
	v_add_nc_u32_e32 v52, s3, v50
	s_cselect_b32 s15, -1, 0
	v_add_nc_u64_e32 v[48:49], s[18:19], v[18:19]
	s_cmp_eq_u32 s17, 0x84
	s_delay_alu instid0(VALU_DEP_2) | instskip(NEXT) | instid1(VALU_DEP_2)
	v_dual_mov_b32 v19, -1.0 :: v_dual_add_nc_u32 v56, s3, v52
	v_lshl_add_u64 v[54:55], s[0:1], 2, v[48:49]
	s_delay_alu instid0(VALU_DEP_2)
	v_add_nc_u32_e32 v58, s3, v56
	s_clause 0x7
	flat_load_b32 v3, v[54:55]
	flat_load_b32 v4, v34, s[18:19] scale_offset
	flat_load_b32 v5, v36, s[18:19] scale_offset
	;; [unrolled: 1-line block ×7, first 2 shown]
	v_add_nc_u32_e32 v60, s3, v58
	v_cmp_eq_u32_e64 s0, 0, v0
	s_delay_alu instid0(VALU_DEP_2)
	v_add_nc_u32_e32 v62, s3, v60
	s_clause 0x6
	flat_load_b32 v2, v0, s[18:19] scale_offset
	flat_load_b32 v11, v50, s[18:19] scale_offset
	flat_load_b32 v12, v52, s[18:19] scale_offset
	flat_load_b32 v13, v56, s[18:19] scale_offset
	flat_load_b32 v14, v58, s[18:19] scale_offset
	flat_load_b32 v15, v60, s[18:19] scale_offset
	flat_load_b32 v16, v62, s[18:19] scale_offset
	s_cbranch_scc1 .LBB78_3
; %bb.2:
	v_cmp_eq_u32_e64 s1, 1, v0
	v_cmp_eq_u32_e64 s2, 2, v0
	v_cmp_eq_u32_e64 s3, 3, v0
	v_cmp_eq_u32_e64 s4, 4, v0
	v_cmp_eq_u32_e64 s5, 5, v0
	s_wait_loadcnt_dscnt 0x606
	v_cndmask_b32_e64 v17, v2, v3, s1
	v_cmp_eq_u32_e64 s6, 6, v0
	v_cmp_eq_u32_e64 s7, 7, v0
	;; [unrolled: 1-line block ×4, first 2 shown]
	v_cndmask_b32_e64 v17, v17, v4, s2
	v_cmp_eq_u32_e64 s10, 10, v0
	v_cmp_eq_u32_e64 s11, 11, v0
	;; [unrolled: 1-line block ×4, first 2 shown]
	v_cndmask_b32_e64 v17, v17, v5, s3
	v_cmp_eq_u32_e64 s14, 14, v0
	s_delay_alu instid0(VALU_DEP_2) | instskip(NEXT) | instid1(VALU_DEP_1)
	v_cndmask_b32_e64 v17, v17, v6, s4
	v_cndmask_b32_e64 v17, v17, v7, s5
	s_delay_alu instid0(VALU_DEP_1) | instskip(NEXT) | instid1(VALU_DEP_1)
	v_cndmask_b32_e64 v17, v17, v8, s6
	v_cndmask_b32_e64 v17, v17, v9, s7
	s_delay_alu instid0(VALU_DEP_1) | instskip(SKIP_1) | instid1(VALU_DEP_1)
	v_cndmask_b32_e64 v17, v17, v10, s8
	s_wait_loadcnt_dscnt 0x505
	v_cndmask_b32_e64 v17, v17, v11, s9
	s_wait_loadcnt_dscnt 0x404
	s_delay_alu instid0(VALU_DEP_1) | instskip(SKIP_1) | instid1(VALU_DEP_1)
	v_cndmask_b32_e64 v17, v17, v12, s10
	s_wait_loadcnt_dscnt 0x303
	v_cndmask_b32_e64 v17, v17, v13, s11
	s_wait_loadcnt_dscnt 0x202
	;; [unrolled: 5-line block ×3, first 2 shown]
	s_delay_alu instid0(VALU_DEP_1) | instskip(NEXT) | instid1(VALU_DEP_1)
	v_cndmask_b32_e64 v17, v17, v16, s14
	v_div_scale_f32 v19, null, v17, v17, 1.0
	v_div_scale_f32 v22, vcc_lo, 1.0, v17, 1.0
	s_delay_alu instid0(VALU_DEP_2) | instskip(SKIP_1) | instid1(TRANS32_DEP_1)
	v_rcp_f32_e32 v20, v19
	v_nop
	v_fma_f32 v21, -v19, v20, 1.0
	s_delay_alu instid0(VALU_DEP_1) | instskip(NEXT) | instid1(VALU_DEP_1)
	v_fmac_f32_e32 v20, v21, v20
	v_mul_f32_e32 v21, v22, v20
	s_delay_alu instid0(VALU_DEP_1) | instskip(NEXT) | instid1(VALU_DEP_1)
	v_fma_f32 v23, -v19, v21, v22
	v_fmac_f32_e32 v21, v23, v20
	s_delay_alu instid0(VALU_DEP_1) | instskip(NEXT) | instid1(VALU_DEP_1)
	v_fma_f32 v19, -v19, v21, v22
	v_div_fmas_f32 v19, v19, v20, v21
	s_delay_alu instid0(VALU_DEP_1) | instskip(NEXT) | instid1(VALU_DEP_1)
	v_div_fixup_f32 v17, v19, v17, 1.0
	v_dual_cndmask_b32 v16, v16, v17, s14 :: v_dual_cndmask_b32 v15, v15, v17, s13
	v_dual_cndmask_b32 v14, v14, v17, s12 :: v_dual_cndmask_b32 v13, v13, v17, s11
	;; [unrolled: 1-line block ×7, first 2 shown]
	v_cndmask_b32_e64 v2, v2, v17, s0
	v_xor_b32_e32 v19, 0x80000000, v17
.LBB78_3:
	v_dual_ashrrev_i32 v35, 31, v34 :: v_dual_ashrrev_i32 v37, 31, v36
	v_dual_ashrrev_i32 v39, 31, v38 :: v_dual_ashrrev_i32 v41, 31, v40
	;; [unrolled: 1-line block ×6, first 2 shown]
	v_ashrrev_i32_e32 v63, 31, v62
	v_add_nc_u32_e32 v68, 64, v18
	s_cmp_eq_u32 s16, 0x79
	ds_store_b32 v18, v19
	s_cbranch_scc1 .LBB78_7
; %bb.4:
	s_wait_loadcnt_dscnt 0x1
	v_mov_b64_e32 v[32:33], v[16:17]
	v_mov_b64_e32 v[30:31], v[14:15]
	;; [unrolled: 1-line block ×8, first 2 shown]
	v_cmp_eq_u32_e64 s1, 14, v0
	ds_store_b32 v68, v15
	s_wait_dscnt 0x0
	s_barrier_signal -1
	s_barrier_wait -1
	s_and_saveexec_b32 s0, s1
	s_cbranch_execz .LBB78_11
; %bb.5:
	s_and_b32 vcc_lo, exec_lo, s15
	s_cbranch_vccz .LBB78_8
; %bb.6:
	v_cmp_eq_u32_e32 vcc_lo, 1, v0
	ds_load_b32 v19, v68
	v_cndmask_b32_e32 v18, v2, v3, vcc_lo
	v_cmp_eq_u32_e32 vcc_lo, 2, v0
	s_delay_alu instid0(VALU_DEP_2) | instskip(SKIP_1) | instid1(VALU_DEP_2)
	v_cndmask_b32_e32 v18, v18, v4, vcc_lo
	v_cmp_eq_u32_e32 vcc_lo, 3, v0
	v_cndmask_b32_e32 v18, v18, v5, vcc_lo
	v_cmp_eq_u32_e32 vcc_lo, 4, v0
	s_delay_alu instid0(VALU_DEP_2) | instskip(SKIP_1) | instid1(VALU_DEP_2)
	v_cndmask_b32_e32 v18, v18, v6, vcc_lo
	v_cmp_eq_u32_e32 vcc_lo, 5, v0
	;; [unrolled: 5-line block ×6, first 2 shown]
	v_cndmask_b32_e32 v18, v18, v15, vcc_lo
	v_cmp_eq_u32_e32 vcc_lo, 14, v0
	s_delay_alu instid0(VALU_DEP_2) | instskip(SKIP_1) | instid1(VALU_DEP_1)
	v_cndmask_b32_e32 v18, v18, v16, vcc_lo
	s_wait_dscnt 0x0
	v_mul_f32_e32 v31, v18, v19
	s_cbranch_execz .LBB78_9
	s_branch .LBB78_10
.LBB78_7:
                                        ; implicit-def: $vgpr18_vgpr19_vgpr20_vgpr21_vgpr22_vgpr23_vgpr24_vgpr25_vgpr26_vgpr27_vgpr28_vgpr29_vgpr30_vgpr31_vgpr32_vgpr33
	s_cbranch_execnz .LBB78_210
	s_branch .LBB78_353
.LBB78_8:
                                        ; implicit-def: $vgpr31
.LBB78_9:
	ds_load_b32 v31, v68
.LBB78_10:
	v_dual_mov_b32 v18, 0 :: v_dual_mov_b32 v19, v3
	v_dual_mov_b32 v21, v5 :: v_dual_mov_b32 v22, v6
	v_dual_mov_b32 v23, v7 :: v_dual_mov_b32 v24, v8
	ds_load_b32 v32, v18 offset:52
	v_dual_mov_b32 v18, v2 :: v_dual_mov_b32 v20, v4
	v_dual_mov_b32 v25, v9 :: v_dual_mov_b32 v26, v10
	;; [unrolled: 1-line block ×4, first 2 shown]
	s_wait_dscnt 0x0
	v_dual_mul_f32 v31, v31, v32 :: v_dual_mov_b32 v32, v16
.LBB78_11:
	s_or_b32 exec_lo, exec_lo, s0
	v_cmp_lt_u32_e64 s0, 12, v0
	ds_store_b32 v68, v30
	s_wait_dscnt 0x0
	s_barrier_signal -1
	s_barrier_wait -1
	s_and_saveexec_b32 s2, s0
	s_cbranch_execz .LBB78_17
; %bb.12:
	s_and_not1_b32 vcc_lo, exec_lo, s15
	s_cbranch_vccnz .LBB78_14
; %bb.13:
	v_cmp_eq_u32_e32 vcc_lo, 1, v0
	ds_load_b32 v64, v68
	v_cndmask_b32_e32 v33, v18, v19, vcc_lo
	v_cmp_eq_u32_e32 vcc_lo, 2, v0
	s_delay_alu instid0(VALU_DEP_2) | instskip(SKIP_1) | instid1(VALU_DEP_2)
	v_cndmask_b32_e32 v33, v33, v20, vcc_lo
	v_cmp_eq_u32_e32 vcc_lo, 3, v0
	v_cndmask_b32_e32 v33, v33, v21, vcc_lo
	v_cmp_eq_u32_e32 vcc_lo, 4, v0
	s_delay_alu instid0(VALU_DEP_2) | instskip(SKIP_1) | instid1(VALU_DEP_2)
	v_cndmask_b32_e32 v33, v33, v22, vcc_lo
	v_cmp_eq_u32_e32 vcc_lo, 5, v0
	;; [unrolled: 5-line block ×6, first 2 shown]
	v_cndmask_b32_e32 v30, v30, v31, vcc_lo
	v_cmp_eq_u32_e32 vcc_lo, 14, v0
	s_delay_alu instid0(VALU_DEP_2) | instskip(SKIP_1) | instid1(VALU_DEP_1)
	v_cndmask_b32_e32 v30, v30, v32, vcc_lo
	s_wait_dscnt 0x0
	v_mul_f32_e32 v30, v30, v64
	s_cbranch_execz .LBB78_15
	s_branch .LBB78_16
.LBB78_14:
                                        ; implicit-def: $vgpr30
.LBB78_15:
	ds_load_b32 v30, v68
.LBB78_16:
	v_mov_b32_e32 v33, 0
	ds_load_2addr_b32 v[64:65], v33 offset0:12 offset1:29
	s_wait_dscnt 0x0
	v_fma_f32 v33, v31, v65, v30
	s_delay_alu instid0(VALU_DEP_1) | instskip(NEXT) | instid1(VALU_DEP_1)
	v_cndmask_b32_e64 v30, v30, v33, s1
	v_mul_f32_e32 v30, v30, v64
.LBB78_17:
	s_or_b32 exec_lo, exec_lo, s2
	v_cmp_lt_u32_e64 s1, 11, v0
	ds_store_b32 v68, v29
	s_wait_dscnt 0x0
	s_barrier_signal -1
	s_barrier_wait -1
	s_and_saveexec_b32 s4, s1
	s_cbranch_execz .LBB78_33
; %bb.18:
	s_and_not1_b32 vcc_lo, exec_lo, s15
	s_cbranch_vccnz .LBB78_20
; %bb.19:
	v_cmp_eq_u32_e32 vcc_lo, 1, v0
	ds_load_b32 v65, v68
	v_cndmask_b32_e32 v64, v18, v19, vcc_lo
	v_cmp_eq_u32_e32 vcc_lo, 2, v0
	s_delay_alu instid0(VALU_DEP_2) | instskip(SKIP_1) | instid1(VALU_DEP_2)
	v_cndmask_b32_e32 v64, v64, v20, vcc_lo
	v_cmp_eq_u32_e32 vcc_lo, 3, v0
	v_cndmask_b32_e32 v64, v64, v21, vcc_lo
	v_cmp_eq_u32_e32 vcc_lo, 4, v0
	s_delay_alu instid0(VALU_DEP_2) | instskip(SKIP_1) | instid1(VALU_DEP_2)
	v_cndmask_b32_e32 v64, v64, v22, vcc_lo
	v_cmp_eq_u32_e32 vcc_lo, 5, v0
	;; [unrolled: 5-line block ×6, first 2 shown]
	v_cndmask_b32_e32 v64, v64, v31, vcc_lo
	v_cmp_eq_u32_e32 vcc_lo, 14, v0
	s_delay_alu instid0(VALU_DEP_2) | instskip(SKIP_1) | instid1(VALU_DEP_1)
	v_cndmask_b32_e32 v64, v64, v32, vcc_lo
	s_wait_dscnt 0x0
	v_mul_f32_e32 v67, v64, v65
	s_cbranch_execz .LBB78_21
	s_branch .LBB78_22
.LBB78_20:
                                        ; implicit-def: $vgpr67
.LBB78_21:
	ds_load_b32 v67, v68
.LBB78_22:
	s_and_saveexec_b32 s5, s0
	s_cbranch_execz .LBB78_32
; %bb.23:
	v_dual_add_nc_u32 v64, -13, v0 :: v_dual_add_nc_u32 v65, -12, v0
	s_delay_alu instid0(VALU_DEP_1)
	v_cmp_lt_u32_e32 vcc_lo, 6, v64
	v_mov_b32_e32 v64, 12
	s_and_saveexec_b32 s0, vcc_lo
	s_cbranch_execz .LBB78_27
; %bb.24:
	v_and_b32_e32 v64, -8, v65
	s_mov_b32 s6, 0
	s_mov_b64 s[2:3], 19
	s_movk_i32 s7, 0x70
	s_delay_alu instid0(VALU_DEP_1)
	v_sub_nc_u32_e32 v66, 0, v64
.LBB78_25:                              ; =>This Inner Loop Header: Depth=1
	s_add_co_i32 m0, s2, -7
	v_movrels_b32_e32 v69, v18
	v_mov_b32_e32 v64, s7
	s_add_co_i32 m0, s2, -6
	s_add_co_i32 s7, s7, 32
	v_movrels_b32_e32 v78, v18
	s_add_co_i32 m0, s2, -5
	ds_load_b128 v[70:73], v64
	ds_load_b128 v[74:77], v64 offset:16
	v_movrels_b32_e32 v64, v18
	s_add_co_i32 m0, s2, -4
	s_wait_dscnt 0x1
	v_fmac_f32_e32 v67, v69, v70
	v_movrels_b32_e32 v69, v18
	s_add_co_i32 m0, s2, -3
	s_delay_alu instid0(VALU_DEP_2) | instskip(NEXT) | instid1(VALU_DEP_1)
	v_fmac_f32_e32 v67, v78, v71
	v_fmac_f32_e32 v67, v64, v72
	v_movrels_b32_e32 v64, v18
	s_add_co_i32 m0, s2, -2
	s_delay_alu instid0(VALU_DEP_2) | instskip(SKIP_3) | instid1(VALU_DEP_2)
	v_fmac_f32_e32 v67, v69, v73
	v_movrels_b32_e32 v69, v18
	s_add_co_i32 m0, s2, -1
	s_wait_dscnt 0x0
	v_fmac_f32_e32 v67, v64, v74
	v_movrels_b32_e32 v64, v18
	s_mov_b32 m0, s2
	s_add_nc_u64 s[2:3], s[2:3], 8
	v_movrels_b32_e32 v70, v18
	v_dual_fmac_f32 v67, v69, v75 :: v_dual_add_nc_u32 v69, s2, v66
	s_add_co_i32 s8, s2, -7
	s_delay_alu instid0(VALU_DEP_1) | instskip(NEXT) | instid1(VALU_DEP_2)
	v_fmac_f32_e32 v67, v64, v76
	v_cmp_eq_u32_e32 vcc_lo, 19, v69
	s_delay_alu instid0(VALU_DEP_2) | instskip(SKIP_1) | instid1(SALU_CYCLE_1)
	v_dual_mov_b32 v64, s8 :: v_dual_fmac_f32 v67, v70, v77
	s_or_b32 s6, vcc_lo, s6
	s_and_not1_b32 exec_lo, exec_lo, s6
	s_cbranch_execnz .LBB78_25
; %bb.26:
	s_or_b32 exec_lo, exec_lo, s6
.LBB78_27:
	s_delay_alu instid0(SALU_CYCLE_1) | instskip(SKIP_3) | instid1(VALU_DEP_1)
	s_or_b32 exec_lo, exec_lo, s0
	v_and_b32_e32 v33, 7, v65
	s_mov_b32 s2, 0
	s_mov_b32 s0, exec_lo
	v_cmpx_ne_u32_e32 0, v33
	s_cbranch_execz .LBB78_31
; %bb.28:
	v_lshl_add_u32 v66, v64, 2, 64
	v_mov_b32_e32 v65, 0
.LBB78_29:                              ; =>This Inner Loop Header: Depth=1
	v_cmp_eq_u32_e32 vcc_lo, 1, v64
	ds_load_b32 v70, v66
	v_dual_add_nc_u32 v33, -1, v33 :: v_dual_add_nc_u32 v66, 4, v66
	v_cndmask_b32_e32 v69, v18, v19, vcc_lo
	v_cmp_eq_u32_e32 vcc_lo, 2, v64
	s_delay_alu instid0(VALU_DEP_2) | instskip(SKIP_1) | instid1(VALU_DEP_2)
	v_cndmask_b32_e32 v69, v69, v20, vcc_lo
	v_cmp_eq_u32_e32 vcc_lo, 3, v64
	v_cndmask_b32_e32 v69, v69, v21, vcc_lo
	v_cmp_eq_u32_e32 vcc_lo, 4, v64
	s_delay_alu instid0(VALU_DEP_2) | instskip(SKIP_1) | instid1(VALU_DEP_2)
	v_cndmask_b32_e32 v69, v69, v22, vcc_lo
	v_cmp_eq_u32_e32 vcc_lo, 5, v64
	;; [unrolled: 5-line block ×6, first 2 shown]
	v_cndmask_b32_e32 v69, v69, v31, vcc_lo
	v_cmp_eq_u32_e32 vcc_lo, 14, v64
	v_add_nc_u64_e32 v[64:65], 1, v[64:65]
	s_delay_alu instid0(VALU_DEP_3) | instskip(SKIP_2) | instid1(VALU_DEP_2)
	v_cndmask_b32_e32 v69, v69, v32, vcc_lo
	v_cmp_eq_u32_e32 vcc_lo, 0, v33
	s_wait_dscnt 0x0
	v_fmac_f32_e32 v67, v69, v70
	s_or_b32 s2, vcc_lo, s2
	s_delay_alu instid0(SALU_CYCLE_1)
	s_and_not1_b32 exec_lo, exec_lo, s2
	s_cbranch_execnz .LBB78_29
; %bb.30:
	s_or_b32 exec_lo, exec_lo, s2
.LBB78_31:
	s_delay_alu instid0(SALU_CYCLE_1)
	s_or_b32 exec_lo, exec_lo, s0
.LBB78_32:
	s_delay_alu instid0(SALU_CYCLE_1)
	s_or_b32 exec_lo, exec_lo, s5
	v_mov_b32_e32 v29, 0
	ds_load_b32 v29, v29 offset:44
	s_wait_dscnt 0x0
	v_mul_f32_e32 v29, v67, v29
.LBB78_33:
	s_or_b32 exec_lo, exec_lo, s4
	v_cmp_lt_u32_e64 s0, 10, v0
	ds_store_b32 v68, v28
	s_wait_dscnt 0x0
	s_barrier_signal -1
	s_barrier_wait -1
	s_and_saveexec_b32 s4, s0
	s_cbranch_execz .LBB78_49
; %bb.34:
	s_and_not1_b32 vcc_lo, exec_lo, s15
	s_cbranch_vccnz .LBB78_36
; %bb.35:
	v_cmp_eq_u32_e32 vcc_lo, 1, v0
	ds_load_b32 v65, v68
	v_cndmask_b32_e32 v64, v18, v19, vcc_lo
	v_cmp_eq_u32_e32 vcc_lo, 2, v0
	s_delay_alu instid0(VALU_DEP_2) | instskip(SKIP_1) | instid1(VALU_DEP_2)
	v_cndmask_b32_e32 v64, v64, v20, vcc_lo
	v_cmp_eq_u32_e32 vcc_lo, 3, v0
	v_cndmask_b32_e32 v64, v64, v21, vcc_lo
	v_cmp_eq_u32_e32 vcc_lo, 4, v0
	s_delay_alu instid0(VALU_DEP_2) | instskip(SKIP_1) | instid1(VALU_DEP_2)
	v_cndmask_b32_e32 v64, v64, v22, vcc_lo
	v_cmp_eq_u32_e32 vcc_lo, 5, v0
	;; [unrolled: 5-line block ×6, first 2 shown]
	v_cndmask_b32_e32 v64, v64, v31, vcc_lo
	v_cmp_eq_u32_e32 vcc_lo, 14, v0
	s_delay_alu instid0(VALU_DEP_2) | instskip(SKIP_1) | instid1(VALU_DEP_1)
	v_cndmask_b32_e32 v64, v64, v32, vcc_lo
	s_wait_dscnt 0x0
	v_mul_f32_e32 v67, v64, v65
	s_cbranch_execz .LBB78_37
	s_branch .LBB78_38
.LBB78_36:
                                        ; implicit-def: $vgpr67
.LBB78_37:
	ds_load_b32 v67, v68
.LBB78_38:
	s_and_saveexec_b32 s5, s1
	s_cbranch_execz .LBB78_48
; %bb.39:
	v_dual_add_nc_u32 v64, -12, v0 :: v_dual_add_nc_u32 v65, -11, v0
	s_delay_alu instid0(VALU_DEP_1)
	v_cmp_lt_u32_e32 vcc_lo, 6, v64
	v_mov_b32_e32 v64, 11
	s_and_saveexec_b32 s1, vcc_lo
	s_cbranch_execz .LBB78_43
; %bb.40:
	v_and_b32_e32 v64, -8, v65
	s_mov_b32 s6, 0
	s_mov_b64 s[2:3], 18
	s_movk_i32 s7, 0x6c
	s_delay_alu instid0(VALU_DEP_1)
	v_sub_nc_u32_e32 v66, 0, v64
.LBB78_41:                              ; =>This Inner Loop Header: Depth=1
	s_add_co_i32 m0, s2, -7
	v_movrels_b32_e32 v69, v18
	v_mov_b32_e32 v64, s7
	s_add_co_i32 m0, s2, -6
	s_add_co_i32 s7, s7, 32
	v_movrels_b32_e32 v78, v18
	ds_load_2addr_b32 v[70:71], v64 offset1:1
	ds_load_2addr_b32 v[72:73], v64 offset0:2 offset1:3
	s_add_co_i32 m0, s2, -5
	s_wait_dscnt 0x1
	v_fmac_f32_e32 v67, v69, v70
	ds_load_2addr_b32 v[74:75], v64 offset0:4 offset1:5
	ds_load_2addr_b32 v[76:77], v64 offset0:6 offset1:7
	v_movrels_b32_e32 v64, v18
	s_add_co_i32 m0, s2, -4
	v_fmac_f32_e32 v67, v78, v71
	v_movrels_b32_e32 v69, v18
	s_add_co_i32 m0, s2, -3
	s_wait_dscnt 0x2
	s_delay_alu instid0(VALU_DEP_2) | instskip(SKIP_2) | instid1(VALU_DEP_2)
	v_fmac_f32_e32 v67, v64, v72
	v_movrels_b32_e32 v64, v18
	s_add_co_i32 m0, s2, -2
	v_fmac_f32_e32 v67, v69, v73
	v_movrels_b32_e32 v69, v18
	s_add_co_i32 m0, s2, -1
	s_wait_dscnt 0x1
	s_delay_alu instid0(VALU_DEP_2)
	v_fmac_f32_e32 v67, v64, v74
	v_movrels_b32_e32 v64, v18
	s_mov_b32 m0, s2
	s_add_nc_u64 s[2:3], s[2:3], 8
	v_movrels_b32_e32 v70, v18
	v_dual_fmac_f32 v67, v69, v75 :: v_dual_add_nc_u32 v69, s2, v66
	s_add_co_i32 s8, s2, -7
	s_wait_dscnt 0x0
	s_delay_alu instid0(VALU_DEP_1) | instskip(NEXT) | instid1(VALU_DEP_2)
	v_fmac_f32_e32 v67, v64, v76
	v_cmp_eq_u32_e32 vcc_lo, 18, v69
	s_delay_alu instid0(VALU_DEP_2) | instskip(SKIP_1) | instid1(SALU_CYCLE_1)
	v_dual_mov_b32 v64, s8 :: v_dual_fmac_f32 v67, v70, v77
	s_or_b32 s6, vcc_lo, s6
	s_and_not1_b32 exec_lo, exec_lo, s6
	s_cbranch_execnz .LBB78_41
; %bb.42:
	s_or_b32 exec_lo, exec_lo, s6
.LBB78_43:
	s_delay_alu instid0(SALU_CYCLE_1) | instskip(SKIP_3) | instid1(VALU_DEP_1)
	s_or_b32 exec_lo, exec_lo, s1
	v_and_b32_e32 v33, 7, v65
	s_mov_b32 s2, 0
	s_mov_b32 s1, exec_lo
	v_cmpx_ne_u32_e32 0, v33
	s_cbranch_execz .LBB78_47
; %bb.44:
	v_lshl_add_u32 v66, v64, 2, 64
	v_mov_b32_e32 v65, 0
.LBB78_45:                              ; =>This Inner Loop Header: Depth=1
	v_cmp_eq_u32_e32 vcc_lo, 1, v64
	ds_load_b32 v70, v66
	v_dual_add_nc_u32 v33, -1, v33 :: v_dual_add_nc_u32 v66, 4, v66
	v_cndmask_b32_e32 v69, v18, v19, vcc_lo
	v_cmp_eq_u32_e32 vcc_lo, 2, v64
	s_delay_alu instid0(VALU_DEP_2) | instskip(SKIP_1) | instid1(VALU_DEP_2)
	v_cndmask_b32_e32 v69, v69, v20, vcc_lo
	v_cmp_eq_u32_e32 vcc_lo, 3, v64
	v_cndmask_b32_e32 v69, v69, v21, vcc_lo
	v_cmp_eq_u32_e32 vcc_lo, 4, v64
	s_delay_alu instid0(VALU_DEP_2) | instskip(SKIP_1) | instid1(VALU_DEP_2)
	v_cndmask_b32_e32 v69, v69, v22, vcc_lo
	v_cmp_eq_u32_e32 vcc_lo, 5, v64
	;; [unrolled: 5-line block ×6, first 2 shown]
	v_cndmask_b32_e32 v69, v69, v31, vcc_lo
	v_cmp_eq_u32_e32 vcc_lo, 14, v64
	v_add_nc_u64_e32 v[64:65], 1, v[64:65]
	s_delay_alu instid0(VALU_DEP_3) | instskip(SKIP_2) | instid1(VALU_DEP_2)
	v_cndmask_b32_e32 v69, v69, v32, vcc_lo
	v_cmp_eq_u32_e32 vcc_lo, 0, v33
	s_wait_dscnt 0x0
	v_fmac_f32_e32 v67, v69, v70
	s_or_b32 s2, vcc_lo, s2
	s_delay_alu instid0(SALU_CYCLE_1)
	s_and_not1_b32 exec_lo, exec_lo, s2
	s_cbranch_execnz .LBB78_45
; %bb.46:
	s_or_b32 exec_lo, exec_lo, s2
.LBB78_47:
	s_delay_alu instid0(SALU_CYCLE_1)
	s_or_b32 exec_lo, exec_lo, s1
.LBB78_48:
	s_delay_alu instid0(SALU_CYCLE_1)
	s_or_b32 exec_lo, exec_lo, s5
	v_mov_b32_e32 v28, 0
	ds_load_b32 v28, v28 offset:40
	s_wait_dscnt 0x0
	v_mul_f32_e32 v28, v67, v28
.LBB78_49:
	s_or_b32 exec_lo, exec_lo, s4
	v_cmp_lt_u32_e64 s1, 9, v0
	ds_store_b32 v68, v27
	s_wait_dscnt 0x0
	s_barrier_signal -1
	s_barrier_wait -1
	s_and_saveexec_b32 s4, s1
	s_cbranch_execz .LBB78_65
; %bb.50:
	s_and_not1_b32 vcc_lo, exec_lo, s15
	s_cbranch_vccnz .LBB78_52
; %bb.51:
	v_cmp_eq_u32_e32 vcc_lo, 1, v0
	ds_load_b32 v65, v68
	v_cndmask_b32_e32 v64, v18, v19, vcc_lo
	v_cmp_eq_u32_e32 vcc_lo, 2, v0
	s_delay_alu instid0(VALU_DEP_2) | instskip(SKIP_1) | instid1(VALU_DEP_2)
	v_cndmask_b32_e32 v64, v64, v20, vcc_lo
	v_cmp_eq_u32_e32 vcc_lo, 3, v0
	v_cndmask_b32_e32 v64, v64, v21, vcc_lo
	v_cmp_eq_u32_e32 vcc_lo, 4, v0
	s_delay_alu instid0(VALU_DEP_2) | instskip(SKIP_1) | instid1(VALU_DEP_2)
	v_cndmask_b32_e32 v64, v64, v22, vcc_lo
	v_cmp_eq_u32_e32 vcc_lo, 5, v0
	;; [unrolled: 5-line block ×6, first 2 shown]
	v_cndmask_b32_e32 v64, v64, v31, vcc_lo
	v_cmp_eq_u32_e32 vcc_lo, 14, v0
	s_delay_alu instid0(VALU_DEP_2) | instskip(SKIP_1) | instid1(VALU_DEP_1)
	v_cndmask_b32_e32 v64, v64, v32, vcc_lo
	s_wait_dscnt 0x0
	v_mul_f32_e32 v67, v64, v65
	s_cbranch_execz .LBB78_53
	s_branch .LBB78_54
.LBB78_52:
                                        ; implicit-def: $vgpr67
.LBB78_53:
	ds_load_b32 v67, v68
.LBB78_54:
	s_and_saveexec_b32 s5, s0
	s_cbranch_execz .LBB78_64
; %bb.55:
	v_dual_add_nc_u32 v64, -11, v0 :: v_dual_add_nc_u32 v65, -10, v0
	s_delay_alu instid0(VALU_DEP_1)
	v_cmp_lt_u32_e32 vcc_lo, 6, v64
	v_mov_b32_e32 v64, 10
	s_and_saveexec_b32 s0, vcc_lo
	s_cbranch_execz .LBB78_59
; %bb.56:
	v_and_b32_e32 v64, -8, v65
	s_mov_b32 s6, 0
	s_mov_b64 s[2:3], 17
	s_movk_i32 s7, 0x68
	s_delay_alu instid0(VALU_DEP_1)
	v_sub_nc_u32_e32 v66, 0, v64
.LBB78_57:                              ; =>This Inner Loop Header: Depth=1
	s_add_co_i32 m0, s2, -7
	v_movrels_b32_e32 v69, v18
	v_mov_b32_e32 v64, s7
	s_add_co_i32 m0, s2, -6
	s_add_co_i32 s7, s7, 32
	v_movrels_b32_e32 v78, v18
	s_add_co_i32 m0, s2, -5
	ds_load_2addr_b64 v[70:73], v64 offset1:1
	ds_load_2addr_b64 v[74:77], v64 offset0:2 offset1:3
	v_movrels_b32_e32 v64, v18
	s_add_co_i32 m0, s2, -4
	s_wait_dscnt 0x1
	v_fmac_f32_e32 v67, v69, v70
	v_movrels_b32_e32 v69, v18
	s_add_co_i32 m0, s2, -3
	s_delay_alu instid0(VALU_DEP_2) | instskip(NEXT) | instid1(VALU_DEP_1)
	v_fmac_f32_e32 v67, v78, v71
	v_fmac_f32_e32 v67, v64, v72
	v_movrels_b32_e32 v64, v18
	s_add_co_i32 m0, s2, -2
	s_delay_alu instid0(VALU_DEP_2) | instskip(SKIP_3) | instid1(VALU_DEP_2)
	v_fmac_f32_e32 v67, v69, v73
	v_movrels_b32_e32 v69, v18
	s_add_co_i32 m0, s2, -1
	s_wait_dscnt 0x0
	v_fmac_f32_e32 v67, v64, v74
	v_movrels_b32_e32 v64, v18
	s_mov_b32 m0, s2
	s_add_nc_u64 s[2:3], s[2:3], 8
	v_movrels_b32_e32 v70, v18
	v_dual_fmac_f32 v67, v69, v75 :: v_dual_add_nc_u32 v69, s2, v66
	s_add_co_i32 s8, s2, -7
	s_delay_alu instid0(VALU_DEP_1) | instskip(NEXT) | instid1(VALU_DEP_2)
	v_fmac_f32_e32 v67, v64, v76
	v_cmp_eq_u32_e32 vcc_lo, 17, v69
	s_delay_alu instid0(VALU_DEP_2) | instskip(SKIP_1) | instid1(SALU_CYCLE_1)
	v_dual_mov_b32 v64, s8 :: v_dual_fmac_f32 v67, v70, v77
	s_or_b32 s6, vcc_lo, s6
	s_and_not1_b32 exec_lo, exec_lo, s6
	s_cbranch_execnz .LBB78_57
; %bb.58:
	s_or_b32 exec_lo, exec_lo, s6
.LBB78_59:
	s_delay_alu instid0(SALU_CYCLE_1) | instskip(SKIP_3) | instid1(VALU_DEP_1)
	s_or_b32 exec_lo, exec_lo, s0
	v_and_b32_e32 v33, 7, v65
	s_mov_b32 s2, 0
	s_mov_b32 s0, exec_lo
	v_cmpx_ne_u32_e32 0, v33
	s_cbranch_execz .LBB78_63
; %bb.60:
	v_lshl_add_u32 v66, v64, 2, 64
	v_mov_b32_e32 v65, 0
.LBB78_61:                              ; =>This Inner Loop Header: Depth=1
	v_cmp_eq_u32_e32 vcc_lo, 1, v64
	ds_load_b32 v70, v66
	v_dual_add_nc_u32 v33, -1, v33 :: v_dual_add_nc_u32 v66, 4, v66
	v_cndmask_b32_e32 v69, v18, v19, vcc_lo
	v_cmp_eq_u32_e32 vcc_lo, 2, v64
	s_delay_alu instid0(VALU_DEP_2) | instskip(SKIP_1) | instid1(VALU_DEP_2)
	v_cndmask_b32_e32 v69, v69, v20, vcc_lo
	v_cmp_eq_u32_e32 vcc_lo, 3, v64
	v_cndmask_b32_e32 v69, v69, v21, vcc_lo
	v_cmp_eq_u32_e32 vcc_lo, 4, v64
	s_delay_alu instid0(VALU_DEP_2) | instskip(SKIP_1) | instid1(VALU_DEP_2)
	v_cndmask_b32_e32 v69, v69, v22, vcc_lo
	v_cmp_eq_u32_e32 vcc_lo, 5, v64
	;; [unrolled: 5-line block ×6, first 2 shown]
	v_cndmask_b32_e32 v69, v69, v31, vcc_lo
	v_cmp_eq_u32_e32 vcc_lo, 14, v64
	v_add_nc_u64_e32 v[64:65], 1, v[64:65]
	s_delay_alu instid0(VALU_DEP_3) | instskip(SKIP_2) | instid1(VALU_DEP_2)
	v_cndmask_b32_e32 v69, v69, v32, vcc_lo
	v_cmp_eq_u32_e32 vcc_lo, 0, v33
	s_wait_dscnt 0x0
	v_fmac_f32_e32 v67, v69, v70
	s_or_b32 s2, vcc_lo, s2
	s_delay_alu instid0(SALU_CYCLE_1)
	s_and_not1_b32 exec_lo, exec_lo, s2
	s_cbranch_execnz .LBB78_61
; %bb.62:
	s_or_b32 exec_lo, exec_lo, s2
.LBB78_63:
	s_delay_alu instid0(SALU_CYCLE_1)
	s_or_b32 exec_lo, exec_lo, s0
.LBB78_64:
	s_delay_alu instid0(SALU_CYCLE_1)
	s_or_b32 exec_lo, exec_lo, s5
	v_mov_b32_e32 v27, 0
	ds_load_b32 v27, v27 offset:36
	s_wait_dscnt 0x0
	v_mul_f32_e32 v27, v67, v27
.LBB78_65:
	s_or_b32 exec_lo, exec_lo, s4
	v_cmp_lt_u32_e64 s0, 8, v0
	ds_store_b32 v68, v26
	s_wait_dscnt 0x0
	s_barrier_signal -1
	s_barrier_wait -1
	s_and_saveexec_b32 s4, s0
	s_cbranch_execz .LBB78_81
; %bb.66:
	s_and_not1_b32 vcc_lo, exec_lo, s15
	s_cbranch_vccnz .LBB78_68
; %bb.67:
	v_cmp_eq_u32_e32 vcc_lo, 1, v0
	ds_load_b32 v65, v68
	v_cndmask_b32_e32 v64, v18, v19, vcc_lo
	v_cmp_eq_u32_e32 vcc_lo, 2, v0
	s_delay_alu instid0(VALU_DEP_2) | instskip(SKIP_1) | instid1(VALU_DEP_2)
	v_cndmask_b32_e32 v64, v64, v20, vcc_lo
	v_cmp_eq_u32_e32 vcc_lo, 3, v0
	v_cndmask_b32_e32 v64, v64, v21, vcc_lo
	v_cmp_eq_u32_e32 vcc_lo, 4, v0
	s_delay_alu instid0(VALU_DEP_2) | instskip(SKIP_1) | instid1(VALU_DEP_2)
	v_cndmask_b32_e32 v64, v64, v22, vcc_lo
	v_cmp_eq_u32_e32 vcc_lo, 5, v0
	;; [unrolled: 5-line block ×6, first 2 shown]
	v_cndmask_b32_e32 v64, v64, v31, vcc_lo
	v_cmp_eq_u32_e32 vcc_lo, 14, v0
	s_delay_alu instid0(VALU_DEP_2) | instskip(SKIP_1) | instid1(VALU_DEP_1)
	v_cndmask_b32_e32 v64, v64, v32, vcc_lo
	s_wait_dscnt 0x0
	v_mul_f32_e32 v67, v64, v65
	s_cbranch_execz .LBB78_69
	s_branch .LBB78_70
.LBB78_68:
                                        ; implicit-def: $vgpr67
.LBB78_69:
	ds_load_b32 v67, v68
.LBB78_70:
	s_and_saveexec_b32 s5, s1
	s_cbranch_execz .LBB78_80
; %bb.71:
	v_dual_add_nc_u32 v64, -10, v0 :: v_dual_add_nc_u32 v65, -9, v0
	s_delay_alu instid0(VALU_DEP_1)
	v_cmp_lt_u32_e32 vcc_lo, 6, v64
	v_mov_b32_e32 v64, 9
	s_and_saveexec_b32 s1, vcc_lo
	s_cbranch_execz .LBB78_75
; %bb.72:
	v_and_b32_e32 v64, -8, v65
	s_mov_b32 s6, 0
	s_mov_b64 s[2:3], 16
	s_movk_i32 s7, 0x64
	s_delay_alu instid0(VALU_DEP_1)
	v_sub_nc_u32_e32 v66, 0, v64
.LBB78_73:                              ; =>This Inner Loop Header: Depth=1
	s_add_co_i32 m0, s2, -7
	v_movrels_b32_e32 v69, v18
	v_mov_b32_e32 v64, s7
	s_add_co_i32 m0, s2, -6
	s_add_co_i32 s7, s7, 32
	v_movrels_b32_e32 v78, v18
	ds_load_2addr_b32 v[70:71], v64 offset1:1
	ds_load_2addr_b32 v[72:73], v64 offset0:2 offset1:3
	s_add_co_i32 m0, s2, -5
	s_wait_dscnt 0x1
	v_fmac_f32_e32 v67, v69, v70
	ds_load_2addr_b32 v[74:75], v64 offset0:4 offset1:5
	ds_load_2addr_b32 v[76:77], v64 offset0:6 offset1:7
	v_movrels_b32_e32 v64, v18
	s_add_co_i32 m0, s2, -4
	v_fmac_f32_e32 v67, v78, v71
	v_movrels_b32_e32 v69, v18
	s_add_co_i32 m0, s2, -3
	s_wait_dscnt 0x2
	s_delay_alu instid0(VALU_DEP_2) | instskip(SKIP_2) | instid1(VALU_DEP_2)
	v_fmac_f32_e32 v67, v64, v72
	v_movrels_b32_e32 v64, v18
	s_add_co_i32 m0, s2, -2
	v_fmac_f32_e32 v67, v69, v73
	v_movrels_b32_e32 v69, v18
	s_add_co_i32 m0, s2, -1
	s_wait_dscnt 0x1
	s_delay_alu instid0(VALU_DEP_2)
	v_fmac_f32_e32 v67, v64, v74
	v_movrels_b32_e32 v64, v18
	s_mov_b32 m0, s2
	s_add_nc_u64 s[2:3], s[2:3], 8
	v_movrels_b32_e32 v70, v18
	v_dual_fmac_f32 v67, v69, v75 :: v_dual_add_nc_u32 v69, s2, v66
	s_add_co_i32 s8, s2, -7
	s_wait_dscnt 0x0
	s_delay_alu instid0(VALU_DEP_1) | instskip(NEXT) | instid1(VALU_DEP_2)
	v_fmac_f32_e32 v67, v64, v76
	v_cmp_eq_u32_e32 vcc_lo, 16, v69
	s_delay_alu instid0(VALU_DEP_2) | instskip(SKIP_1) | instid1(SALU_CYCLE_1)
	v_dual_mov_b32 v64, s8 :: v_dual_fmac_f32 v67, v70, v77
	s_or_b32 s6, vcc_lo, s6
	s_and_not1_b32 exec_lo, exec_lo, s6
	s_cbranch_execnz .LBB78_73
; %bb.74:
	s_or_b32 exec_lo, exec_lo, s6
.LBB78_75:
	s_delay_alu instid0(SALU_CYCLE_1) | instskip(SKIP_3) | instid1(VALU_DEP_1)
	s_or_b32 exec_lo, exec_lo, s1
	v_and_b32_e32 v33, 7, v65
	s_mov_b32 s2, 0
	s_mov_b32 s1, exec_lo
	v_cmpx_ne_u32_e32 0, v33
	s_cbranch_execz .LBB78_79
; %bb.76:
	v_lshl_add_u32 v66, v64, 2, 64
	v_mov_b32_e32 v65, 0
.LBB78_77:                              ; =>This Inner Loop Header: Depth=1
	v_cmp_eq_u32_e32 vcc_lo, 1, v64
	ds_load_b32 v70, v66
	v_dual_add_nc_u32 v33, -1, v33 :: v_dual_add_nc_u32 v66, 4, v66
	v_cndmask_b32_e32 v69, v18, v19, vcc_lo
	v_cmp_eq_u32_e32 vcc_lo, 2, v64
	s_delay_alu instid0(VALU_DEP_2) | instskip(SKIP_1) | instid1(VALU_DEP_2)
	v_cndmask_b32_e32 v69, v69, v20, vcc_lo
	v_cmp_eq_u32_e32 vcc_lo, 3, v64
	v_cndmask_b32_e32 v69, v69, v21, vcc_lo
	v_cmp_eq_u32_e32 vcc_lo, 4, v64
	s_delay_alu instid0(VALU_DEP_2) | instskip(SKIP_1) | instid1(VALU_DEP_2)
	v_cndmask_b32_e32 v69, v69, v22, vcc_lo
	v_cmp_eq_u32_e32 vcc_lo, 5, v64
	;; [unrolled: 5-line block ×6, first 2 shown]
	v_cndmask_b32_e32 v69, v69, v31, vcc_lo
	v_cmp_eq_u32_e32 vcc_lo, 14, v64
	v_add_nc_u64_e32 v[64:65], 1, v[64:65]
	s_delay_alu instid0(VALU_DEP_3) | instskip(SKIP_2) | instid1(VALU_DEP_2)
	v_cndmask_b32_e32 v69, v69, v32, vcc_lo
	v_cmp_eq_u32_e32 vcc_lo, 0, v33
	s_wait_dscnt 0x0
	v_fmac_f32_e32 v67, v69, v70
	s_or_b32 s2, vcc_lo, s2
	s_delay_alu instid0(SALU_CYCLE_1)
	s_and_not1_b32 exec_lo, exec_lo, s2
	s_cbranch_execnz .LBB78_77
; %bb.78:
	s_or_b32 exec_lo, exec_lo, s2
.LBB78_79:
	s_delay_alu instid0(SALU_CYCLE_1)
	s_or_b32 exec_lo, exec_lo, s1
.LBB78_80:
	s_delay_alu instid0(SALU_CYCLE_1)
	s_or_b32 exec_lo, exec_lo, s5
	v_mov_b32_e32 v26, 0
	ds_load_b32 v26, v26 offset:32
	s_wait_dscnt 0x0
	v_mul_f32_e32 v26, v67, v26
.LBB78_81:
	s_or_b32 exec_lo, exec_lo, s4
	v_cmp_lt_u32_e64 s1, 7, v0
	ds_store_b32 v68, v25
	s_wait_dscnt 0x0
	s_barrier_signal -1
	s_barrier_wait -1
	s_and_saveexec_b32 s4, s1
	s_cbranch_execz .LBB78_97
; %bb.82:
	s_and_not1_b32 vcc_lo, exec_lo, s15
	s_cbranch_vccnz .LBB78_84
; %bb.83:
	v_cmp_eq_u32_e32 vcc_lo, 1, v0
	ds_load_b32 v65, v68
	v_cndmask_b32_e32 v64, v18, v19, vcc_lo
	v_cmp_eq_u32_e32 vcc_lo, 2, v0
	s_delay_alu instid0(VALU_DEP_2) | instskip(SKIP_1) | instid1(VALU_DEP_2)
	v_cndmask_b32_e32 v64, v64, v20, vcc_lo
	v_cmp_eq_u32_e32 vcc_lo, 3, v0
	v_cndmask_b32_e32 v64, v64, v21, vcc_lo
	v_cmp_eq_u32_e32 vcc_lo, 4, v0
	s_delay_alu instid0(VALU_DEP_2) | instskip(SKIP_1) | instid1(VALU_DEP_2)
	v_cndmask_b32_e32 v64, v64, v22, vcc_lo
	v_cmp_eq_u32_e32 vcc_lo, 5, v0
	;; [unrolled: 5-line block ×6, first 2 shown]
	v_cndmask_b32_e32 v64, v64, v31, vcc_lo
	v_cmp_eq_u32_e32 vcc_lo, 14, v0
	s_delay_alu instid0(VALU_DEP_2) | instskip(SKIP_1) | instid1(VALU_DEP_1)
	v_cndmask_b32_e32 v64, v64, v32, vcc_lo
	s_wait_dscnt 0x0
	v_mul_f32_e32 v69, v64, v65
	s_cbranch_execz .LBB78_85
	s_branch .LBB78_86
.LBB78_84:
                                        ; implicit-def: $vgpr69
.LBB78_85:
	ds_load_b32 v69, v68
.LBB78_86:
	s_and_saveexec_b32 s5, s0
	s_cbranch_execz .LBB78_96
; %bb.87:
	v_add_nc_u32_e32 v64, -9, v0
	s_delay_alu instid0(VALU_DEP_1)
	v_cmp_lt_u32_e32 vcc_lo, 6, v64
	v_mov_b32_e32 v64, 8
	s_and_saveexec_b32 s0, vcc_lo
	s_cbranch_execz .LBB78_91
; %bb.88:
	v_bfe_u32 v64, v0, 3, 1
	v_mov_b32_e32 v65, 0
	s_mov_b64 s[2:3], 0xfffffff8
	s_movk_i32 s7, 0x60
	s_mov_b32 s6, 0
	s_delay_alu instid0(VALU_DEP_1)
	v_mul_u64_e32 v[66:67], s[2:3], v[64:65]
	s_mov_b64 s[2:3], 15
.LBB78_89:                              ; =>This Inner Loop Header: Depth=1
	s_delay_alu instid0(SALU_CYCLE_1)
	s_add_co_i32 m0, s2, -7
	v_movrels_b32_e32 v65, v18
	v_mov_b32_e32 v64, s7
	s_add_co_i32 m0, s2, -6
	s_add_co_i32 s7, s7, 32
	v_movrels_b32_e32 v67, v18
	s_add_co_i32 m0, s2, -5
	ds_load_b128 v[70:73], v64
	ds_load_b128 v[74:77], v64 offset:16
	v_movrels_b32_e32 v64, v18
	s_add_co_i32 m0, s2, -4
	s_wait_dscnt 0x1
	v_fmac_f32_e32 v69, v65, v70
	v_movrels_b32_e32 v65, v18
	s_add_co_i32 m0, s2, -3
	s_delay_alu instid0(VALU_DEP_2) | instskip(NEXT) | instid1(VALU_DEP_1)
	v_fmac_f32_e32 v69, v67, v71
	v_fmac_f32_e32 v69, v64, v72
	v_movrels_b32_e32 v64, v18
	s_add_co_i32 m0, s2, -2
	s_delay_alu instid0(VALU_DEP_2) | instskip(SKIP_3) | instid1(VALU_DEP_2)
	v_fmac_f32_e32 v69, v65, v73
	v_movrels_b32_e32 v65, v18
	s_add_co_i32 m0, s2, -1
	s_wait_dscnt 0x0
	v_fmac_f32_e32 v69, v64, v74
	v_movrels_b32_e32 v64, v18
	s_mov_b32 m0, s2
	s_add_nc_u64 s[2:3], s[2:3], 8
	v_movrels_b32_e32 v67, v18
	v_dual_fmac_f32 v69, v65, v75 :: v_dual_add_nc_u32 v65, s2, v66
	s_add_co_i32 s8, s2, -7
	s_delay_alu instid0(VALU_DEP_1) | instskip(NEXT) | instid1(VALU_DEP_2)
	v_fmac_f32_e32 v69, v64, v76
	v_cmp_eq_u32_e32 vcc_lo, 7, v65
	s_delay_alu instid0(VALU_DEP_2) | instskip(SKIP_1) | instid1(SALU_CYCLE_1)
	v_dual_mov_b32 v64, s8 :: v_dual_fmac_f32 v69, v67, v77
	s_or_b32 s6, vcc_lo, s6
	s_and_not1_b32 exec_lo, exec_lo, s6
	s_cbranch_execnz .LBB78_89
; %bb.90:
	s_or_b32 exec_lo, exec_lo, s6
.LBB78_91:
	s_delay_alu instid0(SALU_CYCLE_1) | instskip(SKIP_3) | instid1(VALU_DEP_1)
	s_or_b32 exec_lo, exec_lo, s0
	v_and_b32_e32 v33, 7, v0
	s_mov_b32 s2, 0
	s_mov_b32 s0, exec_lo
	v_cmpx_ne_u32_e32 0, v33
	s_cbranch_execz .LBB78_95
; %bb.92:
	v_lshl_add_u32 v66, v64, 2, 64
	v_mov_b32_e32 v65, 0
.LBB78_93:                              ; =>This Inner Loop Header: Depth=1
	v_cmp_eq_u32_e32 vcc_lo, 1, v64
	ds_load_b32 v70, v66
	v_dual_add_nc_u32 v33, -1, v33 :: v_dual_add_nc_u32 v66, 4, v66
	v_cndmask_b32_e32 v67, v18, v19, vcc_lo
	v_cmp_eq_u32_e32 vcc_lo, 2, v64
	s_delay_alu instid0(VALU_DEP_2) | instskip(SKIP_1) | instid1(VALU_DEP_2)
	v_cndmask_b32_e32 v67, v67, v20, vcc_lo
	v_cmp_eq_u32_e32 vcc_lo, 3, v64
	v_cndmask_b32_e32 v67, v67, v21, vcc_lo
	v_cmp_eq_u32_e32 vcc_lo, 4, v64
	s_delay_alu instid0(VALU_DEP_2) | instskip(SKIP_1) | instid1(VALU_DEP_2)
	v_cndmask_b32_e32 v67, v67, v22, vcc_lo
	v_cmp_eq_u32_e32 vcc_lo, 5, v64
	;; [unrolled: 5-line block ×6, first 2 shown]
	v_cndmask_b32_e32 v67, v67, v31, vcc_lo
	v_cmp_eq_u32_e32 vcc_lo, 14, v64
	v_add_nc_u64_e32 v[64:65], 1, v[64:65]
	s_delay_alu instid0(VALU_DEP_3) | instskip(SKIP_2) | instid1(VALU_DEP_2)
	v_cndmask_b32_e32 v67, v67, v32, vcc_lo
	v_cmp_eq_u32_e32 vcc_lo, 0, v33
	s_wait_dscnt 0x0
	v_fmac_f32_e32 v69, v67, v70
	s_or_b32 s2, vcc_lo, s2
	s_delay_alu instid0(SALU_CYCLE_1)
	s_and_not1_b32 exec_lo, exec_lo, s2
	s_cbranch_execnz .LBB78_93
; %bb.94:
	s_or_b32 exec_lo, exec_lo, s2
.LBB78_95:
	s_delay_alu instid0(SALU_CYCLE_1)
	s_or_b32 exec_lo, exec_lo, s0
.LBB78_96:
	s_delay_alu instid0(SALU_CYCLE_1)
	s_or_b32 exec_lo, exec_lo, s5
	v_mov_b32_e32 v25, 0
	ds_load_b32 v25, v25 offset:28
	s_wait_dscnt 0x0
	v_mul_f32_e32 v25, v69, v25
.LBB78_97:
	s_or_b32 exec_lo, exec_lo, s4
	v_cmp_lt_u32_e64 s0, 6, v0
	ds_store_b32 v68, v24
	s_wait_dscnt 0x0
	s_barrier_signal -1
	s_barrier_wait -1
	s_and_saveexec_b32 s4, s0
	s_cbranch_execz .LBB78_113
; %bb.98:
	s_and_not1_b32 vcc_lo, exec_lo, s15
	s_cbranch_vccnz .LBB78_100
; %bb.99:
	v_cmp_eq_u32_e32 vcc_lo, 1, v0
	ds_load_b32 v65, v68
	v_cndmask_b32_e32 v64, v18, v19, vcc_lo
	v_cmp_eq_u32_e32 vcc_lo, 2, v0
	s_delay_alu instid0(VALU_DEP_2) | instskip(SKIP_1) | instid1(VALU_DEP_2)
	v_cndmask_b32_e32 v64, v64, v20, vcc_lo
	v_cmp_eq_u32_e32 vcc_lo, 3, v0
	v_cndmask_b32_e32 v64, v64, v21, vcc_lo
	v_cmp_eq_u32_e32 vcc_lo, 4, v0
	s_delay_alu instid0(VALU_DEP_2) | instskip(SKIP_1) | instid1(VALU_DEP_2)
	v_cndmask_b32_e32 v64, v64, v22, vcc_lo
	v_cmp_eq_u32_e32 vcc_lo, 5, v0
	;; [unrolled: 5-line block ×6, first 2 shown]
	v_cndmask_b32_e32 v64, v64, v31, vcc_lo
	v_cmp_eq_u32_e32 vcc_lo, 14, v0
	s_delay_alu instid0(VALU_DEP_2) | instskip(SKIP_1) | instid1(VALU_DEP_1)
	v_cndmask_b32_e32 v64, v64, v32, vcc_lo
	s_wait_dscnt 0x0
	v_mul_f32_e32 v67, v64, v65
	s_cbranch_execz .LBB78_101
	s_branch .LBB78_102
.LBB78_100:
                                        ; implicit-def: $vgpr67
.LBB78_101:
	ds_load_b32 v67, v68
.LBB78_102:
	s_and_saveexec_b32 s5, s1
	s_cbranch_execz .LBB78_112
; %bb.103:
	v_dual_add_nc_u32 v64, -8, v0 :: v_dual_add_nc_u32 v65, -7, v0
	s_delay_alu instid0(VALU_DEP_1)
	v_cmp_lt_u32_e32 vcc_lo, 6, v64
	v_mov_b32_e32 v64, 7
	s_and_saveexec_b32 s1, vcc_lo
	s_cbranch_execz .LBB78_107
; %bb.104:
	v_and_b32_e32 v64, -8, v65
	s_mov_b32 s6, 0
	s_mov_b64 s[2:3], 14
	s_movk_i32 s7, 0x5c
	s_delay_alu instid0(VALU_DEP_1)
	v_sub_nc_u32_e32 v66, 0, v64
.LBB78_105:                             ; =>This Inner Loop Header: Depth=1
	s_add_co_i32 m0, s2, -7
	v_movrels_b32_e32 v69, v18
	v_mov_b32_e32 v64, s7
	s_add_co_i32 m0, s2, -6
	s_add_co_i32 s7, s7, 32
	v_movrels_b32_e32 v78, v18
	ds_load_2addr_b32 v[70:71], v64 offset1:1
	ds_load_2addr_b32 v[72:73], v64 offset0:2 offset1:3
	s_add_co_i32 m0, s2, -5
	s_wait_dscnt 0x1
	v_fmac_f32_e32 v67, v69, v70
	ds_load_2addr_b32 v[74:75], v64 offset0:4 offset1:5
	ds_load_2addr_b32 v[76:77], v64 offset0:6 offset1:7
	v_movrels_b32_e32 v64, v18
	s_add_co_i32 m0, s2, -4
	v_fmac_f32_e32 v67, v78, v71
	v_movrels_b32_e32 v69, v18
	s_add_co_i32 m0, s2, -3
	s_wait_dscnt 0x2
	s_delay_alu instid0(VALU_DEP_2) | instskip(SKIP_2) | instid1(VALU_DEP_2)
	v_fmac_f32_e32 v67, v64, v72
	v_movrels_b32_e32 v64, v18
	s_add_co_i32 m0, s2, -2
	v_fmac_f32_e32 v67, v69, v73
	v_movrels_b32_e32 v69, v18
	s_add_co_i32 m0, s2, -1
	s_wait_dscnt 0x1
	s_delay_alu instid0(VALU_DEP_2)
	v_fmac_f32_e32 v67, v64, v74
	v_movrels_b32_e32 v64, v18
	s_mov_b32 m0, s2
	s_add_nc_u64 s[2:3], s[2:3], 8
	v_movrels_b32_e32 v70, v18
	v_dual_fmac_f32 v67, v69, v75 :: v_dual_add_nc_u32 v69, s2, v66
	s_add_co_i32 s8, s2, -7
	s_wait_dscnt 0x0
	s_delay_alu instid0(VALU_DEP_1) | instskip(NEXT) | instid1(VALU_DEP_2)
	v_fmac_f32_e32 v67, v64, v76
	v_cmp_eq_u32_e32 vcc_lo, 14, v69
	s_delay_alu instid0(VALU_DEP_2) | instskip(SKIP_1) | instid1(SALU_CYCLE_1)
	v_dual_mov_b32 v64, s8 :: v_dual_fmac_f32 v67, v70, v77
	s_or_b32 s6, vcc_lo, s6
	s_and_not1_b32 exec_lo, exec_lo, s6
	s_cbranch_execnz .LBB78_105
; %bb.106:
	s_or_b32 exec_lo, exec_lo, s6
.LBB78_107:
	s_delay_alu instid0(SALU_CYCLE_1) | instskip(SKIP_3) | instid1(VALU_DEP_1)
	s_or_b32 exec_lo, exec_lo, s1
	v_and_b32_e32 v33, 7, v65
	s_mov_b32 s2, 0
	s_mov_b32 s1, exec_lo
	v_cmpx_ne_u32_e32 0, v33
	s_cbranch_execz .LBB78_111
; %bb.108:
	v_lshl_add_u32 v66, v64, 2, 64
	v_mov_b32_e32 v65, 0
.LBB78_109:                             ; =>This Inner Loop Header: Depth=1
	v_cmp_eq_u32_e32 vcc_lo, 1, v64
	ds_load_b32 v70, v66
	v_dual_add_nc_u32 v33, -1, v33 :: v_dual_add_nc_u32 v66, 4, v66
	v_cndmask_b32_e32 v69, v18, v19, vcc_lo
	v_cmp_eq_u32_e32 vcc_lo, 2, v64
	s_delay_alu instid0(VALU_DEP_2) | instskip(SKIP_1) | instid1(VALU_DEP_2)
	v_cndmask_b32_e32 v69, v69, v20, vcc_lo
	v_cmp_eq_u32_e32 vcc_lo, 3, v64
	v_cndmask_b32_e32 v69, v69, v21, vcc_lo
	v_cmp_eq_u32_e32 vcc_lo, 4, v64
	s_delay_alu instid0(VALU_DEP_2) | instskip(SKIP_1) | instid1(VALU_DEP_2)
	v_cndmask_b32_e32 v69, v69, v22, vcc_lo
	v_cmp_eq_u32_e32 vcc_lo, 5, v64
	;; [unrolled: 5-line block ×6, first 2 shown]
	v_cndmask_b32_e32 v69, v69, v31, vcc_lo
	v_cmp_eq_u32_e32 vcc_lo, 14, v64
	v_add_nc_u64_e32 v[64:65], 1, v[64:65]
	s_delay_alu instid0(VALU_DEP_3) | instskip(SKIP_2) | instid1(VALU_DEP_2)
	v_cndmask_b32_e32 v69, v69, v32, vcc_lo
	v_cmp_eq_u32_e32 vcc_lo, 0, v33
	s_wait_dscnt 0x0
	v_fmac_f32_e32 v67, v69, v70
	s_or_b32 s2, vcc_lo, s2
	s_delay_alu instid0(SALU_CYCLE_1)
	s_and_not1_b32 exec_lo, exec_lo, s2
	s_cbranch_execnz .LBB78_109
; %bb.110:
	s_or_b32 exec_lo, exec_lo, s2
.LBB78_111:
	s_delay_alu instid0(SALU_CYCLE_1)
	s_or_b32 exec_lo, exec_lo, s1
.LBB78_112:
	s_delay_alu instid0(SALU_CYCLE_1)
	s_or_b32 exec_lo, exec_lo, s5
	v_mov_b32_e32 v24, 0
	ds_load_b32 v24, v24 offset:24
	s_wait_dscnt 0x0
	v_mul_f32_e32 v24, v67, v24
.LBB78_113:
	s_or_b32 exec_lo, exec_lo, s4
	v_cmp_lt_u32_e64 s1, 5, v0
	ds_store_b32 v68, v23
	s_wait_dscnt 0x0
	s_barrier_signal -1
	s_barrier_wait -1
	s_and_saveexec_b32 s4, s1
	s_cbranch_execz .LBB78_129
; %bb.114:
	s_and_not1_b32 vcc_lo, exec_lo, s15
	s_cbranch_vccnz .LBB78_116
; %bb.115:
	v_cmp_eq_u32_e32 vcc_lo, 1, v0
	ds_load_b32 v65, v68
	v_cndmask_b32_e32 v64, v18, v19, vcc_lo
	v_cmp_eq_u32_e32 vcc_lo, 2, v0
	s_delay_alu instid0(VALU_DEP_2) | instskip(SKIP_1) | instid1(VALU_DEP_2)
	v_cndmask_b32_e32 v64, v64, v20, vcc_lo
	v_cmp_eq_u32_e32 vcc_lo, 3, v0
	v_cndmask_b32_e32 v64, v64, v21, vcc_lo
	v_cmp_eq_u32_e32 vcc_lo, 4, v0
	s_delay_alu instid0(VALU_DEP_2) | instskip(SKIP_1) | instid1(VALU_DEP_2)
	v_cndmask_b32_e32 v64, v64, v22, vcc_lo
	v_cmp_eq_u32_e32 vcc_lo, 5, v0
	;; [unrolled: 5-line block ×6, first 2 shown]
	v_cndmask_b32_e32 v64, v64, v31, vcc_lo
	v_cmp_eq_u32_e32 vcc_lo, 14, v0
	s_delay_alu instid0(VALU_DEP_2) | instskip(SKIP_1) | instid1(VALU_DEP_1)
	v_cndmask_b32_e32 v64, v64, v32, vcc_lo
	s_wait_dscnt 0x0
	v_mul_f32_e32 v67, v64, v65
	s_cbranch_execz .LBB78_117
	s_branch .LBB78_118
.LBB78_116:
                                        ; implicit-def: $vgpr67
.LBB78_117:
	ds_load_b32 v67, v68
.LBB78_118:
	s_and_saveexec_b32 s5, s0
	s_cbranch_execz .LBB78_128
; %bb.119:
	v_dual_add_nc_u32 v66, -7, v0 :: v_dual_add_nc_u32 v65, -6, v0
	v_mov_b32_e32 v64, 6
	s_mov_b32 s0, exec_lo
	s_delay_alu instid0(VALU_DEP_2)
	v_cmpx_lt_u32_e32 6, v66
	s_cbranch_execz .LBB78_123
; %bb.120:
	v_and_b32_e32 v64, -8, v65
	s_mov_b32 s6, 0
	s_mov_b64 s[2:3], 13
	s_movk_i32 s7, 0x58
	s_delay_alu instid0(VALU_DEP_1)
	v_sub_nc_u32_e32 v66, 0, v64
.LBB78_121:                             ; =>This Inner Loop Header: Depth=1
	s_add_co_i32 m0, s2, -7
	v_movrels_b32_e32 v69, v18
	v_mov_b32_e32 v64, s7
	s_add_co_i32 m0, s2, -6
	s_add_co_i32 s7, s7, 32
	v_movrels_b32_e32 v78, v18
	s_add_co_i32 m0, s2, -5
	ds_load_2addr_b64 v[70:73], v64 offset1:1
	ds_load_2addr_b64 v[74:77], v64 offset0:2 offset1:3
	v_movrels_b32_e32 v64, v18
	s_add_co_i32 m0, s2, -4
	s_wait_dscnt 0x1
	v_fmac_f32_e32 v67, v69, v70
	v_movrels_b32_e32 v69, v18
	s_add_co_i32 m0, s2, -3
	s_delay_alu instid0(VALU_DEP_2) | instskip(NEXT) | instid1(VALU_DEP_1)
	v_fmac_f32_e32 v67, v78, v71
	v_fmac_f32_e32 v67, v64, v72
	v_movrels_b32_e32 v64, v18
	s_add_co_i32 m0, s2, -2
	s_delay_alu instid0(VALU_DEP_2) | instskip(SKIP_3) | instid1(VALU_DEP_2)
	v_fmac_f32_e32 v67, v69, v73
	v_movrels_b32_e32 v69, v18
	s_add_co_i32 m0, s2, -1
	s_wait_dscnt 0x0
	v_fmac_f32_e32 v67, v64, v74
	v_movrels_b32_e32 v64, v18
	s_mov_b32 m0, s2
	s_add_nc_u64 s[2:3], s[2:3], 8
	v_movrels_b32_e32 v70, v18
	v_dual_fmac_f32 v67, v69, v75 :: v_dual_add_nc_u32 v69, s2, v66
	s_add_co_i32 s8, s2, -7
	s_delay_alu instid0(VALU_DEP_1) | instskip(NEXT) | instid1(VALU_DEP_2)
	v_fmac_f32_e32 v67, v64, v76
	v_cmp_eq_u32_e32 vcc_lo, 13, v69
	s_delay_alu instid0(VALU_DEP_2) | instskip(SKIP_1) | instid1(SALU_CYCLE_1)
	v_dual_mov_b32 v64, s8 :: v_dual_fmac_f32 v67, v70, v77
	s_or_b32 s6, vcc_lo, s6
	s_and_not1_b32 exec_lo, exec_lo, s6
	s_cbranch_execnz .LBB78_121
; %bb.122:
	s_or_b32 exec_lo, exec_lo, s6
.LBB78_123:
	s_delay_alu instid0(SALU_CYCLE_1) | instskip(SKIP_3) | instid1(VALU_DEP_1)
	s_or_b32 exec_lo, exec_lo, s0
	v_and_b32_e32 v33, 7, v65
	s_mov_b32 s2, 0
	s_mov_b32 s0, exec_lo
	v_cmpx_ne_u32_e32 0, v33
	s_cbranch_execz .LBB78_127
; %bb.124:
	v_lshl_add_u32 v66, v64, 2, 64
	v_mov_b32_e32 v65, 0
.LBB78_125:                             ; =>This Inner Loop Header: Depth=1
	v_cmp_eq_u32_e32 vcc_lo, 1, v64
	ds_load_b32 v70, v66
	v_dual_add_nc_u32 v33, -1, v33 :: v_dual_add_nc_u32 v66, 4, v66
	v_cndmask_b32_e32 v69, v18, v19, vcc_lo
	v_cmp_eq_u32_e32 vcc_lo, 2, v64
	s_delay_alu instid0(VALU_DEP_2) | instskip(SKIP_1) | instid1(VALU_DEP_2)
	v_cndmask_b32_e32 v69, v69, v20, vcc_lo
	v_cmp_eq_u32_e32 vcc_lo, 3, v64
	v_cndmask_b32_e32 v69, v69, v21, vcc_lo
	v_cmp_eq_u32_e32 vcc_lo, 4, v64
	s_delay_alu instid0(VALU_DEP_2) | instskip(SKIP_1) | instid1(VALU_DEP_2)
	v_cndmask_b32_e32 v69, v69, v22, vcc_lo
	v_cmp_eq_u32_e32 vcc_lo, 5, v64
	;; [unrolled: 5-line block ×6, first 2 shown]
	v_cndmask_b32_e32 v69, v69, v31, vcc_lo
	v_cmp_eq_u32_e32 vcc_lo, 14, v64
	v_add_nc_u64_e32 v[64:65], 1, v[64:65]
	s_delay_alu instid0(VALU_DEP_3) | instskip(SKIP_2) | instid1(VALU_DEP_2)
	v_cndmask_b32_e32 v69, v69, v32, vcc_lo
	v_cmp_eq_u32_e32 vcc_lo, 0, v33
	s_wait_dscnt 0x0
	v_fmac_f32_e32 v67, v69, v70
	s_or_b32 s2, vcc_lo, s2
	s_delay_alu instid0(SALU_CYCLE_1)
	s_and_not1_b32 exec_lo, exec_lo, s2
	s_cbranch_execnz .LBB78_125
; %bb.126:
	s_or_b32 exec_lo, exec_lo, s2
.LBB78_127:
	s_delay_alu instid0(SALU_CYCLE_1)
	s_or_b32 exec_lo, exec_lo, s0
.LBB78_128:
	s_delay_alu instid0(SALU_CYCLE_1)
	s_or_b32 exec_lo, exec_lo, s5
	v_mov_b32_e32 v23, 0
	ds_load_b32 v23, v23 offset:20
	s_wait_dscnt 0x0
	v_mul_f32_e32 v23, v67, v23
.LBB78_129:
	s_or_b32 exec_lo, exec_lo, s4
	v_cmp_lt_u32_e64 s0, 4, v0
	ds_store_b32 v68, v22
	s_wait_dscnt 0x0
	s_barrier_signal -1
	s_barrier_wait -1
	s_and_saveexec_b32 s4, s0
	s_cbranch_execz .LBB78_145
; %bb.130:
	s_and_not1_b32 vcc_lo, exec_lo, s15
	s_cbranch_vccnz .LBB78_132
; %bb.131:
	v_cmp_eq_u32_e32 vcc_lo, 1, v0
	ds_load_b32 v65, v68
	v_cndmask_b32_e32 v64, v18, v19, vcc_lo
	v_cmp_eq_u32_e32 vcc_lo, 2, v0
	s_delay_alu instid0(VALU_DEP_2) | instskip(SKIP_1) | instid1(VALU_DEP_2)
	v_cndmask_b32_e32 v64, v64, v20, vcc_lo
	v_cmp_eq_u32_e32 vcc_lo, 3, v0
	v_cndmask_b32_e32 v64, v64, v21, vcc_lo
	v_cmp_eq_u32_e32 vcc_lo, 4, v0
	s_delay_alu instid0(VALU_DEP_2) | instskip(SKIP_1) | instid1(VALU_DEP_2)
	v_cndmask_b32_e32 v64, v64, v22, vcc_lo
	v_cmp_eq_u32_e32 vcc_lo, 5, v0
	;; [unrolled: 5-line block ×6, first 2 shown]
	v_cndmask_b32_e32 v64, v64, v31, vcc_lo
	v_cmp_eq_u32_e32 vcc_lo, 14, v0
	s_delay_alu instid0(VALU_DEP_2) | instskip(SKIP_1) | instid1(VALU_DEP_1)
	v_cndmask_b32_e32 v64, v64, v32, vcc_lo
	s_wait_dscnt 0x0
	v_mul_f32_e32 v67, v64, v65
	s_cbranch_execz .LBB78_133
	s_branch .LBB78_134
.LBB78_132:
                                        ; implicit-def: $vgpr67
.LBB78_133:
	ds_load_b32 v67, v68
.LBB78_134:
	s_and_saveexec_b32 s5, s1
	s_cbranch_execz .LBB78_144
; %bb.135:
	v_dual_add_nc_u32 v64, -6, v0 :: v_dual_add_nc_u32 v65, -5, v0
	s_delay_alu instid0(VALU_DEP_1)
	v_cmp_lt_u32_e32 vcc_lo, 6, v64
	v_mov_b32_e32 v64, 5
	s_and_saveexec_b32 s1, vcc_lo
	s_cbranch_execz .LBB78_139
; %bb.136:
	v_and_b32_e32 v64, -8, v65
	s_mov_b32 s6, 0
	s_mov_b64 s[2:3], 12
	s_movk_i32 s7, 0x54
	s_delay_alu instid0(VALU_DEP_1)
	v_sub_nc_u32_e32 v66, 0, v64
.LBB78_137:                             ; =>This Inner Loop Header: Depth=1
	s_add_co_i32 m0, s2, -7
	v_movrels_b32_e32 v69, v18
	v_mov_b32_e32 v64, s7
	s_add_co_i32 m0, s2, -6
	s_add_co_i32 s7, s7, 32
	v_movrels_b32_e32 v78, v18
	ds_load_2addr_b32 v[70:71], v64 offset1:1
	ds_load_2addr_b32 v[72:73], v64 offset0:2 offset1:3
	s_add_co_i32 m0, s2, -5
	s_wait_dscnt 0x1
	v_fmac_f32_e32 v67, v69, v70
	ds_load_2addr_b32 v[74:75], v64 offset0:4 offset1:5
	ds_load_2addr_b32 v[76:77], v64 offset0:6 offset1:7
	v_movrels_b32_e32 v64, v18
	s_add_co_i32 m0, s2, -4
	v_fmac_f32_e32 v67, v78, v71
	v_movrels_b32_e32 v69, v18
	s_add_co_i32 m0, s2, -3
	s_wait_dscnt 0x2
	s_delay_alu instid0(VALU_DEP_2) | instskip(SKIP_2) | instid1(VALU_DEP_2)
	v_fmac_f32_e32 v67, v64, v72
	v_movrels_b32_e32 v64, v18
	s_add_co_i32 m0, s2, -2
	v_fmac_f32_e32 v67, v69, v73
	v_movrels_b32_e32 v69, v18
	s_add_co_i32 m0, s2, -1
	s_wait_dscnt 0x1
	s_delay_alu instid0(VALU_DEP_2)
	v_fmac_f32_e32 v67, v64, v74
	v_movrels_b32_e32 v64, v18
	s_mov_b32 m0, s2
	s_add_nc_u64 s[2:3], s[2:3], 8
	v_movrels_b32_e32 v70, v18
	v_dual_fmac_f32 v67, v69, v75 :: v_dual_add_nc_u32 v69, s2, v66
	s_add_co_i32 s8, s2, -7
	s_wait_dscnt 0x0
	s_delay_alu instid0(VALU_DEP_1) | instskip(NEXT) | instid1(VALU_DEP_2)
	v_fmac_f32_e32 v67, v64, v76
	v_cmp_eq_u32_e32 vcc_lo, 12, v69
	s_delay_alu instid0(VALU_DEP_2) | instskip(SKIP_1) | instid1(SALU_CYCLE_1)
	v_dual_mov_b32 v64, s8 :: v_dual_fmac_f32 v67, v70, v77
	s_or_b32 s6, vcc_lo, s6
	s_and_not1_b32 exec_lo, exec_lo, s6
	s_cbranch_execnz .LBB78_137
; %bb.138:
	s_or_b32 exec_lo, exec_lo, s6
.LBB78_139:
	s_delay_alu instid0(SALU_CYCLE_1) | instskip(SKIP_3) | instid1(VALU_DEP_1)
	s_or_b32 exec_lo, exec_lo, s1
	v_and_b32_e32 v33, 7, v65
	s_mov_b32 s2, 0
	s_mov_b32 s1, exec_lo
	v_cmpx_ne_u32_e32 0, v33
	s_cbranch_execz .LBB78_143
; %bb.140:
	v_lshl_add_u32 v66, v64, 2, 64
	v_mov_b32_e32 v65, 0
.LBB78_141:                             ; =>This Inner Loop Header: Depth=1
	v_cmp_eq_u32_e32 vcc_lo, 1, v64
	ds_load_b32 v70, v66
	v_dual_add_nc_u32 v33, -1, v33 :: v_dual_add_nc_u32 v66, 4, v66
	v_cndmask_b32_e32 v69, v18, v19, vcc_lo
	v_cmp_eq_u32_e32 vcc_lo, 2, v64
	s_delay_alu instid0(VALU_DEP_2) | instskip(SKIP_1) | instid1(VALU_DEP_2)
	v_cndmask_b32_e32 v69, v69, v20, vcc_lo
	v_cmp_eq_u32_e32 vcc_lo, 3, v64
	v_cndmask_b32_e32 v69, v69, v21, vcc_lo
	v_cmp_eq_u32_e32 vcc_lo, 4, v64
	s_delay_alu instid0(VALU_DEP_2) | instskip(SKIP_1) | instid1(VALU_DEP_2)
	v_cndmask_b32_e32 v69, v69, v22, vcc_lo
	v_cmp_eq_u32_e32 vcc_lo, 5, v64
	;; [unrolled: 5-line block ×6, first 2 shown]
	v_cndmask_b32_e32 v69, v69, v31, vcc_lo
	v_cmp_eq_u32_e32 vcc_lo, 14, v64
	v_add_nc_u64_e32 v[64:65], 1, v[64:65]
	s_delay_alu instid0(VALU_DEP_3) | instskip(SKIP_2) | instid1(VALU_DEP_2)
	v_cndmask_b32_e32 v69, v69, v32, vcc_lo
	v_cmp_eq_u32_e32 vcc_lo, 0, v33
	s_wait_dscnt 0x0
	v_fmac_f32_e32 v67, v69, v70
	s_or_b32 s2, vcc_lo, s2
	s_delay_alu instid0(SALU_CYCLE_1)
	s_and_not1_b32 exec_lo, exec_lo, s2
	s_cbranch_execnz .LBB78_141
; %bb.142:
	s_or_b32 exec_lo, exec_lo, s2
.LBB78_143:
	s_delay_alu instid0(SALU_CYCLE_1)
	s_or_b32 exec_lo, exec_lo, s1
.LBB78_144:
	s_delay_alu instid0(SALU_CYCLE_1)
	s_or_b32 exec_lo, exec_lo, s5
	v_mov_b32_e32 v22, 0
	ds_load_b32 v22, v22 offset:16
	s_wait_dscnt 0x0
	v_mul_f32_e32 v22, v67, v22
.LBB78_145:
	s_or_b32 exec_lo, exec_lo, s4
	v_cmp_lt_u32_e64 s1, 3, v0
	ds_store_b32 v68, v21
	s_wait_dscnt 0x0
	s_barrier_signal -1
	s_barrier_wait -1
	s_and_saveexec_b32 s4, s1
	s_cbranch_execz .LBB78_161
; %bb.146:
	s_and_not1_b32 vcc_lo, exec_lo, s15
	s_cbranch_vccnz .LBB78_148
; %bb.147:
	v_cmp_eq_u32_e32 vcc_lo, 1, v0
	ds_load_b32 v65, v68
	v_cndmask_b32_e32 v64, v18, v19, vcc_lo
	v_cmp_eq_u32_e32 vcc_lo, 2, v0
	s_delay_alu instid0(VALU_DEP_2) | instskip(SKIP_1) | instid1(VALU_DEP_2)
	v_cndmask_b32_e32 v64, v64, v20, vcc_lo
	v_cmp_eq_u32_e32 vcc_lo, 3, v0
	v_cndmask_b32_e32 v64, v64, v21, vcc_lo
	v_cmp_eq_u32_e32 vcc_lo, 4, v0
	s_delay_alu instid0(VALU_DEP_2) | instskip(SKIP_1) | instid1(VALU_DEP_2)
	v_cndmask_b32_e32 v64, v64, v22, vcc_lo
	v_cmp_eq_u32_e32 vcc_lo, 5, v0
	;; [unrolled: 5-line block ×6, first 2 shown]
	v_cndmask_b32_e32 v64, v64, v31, vcc_lo
	v_cmp_eq_u32_e32 vcc_lo, 14, v0
	s_delay_alu instid0(VALU_DEP_2) | instskip(SKIP_1) | instid1(VALU_DEP_1)
	v_cndmask_b32_e32 v64, v64, v32, vcc_lo
	s_wait_dscnt 0x0
	v_mul_f32_e32 v67, v64, v65
	s_cbranch_execz .LBB78_149
	s_branch .LBB78_150
.LBB78_148:
                                        ; implicit-def: $vgpr67
.LBB78_149:
	ds_load_b32 v67, v68
.LBB78_150:
	s_and_saveexec_b32 s5, s0
	s_cbranch_execz .LBB78_160
; %bb.151:
	v_dual_add_nc_u32 v64, -5, v0 :: v_dual_add_nc_u32 v65, -4, v0
	s_delay_alu instid0(VALU_DEP_1)
	v_cmp_lt_u32_e32 vcc_lo, 6, v64
	v_mov_b32_e32 v64, 4
	s_and_saveexec_b32 s0, vcc_lo
	s_cbranch_execz .LBB78_155
; %bb.152:
	v_and_b32_e32 v64, -8, v65
	s_mov_b32 s6, 0
	s_mov_b64 s[2:3], 5
	s_movk_i32 s7, 0x50
	s_delay_alu instid0(VALU_DEP_1)
	v_sub_nc_u32_e32 v66, 0, v64
.LBB78_153:                             ; =>This Inner Loop Header: Depth=1
	s_add_co_i32 m0, s2, -1
	v_movrels_b32_e32 v69, v18
	v_mov_b32_e32 v64, s7
	s_mov_b32 m0, s2
	s_add_co_i32 s7, s7, 32
	v_movrels_b32_e32 v78, v18
	s_add_co_i32 m0, s2, 1
	ds_load_b128 v[70:73], v64
	ds_load_b128 v[74:77], v64 offset:16
	v_movrels_b32_e32 v64, v18
	s_add_co_i32 m0, s2, 2
	s_wait_dscnt 0x1
	v_fmac_f32_e32 v67, v69, v70
	v_movrels_b32_e32 v69, v18
	s_add_co_i32 m0, s2, 3
	s_delay_alu instid0(VALU_DEP_2) | instskip(NEXT) | instid1(VALU_DEP_1)
	v_fmac_f32_e32 v67, v78, v71
	v_fmac_f32_e32 v67, v64, v72
	v_movrels_b32_e32 v64, v18
	s_add_co_i32 m0, s2, 4
	s_delay_alu instid0(VALU_DEP_2) | instskip(SKIP_3) | instid1(VALU_DEP_2)
	v_fmac_f32_e32 v67, v69, v73
	v_movrels_b32_e32 v69, v18
	s_add_co_i32 m0, s2, 5
	s_wait_dscnt 0x0
	v_fmac_f32_e32 v67, v64, v74
	v_movrels_b32_e32 v64, v18
	s_add_co_i32 m0, s2, 6
	s_add_nc_u64 s[2:3], s[2:3], 8
	v_movrels_b32_e32 v70, v18
	v_dual_fmac_f32 v67, v69, v75 :: v_dual_add_nc_u32 v69, s2, v66
	s_add_co_i32 s8, s2, -1
	s_delay_alu instid0(VALU_DEP_1) | instskip(NEXT) | instid1(VALU_DEP_2)
	v_fmac_f32_e32 v67, v64, v76
	v_cmp_eq_u32_e32 vcc_lo, 5, v69
	s_delay_alu instid0(VALU_DEP_2) | instskip(SKIP_1) | instid1(SALU_CYCLE_1)
	v_dual_mov_b32 v64, s8 :: v_dual_fmac_f32 v67, v70, v77
	s_or_b32 s6, vcc_lo, s6
	s_and_not1_b32 exec_lo, exec_lo, s6
	s_cbranch_execnz .LBB78_153
; %bb.154:
	s_or_b32 exec_lo, exec_lo, s6
.LBB78_155:
	s_delay_alu instid0(SALU_CYCLE_1) | instskip(SKIP_3) | instid1(VALU_DEP_1)
	s_or_b32 exec_lo, exec_lo, s0
	v_and_b32_e32 v33, 7, v65
	s_mov_b32 s2, 0
	s_mov_b32 s0, exec_lo
	v_cmpx_ne_u32_e32 0, v33
	s_cbranch_execz .LBB78_159
; %bb.156:
	v_lshl_add_u32 v66, v64, 2, 64
	v_mov_b32_e32 v65, 0
.LBB78_157:                             ; =>This Inner Loop Header: Depth=1
	v_cmp_eq_u32_e32 vcc_lo, 1, v64
	ds_load_b32 v70, v66
	v_dual_add_nc_u32 v33, -1, v33 :: v_dual_add_nc_u32 v66, 4, v66
	v_cndmask_b32_e32 v69, v18, v19, vcc_lo
	v_cmp_eq_u32_e32 vcc_lo, 2, v64
	s_delay_alu instid0(VALU_DEP_2) | instskip(SKIP_1) | instid1(VALU_DEP_2)
	v_cndmask_b32_e32 v69, v69, v20, vcc_lo
	v_cmp_eq_u32_e32 vcc_lo, 3, v64
	v_cndmask_b32_e32 v69, v69, v21, vcc_lo
	v_cmp_eq_u32_e32 vcc_lo, 4, v64
	s_delay_alu instid0(VALU_DEP_2) | instskip(SKIP_1) | instid1(VALU_DEP_2)
	v_cndmask_b32_e32 v69, v69, v22, vcc_lo
	v_cmp_eq_u32_e32 vcc_lo, 5, v64
	;; [unrolled: 5-line block ×6, first 2 shown]
	v_cndmask_b32_e32 v69, v69, v31, vcc_lo
	v_cmp_eq_u32_e32 vcc_lo, 14, v64
	v_add_nc_u64_e32 v[64:65], 1, v[64:65]
	s_delay_alu instid0(VALU_DEP_3) | instskip(SKIP_2) | instid1(VALU_DEP_2)
	v_cndmask_b32_e32 v69, v69, v32, vcc_lo
	v_cmp_eq_u32_e32 vcc_lo, 0, v33
	s_wait_dscnt 0x0
	v_fmac_f32_e32 v67, v69, v70
	s_or_b32 s2, vcc_lo, s2
	s_delay_alu instid0(SALU_CYCLE_1)
	s_and_not1_b32 exec_lo, exec_lo, s2
	s_cbranch_execnz .LBB78_157
; %bb.158:
	s_or_b32 exec_lo, exec_lo, s2
.LBB78_159:
	s_delay_alu instid0(SALU_CYCLE_1)
	s_or_b32 exec_lo, exec_lo, s0
.LBB78_160:
	s_delay_alu instid0(SALU_CYCLE_1)
	s_or_b32 exec_lo, exec_lo, s5
	v_mov_b32_e32 v21, 0
	ds_load_b32 v21, v21 offset:12
	s_wait_dscnt 0x0
	v_mul_f32_e32 v21, v67, v21
.LBB78_161:
	s_or_b32 exec_lo, exec_lo, s4
	v_cmp_lt_u32_e64 s0, 2, v0
	ds_store_b32 v68, v20
	s_wait_dscnt 0x0
	s_barrier_signal -1
	s_barrier_wait -1
	s_and_saveexec_b32 s4, s0
	s_cbranch_execz .LBB78_177
; %bb.162:
	s_and_not1_b32 vcc_lo, exec_lo, s15
	s_cbranch_vccnz .LBB78_164
; %bb.163:
	v_cmp_eq_u32_e32 vcc_lo, 1, v0
	ds_load_b32 v65, v68
	v_cndmask_b32_e32 v64, v18, v19, vcc_lo
	v_cmp_eq_u32_e32 vcc_lo, 2, v0
	s_delay_alu instid0(VALU_DEP_2) | instskip(SKIP_1) | instid1(VALU_DEP_2)
	v_cndmask_b32_e32 v64, v64, v20, vcc_lo
	v_cmp_eq_u32_e32 vcc_lo, 3, v0
	v_cndmask_b32_e32 v64, v64, v21, vcc_lo
	v_cmp_eq_u32_e32 vcc_lo, 4, v0
	s_delay_alu instid0(VALU_DEP_2) | instskip(SKIP_1) | instid1(VALU_DEP_2)
	v_cndmask_b32_e32 v64, v64, v22, vcc_lo
	v_cmp_eq_u32_e32 vcc_lo, 5, v0
	;; [unrolled: 5-line block ×6, first 2 shown]
	v_cndmask_b32_e32 v64, v64, v31, vcc_lo
	v_cmp_eq_u32_e32 vcc_lo, 14, v0
	s_delay_alu instid0(VALU_DEP_2) | instskip(SKIP_1) | instid1(VALU_DEP_1)
	v_cndmask_b32_e32 v64, v64, v32, vcc_lo
	s_wait_dscnt 0x0
	v_mul_f32_e32 v67, v64, v65
	s_cbranch_execz .LBB78_165
	s_branch .LBB78_166
.LBB78_164:
                                        ; implicit-def: $vgpr67
.LBB78_165:
	ds_load_b32 v67, v68
.LBB78_166:
	s_and_saveexec_b32 s5, s1
	s_cbranch_execz .LBB78_176
; %bb.167:
	v_dual_add_nc_u32 v64, -4, v0 :: v_dual_add_nc_u32 v65, -3, v0
	s_delay_alu instid0(VALU_DEP_1)
	v_cmp_lt_u32_e32 vcc_lo, 6, v64
	v_mov_b32_e32 v64, 3
	s_and_saveexec_b32 s1, vcc_lo
	s_cbranch_execz .LBB78_171
; %bb.168:
	v_and_b32_e32 v64, -8, v65
	s_mov_b32 s6, 0
	s_mov_b64 s[2:3], 10
	s_movk_i32 s7, 0x4c
	s_delay_alu instid0(VALU_DEP_1)
	v_sub_nc_u32_e32 v66, 0, v64
.LBB78_169:                             ; =>This Inner Loop Header: Depth=1
	s_add_co_i32 m0, s2, -7
	v_movrels_b32_e32 v69, v18
	v_mov_b32_e32 v64, s7
	s_add_co_i32 m0, s2, -6
	s_add_co_i32 s7, s7, 32
	v_movrels_b32_e32 v78, v18
	ds_load_2addr_b32 v[70:71], v64 offset1:1
	ds_load_2addr_b32 v[72:73], v64 offset0:2 offset1:3
	s_add_co_i32 m0, s2, -5
	s_wait_dscnt 0x1
	v_fmac_f32_e32 v67, v69, v70
	ds_load_2addr_b32 v[74:75], v64 offset0:4 offset1:5
	ds_load_2addr_b32 v[76:77], v64 offset0:6 offset1:7
	v_movrels_b32_e32 v64, v18
	s_add_co_i32 m0, s2, -4
	v_fmac_f32_e32 v67, v78, v71
	v_movrels_b32_e32 v69, v18
	s_add_co_i32 m0, s2, -3
	s_wait_dscnt 0x2
	s_delay_alu instid0(VALU_DEP_2) | instskip(SKIP_2) | instid1(VALU_DEP_2)
	v_fmac_f32_e32 v67, v64, v72
	v_movrels_b32_e32 v64, v18
	s_add_co_i32 m0, s2, -2
	v_fmac_f32_e32 v67, v69, v73
	v_movrels_b32_e32 v69, v18
	s_add_co_i32 m0, s2, -1
	s_wait_dscnt 0x1
	s_delay_alu instid0(VALU_DEP_2)
	v_fmac_f32_e32 v67, v64, v74
	v_movrels_b32_e32 v64, v18
	s_mov_b32 m0, s2
	s_add_nc_u64 s[2:3], s[2:3], 8
	v_movrels_b32_e32 v70, v18
	v_dual_fmac_f32 v67, v69, v75 :: v_dual_add_nc_u32 v69, s2, v66
	s_add_co_i32 s8, s2, -7
	s_wait_dscnt 0x0
	s_delay_alu instid0(VALU_DEP_1) | instskip(NEXT) | instid1(VALU_DEP_2)
	v_fmac_f32_e32 v67, v64, v76
	v_cmp_eq_u32_e32 vcc_lo, 10, v69
	s_delay_alu instid0(VALU_DEP_2) | instskip(SKIP_1) | instid1(SALU_CYCLE_1)
	v_dual_mov_b32 v64, s8 :: v_dual_fmac_f32 v67, v70, v77
	s_or_b32 s6, vcc_lo, s6
	s_and_not1_b32 exec_lo, exec_lo, s6
	s_cbranch_execnz .LBB78_169
; %bb.170:
	s_or_b32 exec_lo, exec_lo, s6
.LBB78_171:
	s_delay_alu instid0(SALU_CYCLE_1) | instskip(SKIP_3) | instid1(VALU_DEP_1)
	s_or_b32 exec_lo, exec_lo, s1
	v_and_b32_e32 v33, 7, v65
	s_mov_b32 s2, 0
	s_mov_b32 s1, exec_lo
	v_cmpx_ne_u32_e32 0, v33
	s_cbranch_execz .LBB78_175
; %bb.172:
	v_lshl_add_u32 v66, v64, 2, 64
	v_mov_b32_e32 v65, 0
.LBB78_173:                             ; =>This Inner Loop Header: Depth=1
	v_cmp_eq_u32_e32 vcc_lo, 1, v64
	ds_load_b32 v70, v66
	v_dual_add_nc_u32 v33, -1, v33 :: v_dual_add_nc_u32 v66, 4, v66
	v_cndmask_b32_e32 v69, v18, v19, vcc_lo
	v_cmp_eq_u32_e32 vcc_lo, 2, v64
	s_delay_alu instid0(VALU_DEP_2) | instskip(SKIP_1) | instid1(VALU_DEP_2)
	v_cndmask_b32_e32 v69, v69, v20, vcc_lo
	v_cmp_eq_u32_e32 vcc_lo, 3, v64
	v_cndmask_b32_e32 v69, v69, v21, vcc_lo
	v_cmp_eq_u32_e32 vcc_lo, 4, v64
	s_delay_alu instid0(VALU_DEP_2) | instskip(SKIP_1) | instid1(VALU_DEP_2)
	v_cndmask_b32_e32 v69, v69, v22, vcc_lo
	v_cmp_eq_u32_e32 vcc_lo, 5, v64
	;; [unrolled: 5-line block ×6, first 2 shown]
	v_cndmask_b32_e32 v69, v69, v31, vcc_lo
	v_cmp_eq_u32_e32 vcc_lo, 14, v64
	v_add_nc_u64_e32 v[64:65], 1, v[64:65]
	s_delay_alu instid0(VALU_DEP_3) | instskip(SKIP_2) | instid1(VALU_DEP_2)
	v_cndmask_b32_e32 v69, v69, v32, vcc_lo
	v_cmp_eq_u32_e32 vcc_lo, 0, v33
	s_wait_dscnt 0x0
	v_fmac_f32_e32 v67, v69, v70
	s_or_b32 s2, vcc_lo, s2
	s_delay_alu instid0(SALU_CYCLE_1)
	s_and_not1_b32 exec_lo, exec_lo, s2
	s_cbranch_execnz .LBB78_173
; %bb.174:
	s_or_b32 exec_lo, exec_lo, s2
.LBB78_175:
	s_delay_alu instid0(SALU_CYCLE_1)
	s_or_b32 exec_lo, exec_lo, s1
.LBB78_176:
	s_delay_alu instid0(SALU_CYCLE_1)
	s_or_b32 exec_lo, exec_lo, s5
	v_mov_b32_e32 v20, 0
	ds_load_b32 v20, v20 offset:8
	s_wait_dscnt 0x0
	v_mul_f32_e32 v20, v67, v20
.LBB78_177:
	s_or_b32 exec_lo, exec_lo, s4
	v_cmp_lt_u32_e64 s1, 1, v0
	ds_store_b32 v68, v19
	s_wait_dscnt 0x0
	s_barrier_signal -1
	s_barrier_wait -1
	s_and_saveexec_b32 s4, s1
	s_cbranch_execz .LBB78_193
; %bb.178:
	s_and_not1_b32 vcc_lo, exec_lo, s15
	s_cbranch_vccnz .LBB78_180
; %bb.179:
	v_cmp_eq_u32_e32 vcc_lo, 1, v0
	ds_load_b32 v65, v68
	v_cndmask_b32_e32 v64, v18, v19, vcc_lo
	v_cmp_eq_u32_e32 vcc_lo, 2, v0
	s_delay_alu instid0(VALU_DEP_2) | instskip(SKIP_1) | instid1(VALU_DEP_2)
	v_cndmask_b32_e32 v64, v64, v20, vcc_lo
	v_cmp_eq_u32_e32 vcc_lo, 3, v0
	v_cndmask_b32_e32 v64, v64, v21, vcc_lo
	v_cmp_eq_u32_e32 vcc_lo, 4, v0
	s_delay_alu instid0(VALU_DEP_2) | instskip(SKIP_1) | instid1(VALU_DEP_2)
	v_cndmask_b32_e32 v64, v64, v22, vcc_lo
	v_cmp_eq_u32_e32 vcc_lo, 5, v0
	;; [unrolled: 5-line block ×6, first 2 shown]
	v_cndmask_b32_e32 v64, v64, v31, vcc_lo
	v_cmp_eq_u32_e32 vcc_lo, 14, v0
	s_delay_alu instid0(VALU_DEP_2) | instskip(SKIP_1) | instid1(VALU_DEP_1)
	v_cndmask_b32_e32 v64, v64, v32, vcc_lo
	s_wait_dscnt 0x0
	v_mul_f32_e32 v67, v64, v65
	s_cbranch_execz .LBB78_181
	s_branch .LBB78_182
.LBB78_180:
                                        ; implicit-def: $vgpr67
.LBB78_181:
	ds_load_b32 v67, v68
.LBB78_182:
	s_and_saveexec_b32 s5, s0
	s_cbranch_execz .LBB78_192
; %bb.183:
	v_dual_add_nc_u32 v64, -3, v0 :: v_dual_add_nc_u32 v65, -2, v0
	s_delay_alu instid0(VALU_DEP_1)
	v_cmp_lt_u32_e32 vcc_lo, 6, v64
	v_mov_b32_e32 v64, 2
	s_and_saveexec_b32 s0, vcc_lo
	s_cbranch_execz .LBB78_187
; %bb.184:
	v_and_b32_e32 v64, -8, v65
	s_mov_b32 s6, 0
	s_mov_b64 s[2:3], 9
	s_movk_i32 s7, 0x48
	s_delay_alu instid0(VALU_DEP_1)
	v_sub_nc_u32_e32 v66, 0, v64
.LBB78_185:                             ; =>This Inner Loop Header: Depth=1
	s_add_co_i32 m0, s2, -7
	v_movrels_b32_e32 v69, v18
	v_mov_b32_e32 v64, s7
	s_add_co_i32 m0, s2, -6
	s_add_co_i32 s7, s7, 32
	v_movrels_b32_e32 v78, v18
	s_add_co_i32 m0, s2, -5
	ds_load_2addr_b64 v[70:73], v64 offset1:1
	ds_load_2addr_b64 v[74:77], v64 offset0:2 offset1:3
	v_movrels_b32_e32 v64, v18
	s_add_co_i32 m0, s2, -4
	s_wait_dscnt 0x1
	v_fmac_f32_e32 v67, v69, v70
	v_movrels_b32_e32 v69, v18
	s_add_co_i32 m0, s2, -3
	s_delay_alu instid0(VALU_DEP_2) | instskip(NEXT) | instid1(VALU_DEP_1)
	v_fmac_f32_e32 v67, v78, v71
	v_fmac_f32_e32 v67, v64, v72
	v_movrels_b32_e32 v64, v18
	s_add_co_i32 m0, s2, -2
	s_delay_alu instid0(VALU_DEP_2) | instskip(SKIP_3) | instid1(VALU_DEP_2)
	v_fmac_f32_e32 v67, v69, v73
	v_movrels_b32_e32 v69, v18
	s_add_co_i32 m0, s2, -1
	s_wait_dscnt 0x0
	v_fmac_f32_e32 v67, v64, v74
	v_movrels_b32_e32 v64, v18
	s_mov_b32 m0, s2
	s_add_nc_u64 s[2:3], s[2:3], 8
	v_movrels_b32_e32 v70, v18
	v_dual_fmac_f32 v67, v69, v75 :: v_dual_add_nc_u32 v69, s2, v66
	s_add_co_i32 s8, s2, -7
	s_delay_alu instid0(VALU_DEP_1) | instskip(NEXT) | instid1(VALU_DEP_2)
	v_fmac_f32_e32 v67, v64, v76
	v_cmp_eq_u32_e32 vcc_lo, 9, v69
	s_delay_alu instid0(VALU_DEP_2) | instskip(SKIP_1) | instid1(SALU_CYCLE_1)
	v_dual_mov_b32 v64, s8 :: v_dual_fmac_f32 v67, v70, v77
	s_or_b32 s6, vcc_lo, s6
	s_and_not1_b32 exec_lo, exec_lo, s6
	s_cbranch_execnz .LBB78_185
; %bb.186:
	s_or_b32 exec_lo, exec_lo, s6
.LBB78_187:
	s_delay_alu instid0(SALU_CYCLE_1) | instskip(SKIP_3) | instid1(VALU_DEP_1)
	s_or_b32 exec_lo, exec_lo, s0
	v_and_b32_e32 v33, 7, v65
	s_mov_b32 s2, 0
	s_mov_b32 s0, exec_lo
	v_cmpx_ne_u32_e32 0, v33
	s_cbranch_execz .LBB78_191
; %bb.188:
	v_lshl_add_u32 v66, v64, 2, 64
	v_mov_b32_e32 v65, 0
.LBB78_189:                             ; =>This Inner Loop Header: Depth=1
	v_cmp_eq_u32_e32 vcc_lo, 1, v64
	ds_load_b32 v70, v66
	v_dual_add_nc_u32 v33, -1, v33 :: v_dual_add_nc_u32 v66, 4, v66
	v_cndmask_b32_e32 v69, v18, v19, vcc_lo
	v_cmp_eq_u32_e32 vcc_lo, 2, v64
	s_delay_alu instid0(VALU_DEP_2) | instskip(SKIP_1) | instid1(VALU_DEP_2)
	v_cndmask_b32_e32 v69, v69, v20, vcc_lo
	v_cmp_eq_u32_e32 vcc_lo, 3, v64
	v_cndmask_b32_e32 v69, v69, v21, vcc_lo
	v_cmp_eq_u32_e32 vcc_lo, 4, v64
	s_delay_alu instid0(VALU_DEP_2) | instskip(SKIP_1) | instid1(VALU_DEP_2)
	v_cndmask_b32_e32 v69, v69, v22, vcc_lo
	v_cmp_eq_u32_e32 vcc_lo, 5, v64
	;; [unrolled: 5-line block ×6, first 2 shown]
	v_cndmask_b32_e32 v69, v69, v31, vcc_lo
	v_cmp_eq_u32_e32 vcc_lo, 14, v64
	v_add_nc_u64_e32 v[64:65], 1, v[64:65]
	s_delay_alu instid0(VALU_DEP_3) | instskip(SKIP_2) | instid1(VALU_DEP_2)
	v_cndmask_b32_e32 v69, v69, v32, vcc_lo
	v_cmp_eq_u32_e32 vcc_lo, 0, v33
	s_wait_dscnt 0x0
	v_fmac_f32_e32 v67, v69, v70
	s_or_b32 s2, vcc_lo, s2
	s_delay_alu instid0(SALU_CYCLE_1)
	s_and_not1_b32 exec_lo, exec_lo, s2
	s_cbranch_execnz .LBB78_189
; %bb.190:
	s_or_b32 exec_lo, exec_lo, s2
.LBB78_191:
	s_delay_alu instid0(SALU_CYCLE_1)
	s_or_b32 exec_lo, exec_lo, s0
.LBB78_192:
	s_delay_alu instid0(SALU_CYCLE_1)
	s_or_b32 exec_lo, exec_lo, s5
	v_mov_b32_e32 v19, 0
	ds_load_b32 v19, v19 offset:4
	s_wait_dscnt 0x0
	v_mul_f32_e32 v19, v67, v19
.LBB78_193:
	s_or_b32 exec_lo, exec_lo, s4
	s_mov_b32 s2, 0
	s_mov_b32 s3, exec_lo
	ds_store_b32 v68, v18
	s_wait_dscnt 0x0
	s_barrier_signal -1
	s_barrier_wait -1
	v_cmpx_ne_u32_e32 0, v0
	s_cbranch_execz .LBB78_209
; %bb.194:
	s_and_not1_b32 vcc_lo, exec_lo, s15
	s_cbranch_vccnz .LBB78_196
; %bb.195:
	v_cmp_eq_u32_e32 vcc_lo, 1, v0
	ds_load_b32 v65, v68
	v_cndmask_b32_e32 v64, v18, v19, vcc_lo
	v_cmp_eq_u32_e32 vcc_lo, 2, v0
	s_delay_alu instid0(VALU_DEP_2) | instskip(SKIP_1) | instid1(VALU_DEP_2)
	v_cndmask_b32_e32 v64, v64, v20, vcc_lo
	v_cmp_eq_u32_e32 vcc_lo, 3, v0
	v_cndmask_b32_e32 v64, v64, v21, vcc_lo
	v_cmp_eq_u32_e32 vcc_lo, 4, v0
	s_delay_alu instid0(VALU_DEP_2) | instskip(SKIP_1) | instid1(VALU_DEP_2)
	v_cndmask_b32_e32 v64, v64, v22, vcc_lo
	v_cmp_eq_u32_e32 vcc_lo, 5, v0
	v_cndmask_b32_e32 v64, v64, v23, vcc_lo
	v_cmp_eq_u32_e32 vcc_lo, 6, v0
	s_delay_alu instid0(VALU_DEP_2) | instskip(SKIP_1) | instid1(VALU_DEP_2)
	v_cndmask_b32_e32 v64, v64, v24, vcc_lo
	v_cmp_eq_u32_e32 vcc_lo, 7, v0
	v_cndmask_b32_e32 v64, v64, v25, vcc_lo
	v_cmp_eq_u32_e32 vcc_lo, 8, v0
	s_delay_alu instid0(VALU_DEP_2) | instskip(SKIP_1) | instid1(VALU_DEP_2)
	v_cndmask_b32_e32 v64, v64, v26, vcc_lo
	v_cmp_eq_u32_e32 vcc_lo, 9, v0
	v_cndmask_b32_e32 v64, v64, v27, vcc_lo
	v_cmp_eq_u32_e32 vcc_lo, 10, v0
	s_delay_alu instid0(VALU_DEP_2) | instskip(SKIP_1) | instid1(VALU_DEP_2)
	v_cndmask_b32_e32 v64, v64, v28, vcc_lo
	v_cmp_eq_u32_e32 vcc_lo, 11, v0
	v_cndmask_b32_e32 v64, v64, v29, vcc_lo
	v_cmp_eq_u32_e32 vcc_lo, 12, v0
	s_delay_alu instid0(VALU_DEP_2) | instskip(SKIP_1) | instid1(VALU_DEP_2)
	v_cndmask_b32_e32 v64, v64, v30, vcc_lo
	v_cmp_eq_u32_e32 vcc_lo, 13, v0
	v_cndmask_b32_e32 v64, v64, v31, vcc_lo
	v_cmp_eq_u32_e32 vcc_lo, 14, v0
	s_delay_alu instid0(VALU_DEP_2) | instskip(SKIP_1) | instid1(VALU_DEP_1)
	v_cndmask_b32_e32 v64, v64, v32, vcc_lo
	s_wait_dscnt 0x0
	v_mul_f32_e32 v67, v64, v65
	s_cbranch_execz .LBB78_197
	s_branch .LBB78_198
.LBB78_196:
                                        ; implicit-def: $vgpr67
.LBB78_197:
	ds_load_b32 v67, v68
.LBB78_198:
	s_and_saveexec_b32 s4, s1
	s_cbranch_execz .LBB78_208
; %bb.199:
	v_dual_add_nc_u32 v64, -2, v0 :: v_dual_add_nc_u32 v65, -1, v0
	s_delay_alu instid0(VALU_DEP_1)
	v_cmp_lt_u32_e32 vcc_lo, 6, v64
	v_mov_b32_e32 v64, 1
	s_and_saveexec_b32 s5, vcc_lo
	s_cbranch_execz .LBB78_203
; %bb.200:
	v_and_b32_e32 v64, -8, v65
	s_mov_b32 s6, 0
	s_mov_b64 s[0:1], 8
	s_movk_i32 s7, 0x44
	s_delay_alu instid0(VALU_DEP_1)
	v_sub_nc_u32_e32 v66, 0, v64
.LBB78_201:                             ; =>This Inner Loop Header: Depth=1
	s_add_co_i32 m0, s0, -7
	v_movrels_b32_e32 v69, v18
	v_mov_b32_e32 v64, s7
	s_add_co_i32 m0, s0, -6
	s_add_co_i32 s7, s7, 32
	v_movrels_b32_e32 v78, v18
	ds_load_2addr_b32 v[70:71], v64 offset1:1
	ds_load_2addr_b32 v[72:73], v64 offset0:2 offset1:3
	s_add_co_i32 m0, s0, -5
	s_wait_dscnt 0x1
	v_fmac_f32_e32 v67, v69, v70
	ds_load_2addr_b32 v[74:75], v64 offset0:4 offset1:5
	ds_load_2addr_b32 v[76:77], v64 offset0:6 offset1:7
	v_movrels_b32_e32 v64, v18
	s_add_co_i32 m0, s0, -4
	v_fmac_f32_e32 v67, v78, v71
	v_movrels_b32_e32 v69, v18
	s_add_co_i32 m0, s0, -3
	s_wait_dscnt 0x2
	s_delay_alu instid0(VALU_DEP_2) | instskip(SKIP_2) | instid1(VALU_DEP_2)
	v_fmac_f32_e32 v67, v64, v72
	v_movrels_b32_e32 v64, v18
	s_add_co_i32 m0, s0, -2
	v_fmac_f32_e32 v67, v69, v73
	v_movrels_b32_e32 v69, v18
	s_add_co_i32 m0, s0, -1
	s_wait_dscnt 0x1
	s_delay_alu instid0(VALU_DEP_2)
	v_fmac_f32_e32 v67, v64, v74
	v_movrels_b32_e32 v64, v18
	s_mov_b32 m0, s0
	s_add_nc_u64 s[0:1], s[0:1], 8
	v_movrels_b32_e32 v70, v18
	v_dual_fmac_f32 v67, v69, v75 :: v_dual_add_nc_u32 v69, s0, v66
	s_add_co_i32 s8, s0, -7
	s_wait_dscnt 0x0
	s_delay_alu instid0(VALU_DEP_1) | instskip(NEXT) | instid1(VALU_DEP_2)
	v_fmac_f32_e32 v67, v64, v76
	v_cmp_eq_u32_e32 vcc_lo, 8, v69
	s_delay_alu instid0(VALU_DEP_2) | instskip(SKIP_1) | instid1(SALU_CYCLE_1)
	v_dual_mov_b32 v64, s8 :: v_dual_fmac_f32 v67, v70, v77
	s_or_b32 s6, vcc_lo, s6
	s_and_not1_b32 exec_lo, exec_lo, s6
	s_cbranch_execnz .LBB78_201
; %bb.202:
	s_or_b32 exec_lo, exec_lo, s6
.LBB78_203:
	s_delay_alu instid0(SALU_CYCLE_1) | instskip(SKIP_3) | instid1(VALU_DEP_1)
	s_or_b32 exec_lo, exec_lo, s5
	v_and_b32_e32 v33, 7, v65
	s_mov_b32 s1, 0
	s_mov_b32 s0, exec_lo
	v_cmpx_ne_u32_e32 0, v33
	s_cbranch_execz .LBB78_207
; %bb.204:
	v_lshl_add_u32 v66, v64, 2, 64
	v_mov_b32_e32 v65, 0
.LBB78_205:                             ; =>This Inner Loop Header: Depth=1
	v_cmp_eq_u32_e32 vcc_lo, 1, v64
	ds_load_b32 v70, v66
	v_dual_add_nc_u32 v33, -1, v33 :: v_dual_add_nc_u32 v66, 4, v66
	v_cndmask_b32_e32 v69, v18, v19, vcc_lo
	v_cmp_eq_u32_e32 vcc_lo, 2, v64
	s_delay_alu instid0(VALU_DEP_2) | instskip(SKIP_1) | instid1(VALU_DEP_2)
	v_cndmask_b32_e32 v69, v69, v20, vcc_lo
	v_cmp_eq_u32_e32 vcc_lo, 3, v64
	v_cndmask_b32_e32 v69, v69, v21, vcc_lo
	v_cmp_eq_u32_e32 vcc_lo, 4, v64
	s_delay_alu instid0(VALU_DEP_2) | instskip(SKIP_1) | instid1(VALU_DEP_2)
	v_cndmask_b32_e32 v69, v69, v22, vcc_lo
	v_cmp_eq_u32_e32 vcc_lo, 5, v64
	v_cndmask_b32_e32 v69, v69, v23, vcc_lo
	v_cmp_eq_u32_e32 vcc_lo, 6, v64
	s_delay_alu instid0(VALU_DEP_2) | instskip(SKIP_1) | instid1(VALU_DEP_2)
	v_cndmask_b32_e32 v69, v69, v24, vcc_lo
	v_cmp_eq_u32_e32 vcc_lo, 7, v64
	v_cndmask_b32_e32 v69, v69, v25, vcc_lo
	v_cmp_eq_u32_e32 vcc_lo, 8, v64
	s_delay_alu instid0(VALU_DEP_2) | instskip(SKIP_1) | instid1(VALU_DEP_2)
	v_cndmask_b32_e32 v69, v69, v26, vcc_lo
	v_cmp_eq_u32_e32 vcc_lo, 9, v64
	v_cndmask_b32_e32 v69, v69, v27, vcc_lo
	v_cmp_eq_u32_e32 vcc_lo, 10, v64
	s_delay_alu instid0(VALU_DEP_2) | instskip(SKIP_1) | instid1(VALU_DEP_2)
	v_cndmask_b32_e32 v69, v69, v28, vcc_lo
	v_cmp_eq_u32_e32 vcc_lo, 11, v64
	v_cndmask_b32_e32 v69, v69, v29, vcc_lo
	v_cmp_eq_u32_e32 vcc_lo, 12, v64
	s_delay_alu instid0(VALU_DEP_2) | instskip(SKIP_1) | instid1(VALU_DEP_2)
	v_cndmask_b32_e32 v69, v69, v30, vcc_lo
	v_cmp_eq_u32_e32 vcc_lo, 13, v64
	v_cndmask_b32_e32 v69, v69, v31, vcc_lo
	v_cmp_eq_u32_e32 vcc_lo, 14, v64
	v_add_nc_u64_e32 v[64:65], 1, v[64:65]
	s_delay_alu instid0(VALU_DEP_3) | instskip(SKIP_2) | instid1(VALU_DEP_2)
	v_cndmask_b32_e32 v69, v69, v32, vcc_lo
	v_cmp_eq_u32_e32 vcc_lo, 0, v33
	s_wait_dscnt 0x0
	v_fmac_f32_e32 v67, v69, v70
	s_or_b32 s1, vcc_lo, s1
	s_delay_alu instid0(SALU_CYCLE_1)
	s_and_not1_b32 exec_lo, exec_lo, s1
	s_cbranch_execnz .LBB78_205
; %bb.206:
	s_or_b32 exec_lo, exec_lo, s1
.LBB78_207:
	s_delay_alu instid0(SALU_CYCLE_1)
	s_or_b32 exec_lo, exec_lo, s0
.LBB78_208:
	s_delay_alu instid0(SALU_CYCLE_1)
	s_or_b32 exec_lo, exec_lo, s4
	v_mov_b32_e32 v18, 0
	ds_load_b32 v18, v18
	s_wait_dscnt 0x0
	v_mul_f32_e32 v18, v67, v18
.LBB78_209:
	s_or_b32 exec_lo, exec_lo, s3
	s_delay_alu instid0(SALU_CYCLE_1)
	s_and_b32 vcc_lo, exec_lo, s2
	s_cbranch_vccz .LBB78_353
.LBB78_210:
	v_cmp_eq_u32_e64 s0, 0, v0
	s_wait_loadcnt_dscnt 0xe0f
	ds_store_b32 v68, v3
	s_wait_loadcnt_dscnt 0x0
	s_barrier_signal -1
	s_barrier_wait -1
	s_and_saveexec_b32 s1, s0
	s_cbranch_execz .LBB78_216
; %bb.211:
	s_and_b32 vcc_lo, exec_lo, s15
	s_cbranch_vccz .LBB78_213
; %bb.212:
	v_cmp_eq_u32_e32 vcc_lo, 1, v0
	ds_load_b32 v17, v68
	v_cndmask_b32_e32 v3, v2, v3, vcc_lo
	v_cmp_eq_u32_e32 vcc_lo, 2, v0
	s_delay_alu instid0(VALU_DEP_2) | instskip(SKIP_1) | instid1(VALU_DEP_2)
	v_cndmask_b32_e32 v3, v3, v4, vcc_lo
	v_cmp_eq_u32_e32 vcc_lo, 3, v0
	v_cndmask_b32_e32 v3, v3, v5, vcc_lo
	v_cmp_eq_u32_e32 vcc_lo, 4, v0
	s_delay_alu instid0(VALU_DEP_2) | instskip(SKIP_1) | instid1(VALU_DEP_2)
	v_cndmask_b32_e32 v3, v3, v6, vcc_lo
	v_cmp_eq_u32_e32 vcc_lo, 5, v0
	;; [unrolled: 5-line block ×6, first 2 shown]
	v_cndmask_b32_e32 v3, v3, v15, vcc_lo
	v_cmp_eq_u32_e32 vcc_lo, 14, v0
	s_delay_alu instid0(VALU_DEP_2) | instskip(SKIP_1) | instid1(VALU_DEP_1)
	v_cndmask_b32_e32 v3, v3, v16, vcc_lo
	s_wait_dscnt 0x0
	v_mul_f32_e32 v3, v3, v17
	s_cbranch_execz .LBB78_214
	s_branch .LBB78_215
.LBB78_213:
                                        ; implicit-def: $vgpr3
.LBB78_214:
	ds_load_b32 v3, v68
.LBB78_215:
	v_mov_b32_e32 v17, 0
	ds_load_b32 v17, v17 offset:4
	s_wait_dscnt 0x0
	v_mul_f32_e32 v3, v3, v17
.LBB78_216:
	s_or_b32 exec_lo, exec_lo, s1
	v_cndmask_b32_e64 v20, 0, 1, s15
	s_mov_b32 s1, exec_lo
	ds_store_b32 v68, v4
	s_wait_dscnt 0x0
	s_barrier_signal -1
	s_barrier_wait -1
	v_cmpx_gt_u32_e32 2, v0
	s_cbranch_execz .LBB78_222
; %bb.217:
	s_and_not1_b32 vcc_lo, exec_lo, s15
	s_cbranch_vccnz .LBB78_219
; %bb.218:
	v_cmp_eq_u32_e32 vcc_lo, 1, v0
	v_cndmask_b32_e32 v17, v2, v3, vcc_lo
	v_cmp_eq_u32_e32 vcc_lo, 2, v0
	s_delay_alu instid0(VALU_DEP_2) | instskip(SKIP_4) | instid1(VALU_DEP_2)
	v_cndmask_b32_e32 v4, v17, v4, vcc_lo
	v_cmp_eq_u32_e32 vcc_lo, 3, v0
	ds_load_b32 v17, v68
	v_cndmask_b32_e32 v4, v4, v5, vcc_lo
	v_cmp_eq_u32_e32 vcc_lo, 4, v0
	v_cndmask_b32_e32 v4, v4, v6, vcc_lo
	v_cmp_eq_u32_e32 vcc_lo, 5, v0
	s_delay_alu instid0(VALU_DEP_2) | instskip(SKIP_1) | instid1(VALU_DEP_2)
	v_cndmask_b32_e32 v4, v4, v7, vcc_lo
	v_cmp_eq_u32_e32 vcc_lo, 6, v0
	v_cndmask_b32_e32 v4, v4, v8, vcc_lo
	v_cmp_eq_u32_e32 vcc_lo, 7, v0
	s_delay_alu instid0(VALU_DEP_2) | instskip(SKIP_1) | instid1(VALU_DEP_2)
	;; [unrolled: 5-line block ×5, first 2 shown]
	v_cndmask_b32_e32 v4, v4, v15, vcc_lo
	v_cmp_eq_u32_e32 vcc_lo, 14, v0
	v_cndmask_b32_e32 v4, v4, v16, vcc_lo
	s_wait_dscnt 0x0
	s_delay_alu instid0(VALU_DEP_1)
	v_mul_f32_e32 v4, v4, v17
	s_cbranch_execz .LBB78_220
	s_branch .LBB78_221
.LBB78_219:
                                        ; implicit-def: $vgpr4
.LBB78_220:
	ds_load_b32 v4, v68
.LBB78_221:
	v_mov_b32_e32 v17, 0
	ds_load_2addr_b32 v[18:19], v17 offset0:2 offset1:17
	s_wait_dscnt 0x0
	v_fma_f32 v17, v3, v19, v4
	s_delay_alu instid0(VALU_DEP_1) | instskip(NEXT) | instid1(VALU_DEP_1)
	v_cndmask_b32_e64 v4, v4, v17, s0
	v_mul_f32_e32 v4, v4, v18
.LBB78_222:
	s_or_b32 exec_lo, exec_lo, s1
	v_add_nc_u32_e32 v21, 1, v0
	v_cmp_gt_u32_e64 s1, 3, v0
	ds_store_b32 v68, v5
	s_wait_dscnt 0x0
	s_barrier_signal -1
	s_barrier_wait -1
	s_and_saveexec_b32 s2, s1
	s_cbranch_execz .LBB78_230
; %bb.223:
	v_cmp_ne_u32_e32 vcc_lo, 1, v20
	s_cbranch_vccnz .LBB78_225
; %bb.224:
	v_cmp_eq_u32_e32 vcc_lo, 1, v0
	ds_load_b32 v18, v68
	v_cndmask_b32_e32 v17, v2, v3, vcc_lo
	v_cmp_eq_u32_e32 vcc_lo, 2, v0
	s_delay_alu instid0(VALU_DEP_2) | instskip(SKIP_1) | instid1(VALU_DEP_2)
	v_cndmask_b32_e32 v17, v17, v4, vcc_lo
	v_cmp_eq_u32_e32 vcc_lo, 3, v0
	v_cndmask_b32_e32 v17, v17, v5, vcc_lo
	v_cmp_eq_u32_e32 vcc_lo, 4, v0
	s_delay_alu instid0(VALU_DEP_2) | instskip(SKIP_1) | instid1(VALU_DEP_2)
	v_cndmask_b32_e32 v17, v17, v6, vcc_lo
	v_cmp_eq_u32_e32 vcc_lo, 5, v0
	;; [unrolled: 5-line block ×6, first 2 shown]
	v_cndmask_b32_e32 v17, v17, v15, vcc_lo
	v_cmp_eq_u32_e32 vcc_lo, 14, v0
	s_delay_alu instid0(VALU_DEP_2) | instskip(SKIP_1) | instid1(VALU_DEP_1)
	v_cndmask_b32_e32 v17, v17, v16, vcc_lo
	s_wait_dscnt 0x0
	v_mul_f32_e32 v17, v17, v18
	s_cbranch_execz .LBB78_226
	s_branch .LBB78_227
.LBB78_225:
                                        ; implicit-def: $vgpr17
.LBB78_226:
	ds_load_b32 v17, v68
.LBB78_227:
	s_mov_b32 s3, exec_lo
	v_cmpx_ne_u32_e32 2, v0
	s_cbranch_execz .LBB78_229
; %bb.228:
	v_cmp_eq_u32_e32 vcc_lo, 1, v21
	v_dual_mov_b32 v19, 0 :: v_dual_cndmask_b32 v18, v2, v3
	v_cmp_eq_u32_e32 vcc_lo, 2, v21
	ds_load_b32 v19, v19 offset:72
	v_cndmask_b32_e32 v18, v18, v4, vcc_lo
	v_cmp_eq_u32_e32 vcc_lo, 3, v21
	s_delay_alu instid0(VALU_DEP_2) | instskip(SKIP_4) | instid1(VALU_DEP_2)
	v_cndmask_b32_e32 v5, v18, v5, vcc_lo
	v_cmp_eq_u32_e32 vcc_lo, 4, v21
	ds_load_b32 v18, v68 offset:4
	v_cndmask_b32_e32 v5, v5, v6, vcc_lo
	v_cmp_eq_u32_e32 vcc_lo, 5, v21
	v_cndmask_b32_e32 v5, v5, v7, vcc_lo
	v_cmp_eq_u32_e32 vcc_lo, 6, v21
	s_delay_alu instid0(VALU_DEP_2) | instskip(SKIP_1) | instid1(VALU_DEP_2)
	v_cndmask_b32_e32 v5, v5, v8, vcc_lo
	v_cmp_eq_u32_e32 vcc_lo, 7, v21
	v_cndmask_b32_e32 v5, v5, v9, vcc_lo
	v_cmp_eq_u32_e32 vcc_lo, 8, v21
	s_delay_alu instid0(VALU_DEP_2) | instskip(SKIP_1) | instid1(VALU_DEP_2)
	;; [unrolled: 5-line block ×4, first 2 shown]
	v_cndmask_b32_e32 v5, v5, v14, vcc_lo
	v_cmp_eq_u32_e32 vcc_lo, 13, v21
	v_cndmask_b32_e32 v5, v5, v15, vcc_lo
	v_cmp_eq_u32_e32 vcc_lo, 14, v21
	s_delay_alu instid0(VALU_DEP_2) | instskip(SKIP_1) | instid1(VALU_DEP_1)
	v_cndmask_b32_e32 v5, v5, v16, vcc_lo
	s_wait_dscnt 0x0
	v_fmac_f32_e32 v17, v5, v18
	s_delay_alu instid0(VALU_DEP_1) | instskip(NEXT) | instid1(VALU_DEP_1)
	v_fma_f32 v5, v4, v19, v17
	v_cndmask_b32_e64 v17, v17, v5, s0
.LBB78_229:
	s_or_b32 exec_lo, exec_lo, s3
	v_mov_b32_e32 v5, 0
	ds_load_b32 v5, v5 offset:12
	s_wait_dscnt 0x0
	v_mul_f32_e32 v5, v17, v5
.LBB78_230:
	s_or_b32 exec_lo, exec_lo, s2
	s_delay_alu instid0(SALU_CYCLE_1)
	s_mov_b32 s2, exec_lo
	ds_store_b32 v68, v6
	s_wait_dscnt 0x0
	s_barrier_signal -1
	s_barrier_wait -1
	v_cmpx_gt_u32_e32 4, v0
	s_cbranch_execz .LBB78_240
; %bb.231:
	v_cmp_ne_u32_e32 vcc_lo, 1, v20
	s_cbranch_vccnz .LBB78_233
; %bb.232:
	v_cmp_eq_u32_e32 vcc_lo, 1, v0
	ds_load_b32 v18, v68
	v_cndmask_b32_e32 v17, v2, v3, vcc_lo
	v_cmp_eq_u32_e32 vcc_lo, 2, v0
	s_delay_alu instid0(VALU_DEP_2) | instskip(SKIP_1) | instid1(VALU_DEP_2)
	v_cndmask_b32_e32 v17, v17, v4, vcc_lo
	v_cmp_eq_u32_e32 vcc_lo, 3, v0
	v_cndmask_b32_e32 v17, v17, v5, vcc_lo
	v_cmp_eq_u32_e32 vcc_lo, 4, v0
	s_delay_alu instid0(VALU_DEP_2) | instskip(SKIP_1) | instid1(VALU_DEP_2)
	v_cndmask_b32_e32 v17, v17, v6, vcc_lo
	v_cmp_eq_u32_e32 vcc_lo, 5, v0
	;; [unrolled: 5-line block ×6, first 2 shown]
	v_cndmask_b32_e32 v17, v17, v15, vcc_lo
	v_cmp_eq_u32_e32 vcc_lo, 14, v0
	s_delay_alu instid0(VALU_DEP_2) | instskip(SKIP_1) | instid1(VALU_DEP_1)
	v_cndmask_b32_e32 v17, v17, v16, vcc_lo
	s_wait_dscnt 0x0
	v_mul_f32_e32 v17, v17, v18
	s_cbranch_execz .LBB78_234
	s_branch .LBB78_235
.LBB78_233:
                                        ; implicit-def: $vgpr17
.LBB78_234:
	ds_load_b32 v17, v68
.LBB78_235:
	s_mov_b32 s3, exec_lo
	v_cmpx_ne_u32_e32 3, v0
	s_cbranch_execz .LBB78_239
; %bb.236:
	v_mov_b64_e32 v[18:19], v[0:1]
	v_lshl_add_u32 v22, v0, 2, 0x44
	s_mov_b32 s4, 0
.LBB78_237:                             ; =>This Inner Loop Header: Depth=1
	s_delay_alu instid0(VALU_DEP_2)
	v_add_nc_u64_e32 v[18:19], 1, v[18:19]
	ds_load_b32 v24, v22
	v_add_nc_u32_e32 v22, 4, v22
	v_cmp_eq_u32_e32 vcc_lo, 1, v18
	v_cndmask_b32_e32 v23, v2, v3, vcc_lo
	v_cmp_eq_u32_e32 vcc_lo, 2, v18
	s_delay_alu instid0(VALU_DEP_2) | instskip(SKIP_1) | instid1(VALU_DEP_2)
	v_cndmask_b32_e32 v23, v23, v4, vcc_lo
	v_cmp_eq_u32_e32 vcc_lo, 3, v18
	v_cndmask_b32_e32 v23, v23, v5, vcc_lo
	v_cmp_eq_u32_e32 vcc_lo, 4, v18
	s_delay_alu instid0(VALU_DEP_2) | instskip(SKIP_1) | instid1(VALU_DEP_2)
	v_cndmask_b32_e32 v23, v23, v6, vcc_lo
	;; [unrolled: 5-line block ×6, first 2 shown]
	v_cmp_eq_u32_e32 vcc_lo, 13, v18
	v_cndmask_b32_e32 v23, v23, v15, vcc_lo
	v_cmp_eq_u32_e32 vcc_lo, 14, v18
	s_delay_alu instid0(VALU_DEP_2) | instskip(SKIP_2) | instid1(VALU_DEP_2)
	v_cndmask_b32_e32 v23, v23, v16, vcc_lo
	v_cmp_lt_u32_e32 vcc_lo, 2, v18
	s_wait_dscnt 0x0
	v_fmac_f32_e32 v17, v23, v24
	s_or_b32 s4, vcc_lo, s4
	s_delay_alu instid0(SALU_CYCLE_1)
	s_and_not1_b32 exec_lo, exec_lo, s4
	s_cbranch_execnz .LBB78_237
; %bb.238:
	s_or_b32 exec_lo, exec_lo, s4
.LBB78_239:
	s_delay_alu instid0(SALU_CYCLE_1)
	s_or_b32 exec_lo, exec_lo, s3
	v_mov_b32_e32 v6, 0
	ds_load_b32 v6, v6 offset:16
	s_wait_dscnt 0x0
	v_mul_f32_e32 v6, v17, v6
.LBB78_240:
	s_or_b32 exec_lo, exec_lo, s2
	v_cmp_gt_u32_e64 s2, 5, v0
	ds_store_b32 v68, v7
	s_wait_dscnt 0x0
	s_barrier_signal -1
	s_barrier_wait -1
	s_and_saveexec_b32 s3, s2
	s_cbranch_execz .LBB78_250
; %bb.241:
	v_cmp_ne_u32_e32 vcc_lo, 1, v20
	s_cbranch_vccnz .LBB78_243
; %bb.242:
	v_cmp_eq_u32_e32 vcc_lo, 1, v0
	ds_load_b32 v18, v68
	v_cndmask_b32_e32 v17, v2, v3, vcc_lo
	v_cmp_eq_u32_e32 vcc_lo, 2, v0
	s_delay_alu instid0(VALU_DEP_2) | instskip(SKIP_1) | instid1(VALU_DEP_2)
	v_cndmask_b32_e32 v17, v17, v4, vcc_lo
	v_cmp_eq_u32_e32 vcc_lo, 3, v0
	v_cndmask_b32_e32 v17, v17, v5, vcc_lo
	v_cmp_eq_u32_e32 vcc_lo, 4, v0
	s_delay_alu instid0(VALU_DEP_2) | instskip(SKIP_1) | instid1(VALU_DEP_2)
	v_cndmask_b32_e32 v17, v17, v6, vcc_lo
	v_cmp_eq_u32_e32 vcc_lo, 5, v0
	;; [unrolled: 5-line block ×6, first 2 shown]
	v_cndmask_b32_e32 v17, v17, v15, vcc_lo
	v_cmp_eq_u32_e32 vcc_lo, 14, v0
	s_delay_alu instid0(VALU_DEP_2) | instskip(SKIP_1) | instid1(VALU_DEP_1)
	v_cndmask_b32_e32 v17, v17, v16, vcc_lo
	s_wait_dscnt 0x0
	v_mul_f32_e32 v17, v17, v18
	s_cbranch_execz .LBB78_244
	s_branch .LBB78_245
.LBB78_243:
                                        ; implicit-def: $vgpr17
.LBB78_244:
	ds_load_b32 v17, v68
.LBB78_245:
	s_mov_b32 s4, exec_lo
	v_cmpx_ne_u32_e32 4, v0
	s_cbranch_execz .LBB78_249
; %bb.246:
	v_mov_b64_e32 v[18:19], v[0:1]
	v_lshl_add_u32 v22, v0, 2, 0x44
	s_mov_b32 s5, 0
.LBB78_247:                             ; =>This Inner Loop Header: Depth=1
	s_delay_alu instid0(VALU_DEP_2)
	v_add_nc_u64_e32 v[18:19], 1, v[18:19]
	ds_load_b32 v24, v22
	v_add_nc_u32_e32 v22, 4, v22
	v_cmp_eq_u32_e32 vcc_lo, 1, v18
	v_cndmask_b32_e32 v23, v2, v3, vcc_lo
	v_cmp_eq_u32_e32 vcc_lo, 2, v18
	s_delay_alu instid0(VALU_DEP_2) | instskip(SKIP_1) | instid1(VALU_DEP_2)
	v_cndmask_b32_e32 v23, v23, v4, vcc_lo
	v_cmp_eq_u32_e32 vcc_lo, 3, v18
	v_cndmask_b32_e32 v23, v23, v5, vcc_lo
	v_cmp_eq_u32_e32 vcc_lo, 4, v18
	s_delay_alu instid0(VALU_DEP_2) | instskip(SKIP_1) | instid1(VALU_DEP_2)
	v_cndmask_b32_e32 v23, v23, v6, vcc_lo
	;; [unrolled: 5-line block ×6, first 2 shown]
	v_cmp_eq_u32_e32 vcc_lo, 13, v18
	v_cndmask_b32_e32 v23, v23, v15, vcc_lo
	v_cmp_eq_u32_e32 vcc_lo, 14, v18
	s_delay_alu instid0(VALU_DEP_2) | instskip(SKIP_2) | instid1(VALU_DEP_2)
	v_cndmask_b32_e32 v23, v23, v16, vcc_lo
	v_cmp_lt_u32_e32 vcc_lo, 3, v18
	s_wait_dscnt 0x0
	v_fmac_f32_e32 v17, v23, v24
	s_or_b32 s5, vcc_lo, s5
	s_delay_alu instid0(SALU_CYCLE_1)
	s_and_not1_b32 exec_lo, exec_lo, s5
	s_cbranch_execnz .LBB78_247
; %bb.248:
	s_or_b32 exec_lo, exec_lo, s5
.LBB78_249:
	s_delay_alu instid0(SALU_CYCLE_1)
	s_or_b32 exec_lo, exec_lo, s4
	v_mov_b32_e32 v7, 0
	ds_load_b32 v7, v7 offset:20
	s_wait_dscnt 0x0
	v_mul_f32_e32 v7, v17, v7
.LBB78_250:
	s_or_b32 exec_lo, exec_lo, s3
	s_delay_alu instid0(SALU_CYCLE_1)
	s_mov_b32 s3, exec_lo
	ds_store_b32 v68, v8
	s_wait_dscnt 0x0
	s_barrier_signal -1
	s_barrier_wait -1
	v_cmpx_gt_u32_e32 6, v0
	s_cbranch_execz .LBB78_260
; %bb.251:
	v_cmp_ne_u32_e32 vcc_lo, 1, v20
	s_cbranch_vccnz .LBB78_253
; %bb.252:
	v_cmp_eq_u32_e32 vcc_lo, 1, v0
	ds_load_b32 v18, v68
	v_cndmask_b32_e32 v17, v2, v3, vcc_lo
	v_cmp_eq_u32_e32 vcc_lo, 2, v0
	s_delay_alu instid0(VALU_DEP_2) | instskip(SKIP_1) | instid1(VALU_DEP_2)
	v_cndmask_b32_e32 v17, v17, v4, vcc_lo
	v_cmp_eq_u32_e32 vcc_lo, 3, v0
	v_cndmask_b32_e32 v17, v17, v5, vcc_lo
	v_cmp_eq_u32_e32 vcc_lo, 4, v0
	s_delay_alu instid0(VALU_DEP_2) | instskip(SKIP_1) | instid1(VALU_DEP_2)
	v_cndmask_b32_e32 v17, v17, v6, vcc_lo
	v_cmp_eq_u32_e32 vcc_lo, 5, v0
	v_cndmask_b32_e32 v17, v17, v7, vcc_lo
	v_cmp_eq_u32_e32 vcc_lo, 6, v0
	s_delay_alu instid0(VALU_DEP_2) | instskip(SKIP_1) | instid1(VALU_DEP_2)
	v_cndmask_b32_e32 v17, v17, v8, vcc_lo
	v_cmp_eq_u32_e32 vcc_lo, 7, v0
	v_cndmask_b32_e32 v17, v17, v9, vcc_lo
	v_cmp_eq_u32_e32 vcc_lo, 8, v0
	s_delay_alu instid0(VALU_DEP_2) | instskip(SKIP_1) | instid1(VALU_DEP_2)
	v_cndmask_b32_e32 v17, v17, v10, vcc_lo
	v_cmp_eq_u32_e32 vcc_lo, 9, v0
	v_cndmask_b32_e32 v17, v17, v11, vcc_lo
	v_cmp_eq_u32_e32 vcc_lo, 10, v0
	s_delay_alu instid0(VALU_DEP_2) | instskip(SKIP_1) | instid1(VALU_DEP_2)
	v_cndmask_b32_e32 v17, v17, v12, vcc_lo
	v_cmp_eq_u32_e32 vcc_lo, 11, v0
	v_cndmask_b32_e32 v17, v17, v13, vcc_lo
	v_cmp_eq_u32_e32 vcc_lo, 12, v0
	s_delay_alu instid0(VALU_DEP_2) | instskip(SKIP_1) | instid1(VALU_DEP_2)
	v_cndmask_b32_e32 v17, v17, v14, vcc_lo
	v_cmp_eq_u32_e32 vcc_lo, 13, v0
	v_cndmask_b32_e32 v17, v17, v15, vcc_lo
	v_cmp_eq_u32_e32 vcc_lo, 14, v0
	s_delay_alu instid0(VALU_DEP_2) | instskip(SKIP_1) | instid1(VALU_DEP_1)
	v_cndmask_b32_e32 v17, v17, v16, vcc_lo
	s_wait_dscnt 0x0
	v_mul_f32_e32 v17, v17, v18
	s_cbranch_execz .LBB78_254
	s_branch .LBB78_255
.LBB78_253:
                                        ; implicit-def: $vgpr17
.LBB78_254:
	ds_load_b32 v17, v68
.LBB78_255:
	s_mov_b32 s4, exec_lo
	v_cmpx_ne_u32_e32 5, v0
	s_cbranch_execz .LBB78_259
; %bb.256:
	v_mov_b64_e32 v[18:19], v[0:1]
	v_lshl_add_u32 v22, v0, 2, 0x44
	s_mov_b32 s5, 0
.LBB78_257:                             ; =>This Inner Loop Header: Depth=1
	s_delay_alu instid0(VALU_DEP_2)
	v_add_nc_u64_e32 v[18:19], 1, v[18:19]
	ds_load_b32 v24, v22
	v_add_nc_u32_e32 v22, 4, v22
	v_cmp_eq_u32_e32 vcc_lo, 1, v18
	v_cndmask_b32_e32 v23, v2, v3, vcc_lo
	v_cmp_eq_u32_e32 vcc_lo, 2, v18
	s_delay_alu instid0(VALU_DEP_2) | instskip(SKIP_1) | instid1(VALU_DEP_2)
	v_cndmask_b32_e32 v23, v23, v4, vcc_lo
	v_cmp_eq_u32_e32 vcc_lo, 3, v18
	v_cndmask_b32_e32 v23, v23, v5, vcc_lo
	v_cmp_eq_u32_e32 vcc_lo, 4, v18
	s_delay_alu instid0(VALU_DEP_2) | instskip(SKIP_1) | instid1(VALU_DEP_2)
	v_cndmask_b32_e32 v23, v23, v6, vcc_lo
	;; [unrolled: 5-line block ×6, first 2 shown]
	v_cmp_eq_u32_e32 vcc_lo, 13, v18
	v_cndmask_b32_e32 v23, v23, v15, vcc_lo
	v_cmp_eq_u32_e32 vcc_lo, 14, v18
	s_delay_alu instid0(VALU_DEP_2) | instskip(SKIP_2) | instid1(VALU_DEP_2)
	v_cndmask_b32_e32 v23, v23, v16, vcc_lo
	v_cmp_lt_u32_e32 vcc_lo, 4, v18
	s_wait_dscnt 0x0
	v_fmac_f32_e32 v17, v23, v24
	s_or_b32 s5, vcc_lo, s5
	s_delay_alu instid0(SALU_CYCLE_1)
	s_and_not1_b32 exec_lo, exec_lo, s5
	s_cbranch_execnz .LBB78_257
; %bb.258:
	s_or_b32 exec_lo, exec_lo, s5
.LBB78_259:
	s_delay_alu instid0(SALU_CYCLE_1)
	s_or_b32 exec_lo, exec_lo, s4
	v_mov_b32_e32 v8, 0
	ds_load_b32 v8, v8 offset:24
	s_wait_dscnt 0x0
	v_mul_f32_e32 v8, v17, v8
.LBB78_260:
	s_or_b32 exec_lo, exec_lo, s3
	v_cmp_gt_u32_e64 s3, 7, v0
	ds_store_b32 v68, v9
	s_wait_dscnt 0x0
	s_barrier_signal -1
	s_barrier_wait -1
	s_and_saveexec_b32 s4, s3
	s_cbranch_execz .LBB78_270
; %bb.261:
	v_cmp_ne_u32_e32 vcc_lo, 1, v20
	s_cbranch_vccnz .LBB78_263
; %bb.262:
	v_cmp_eq_u32_e32 vcc_lo, 1, v0
	ds_load_b32 v18, v68
	v_cndmask_b32_e32 v17, v2, v3, vcc_lo
	v_cmp_eq_u32_e32 vcc_lo, 2, v0
	s_delay_alu instid0(VALU_DEP_2) | instskip(SKIP_1) | instid1(VALU_DEP_2)
	v_cndmask_b32_e32 v17, v17, v4, vcc_lo
	v_cmp_eq_u32_e32 vcc_lo, 3, v0
	v_cndmask_b32_e32 v17, v17, v5, vcc_lo
	v_cmp_eq_u32_e32 vcc_lo, 4, v0
	s_delay_alu instid0(VALU_DEP_2) | instskip(SKIP_1) | instid1(VALU_DEP_2)
	v_cndmask_b32_e32 v17, v17, v6, vcc_lo
	v_cmp_eq_u32_e32 vcc_lo, 5, v0
	;; [unrolled: 5-line block ×6, first 2 shown]
	v_cndmask_b32_e32 v17, v17, v15, vcc_lo
	v_cmp_eq_u32_e32 vcc_lo, 14, v0
	s_delay_alu instid0(VALU_DEP_2) | instskip(SKIP_1) | instid1(VALU_DEP_1)
	v_cndmask_b32_e32 v17, v17, v16, vcc_lo
	s_wait_dscnt 0x0
	v_mul_f32_e32 v17, v17, v18
	s_cbranch_execz .LBB78_264
	s_branch .LBB78_265
.LBB78_263:
                                        ; implicit-def: $vgpr17
.LBB78_264:
	ds_load_b32 v17, v68
.LBB78_265:
	s_mov_b32 s5, exec_lo
	v_cmpx_ne_u32_e32 6, v0
	s_cbranch_execz .LBB78_269
; %bb.266:
	v_mov_b64_e32 v[18:19], v[0:1]
	v_lshl_add_u32 v22, v0, 2, 0x44
	s_mov_b32 s6, 0
.LBB78_267:                             ; =>This Inner Loop Header: Depth=1
	s_delay_alu instid0(VALU_DEP_2)
	v_add_nc_u64_e32 v[18:19], 1, v[18:19]
	ds_load_b32 v24, v22
	v_add_nc_u32_e32 v22, 4, v22
	v_cmp_eq_u32_e32 vcc_lo, 1, v18
	v_cndmask_b32_e32 v23, v2, v3, vcc_lo
	v_cmp_eq_u32_e32 vcc_lo, 2, v18
	s_delay_alu instid0(VALU_DEP_2) | instskip(SKIP_1) | instid1(VALU_DEP_2)
	v_cndmask_b32_e32 v23, v23, v4, vcc_lo
	v_cmp_eq_u32_e32 vcc_lo, 3, v18
	v_cndmask_b32_e32 v23, v23, v5, vcc_lo
	v_cmp_eq_u32_e32 vcc_lo, 4, v18
	s_delay_alu instid0(VALU_DEP_2) | instskip(SKIP_1) | instid1(VALU_DEP_2)
	v_cndmask_b32_e32 v23, v23, v6, vcc_lo
	;; [unrolled: 5-line block ×6, first 2 shown]
	v_cmp_eq_u32_e32 vcc_lo, 13, v18
	v_cndmask_b32_e32 v23, v23, v15, vcc_lo
	v_cmp_eq_u32_e32 vcc_lo, 14, v18
	s_delay_alu instid0(VALU_DEP_2) | instskip(SKIP_2) | instid1(VALU_DEP_2)
	v_cndmask_b32_e32 v23, v23, v16, vcc_lo
	v_cmp_lt_u32_e32 vcc_lo, 5, v18
	s_wait_dscnt 0x0
	v_fmac_f32_e32 v17, v23, v24
	s_or_b32 s6, vcc_lo, s6
	s_delay_alu instid0(SALU_CYCLE_1)
	s_and_not1_b32 exec_lo, exec_lo, s6
	s_cbranch_execnz .LBB78_267
; %bb.268:
	s_or_b32 exec_lo, exec_lo, s6
.LBB78_269:
	s_delay_alu instid0(SALU_CYCLE_1)
	s_or_b32 exec_lo, exec_lo, s5
	v_mov_b32_e32 v9, 0
	ds_load_b32 v9, v9 offset:28
	s_wait_dscnt 0x0
	v_mul_f32_e32 v9, v17, v9
.LBB78_270:
	s_or_b32 exec_lo, exec_lo, s4
	s_delay_alu instid0(SALU_CYCLE_1)
	s_mov_b32 s4, exec_lo
	ds_store_b32 v68, v10
	s_wait_dscnt 0x0
	s_barrier_signal -1
	s_barrier_wait -1
	v_cmpx_gt_u32_e32 8, v0
	s_cbranch_execz .LBB78_280
; %bb.271:
	v_cmp_ne_u32_e32 vcc_lo, 1, v20
	s_cbranch_vccnz .LBB78_273
; %bb.272:
	v_cmp_eq_u32_e32 vcc_lo, 1, v0
	ds_load_b32 v18, v68
	v_cndmask_b32_e32 v17, v2, v3, vcc_lo
	v_cmp_eq_u32_e32 vcc_lo, 2, v0
	s_delay_alu instid0(VALU_DEP_2) | instskip(SKIP_1) | instid1(VALU_DEP_2)
	v_cndmask_b32_e32 v17, v17, v4, vcc_lo
	v_cmp_eq_u32_e32 vcc_lo, 3, v0
	v_cndmask_b32_e32 v17, v17, v5, vcc_lo
	v_cmp_eq_u32_e32 vcc_lo, 4, v0
	s_delay_alu instid0(VALU_DEP_2) | instskip(SKIP_1) | instid1(VALU_DEP_2)
	v_cndmask_b32_e32 v17, v17, v6, vcc_lo
	v_cmp_eq_u32_e32 vcc_lo, 5, v0
	;; [unrolled: 5-line block ×6, first 2 shown]
	v_cndmask_b32_e32 v17, v17, v15, vcc_lo
	v_cmp_eq_u32_e32 vcc_lo, 14, v0
	s_delay_alu instid0(VALU_DEP_2) | instskip(SKIP_1) | instid1(VALU_DEP_1)
	v_cndmask_b32_e32 v17, v17, v16, vcc_lo
	s_wait_dscnt 0x0
	v_mul_f32_e32 v17, v17, v18
	s_cbranch_execz .LBB78_274
	s_branch .LBB78_275
.LBB78_273:
                                        ; implicit-def: $vgpr17
.LBB78_274:
	ds_load_b32 v17, v68
.LBB78_275:
	s_mov_b32 s5, exec_lo
	v_cmpx_ne_u32_e32 7, v0
	s_cbranch_execz .LBB78_279
; %bb.276:
	v_mov_b64_e32 v[18:19], v[0:1]
	v_lshl_add_u32 v22, v0, 2, 0x44
	s_mov_b32 s6, 0
.LBB78_277:                             ; =>This Inner Loop Header: Depth=1
	s_delay_alu instid0(VALU_DEP_2)
	v_add_nc_u64_e32 v[18:19], 1, v[18:19]
	ds_load_b32 v24, v22
	v_add_nc_u32_e32 v22, 4, v22
	v_cmp_eq_u32_e32 vcc_lo, 1, v18
	v_cndmask_b32_e32 v23, v2, v3, vcc_lo
	v_cmp_eq_u32_e32 vcc_lo, 2, v18
	s_delay_alu instid0(VALU_DEP_2) | instskip(SKIP_1) | instid1(VALU_DEP_2)
	v_cndmask_b32_e32 v23, v23, v4, vcc_lo
	v_cmp_eq_u32_e32 vcc_lo, 3, v18
	v_cndmask_b32_e32 v23, v23, v5, vcc_lo
	v_cmp_eq_u32_e32 vcc_lo, 4, v18
	s_delay_alu instid0(VALU_DEP_2) | instskip(SKIP_1) | instid1(VALU_DEP_2)
	v_cndmask_b32_e32 v23, v23, v6, vcc_lo
	;; [unrolled: 5-line block ×6, first 2 shown]
	v_cmp_eq_u32_e32 vcc_lo, 13, v18
	v_cndmask_b32_e32 v23, v23, v15, vcc_lo
	v_cmp_eq_u32_e32 vcc_lo, 14, v18
	s_delay_alu instid0(VALU_DEP_2) | instskip(SKIP_2) | instid1(VALU_DEP_2)
	v_cndmask_b32_e32 v23, v23, v16, vcc_lo
	v_cmp_lt_u32_e32 vcc_lo, 6, v18
	s_wait_dscnt 0x0
	v_fmac_f32_e32 v17, v23, v24
	s_or_b32 s6, vcc_lo, s6
	s_delay_alu instid0(SALU_CYCLE_1)
	s_and_not1_b32 exec_lo, exec_lo, s6
	s_cbranch_execnz .LBB78_277
; %bb.278:
	s_or_b32 exec_lo, exec_lo, s6
.LBB78_279:
	s_delay_alu instid0(SALU_CYCLE_1)
	s_or_b32 exec_lo, exec_lo, s5
	v_mov_b32_e32 v10, 0
	ds_load_b32 v10, v10 offset:32
	s_wait_dscnt 0x0
	v_mul_f32_e32 v10, v17, v10
.LBB78_280:
	s_or_b32 exec_lo, exec_lo, s4
	s_delay_alu instid0(SALU_CYCLE_1)
	s_mov_b32 s4, exec_lo
	ds_store_b32 v68, v11
	s_wait_dscnt 0x0
	s_barrier_signal -1
	s_barrier_wait -1
	v_cmpx_gt_u32_e32 9, v0
	s_cbranch_execz .LBB78_302
; %bb.281:
	v_cmp_ne_u32_e32 vcc_lo, 1, v20
	s_cbranch_vccnz .LBB78_283
; %bb.282:
	v_cmp_eq_u32_e32 vcc_lo, 1, v0
	ds_load_b32 v18, v68
	v_cndmask_b32_e32 v17, v2, v3, vcc_lo
	v_cmp_eq_u32_e32 vcc_lo, 2, v0
	s_delay_alu instid0(VALU_DEP_2) | instskip(SKIP_1) | instid1(VALU_DEP_2)
	v_cndmask_b32_e32 v17, v17, v4, vcc_lo
	v_cmp_eq_u32_e32 vcc_lo, 3, v0
	v_cndmask_b32_e32 v17, v17, v5, vcc_lo
	v_cmp_eq_u32_e32 vcc_lo, 4, v0
	s_delay_alu instid0(VALU_DEP_2) | instskip(SKIP_1) | instid1(VALU_DEP_2)
	v_cndmask_b32_e32 v17, v17, v6, vcc_lo
	v_cmp_eq_u32_e32 vcc_lo, 5, v0
	;; [unrolled: 5-line block ×6, first 2 shown]
	v_cndmask_b32_e32 v17, v17, v15, vcc_lo
	v_cmp_eq_u32_e32 vcc_lo, 14, v0
	s_delay_alu instid0(VALU_DEP_2) | instskip(SKIP_1) | instid1(VALU_DEP_1)
	v_cndmask_b32_e32 v17, v17, v16, vcc_lo
	s_wait_dscnt 0x0
	v_mul_f32_e32 v17, v17, v18
	s_cbranch_execz .LBB78_284
	s_branch .LBB78_285
.LBB78_283:
                                        ; implicit-def: $vgpr17
.LBB78_284:
	ds_load_b32 v17, v68
.LBB78_285:
	s_mov_b32 s5, exec_lo
	v_cmpx_ne_u32_e32 8, v0
	s_cbranch_execz .LBB78_301
; %bb.286:
	v_cmp_eq_u32_e32 vcc_lo, 1, v21
	ds_load_b32 v19, v68 offset:4
	v_cndmask_b32_e32 v18, v2, v3, vcc_lo
	v_cmp_eq_u32_e32 vcc_lo, 2, v21
	s_delay_alu instid0(VALU_DEP_2) | instskip(SKIP_1) | instid1(VALU_DEP_2)
	v_cndmask_b32_e32 v18, v18, v4, vcc_lo
	v_cmp_eq_u32_e32 vcc_lo, 3, v21
	v_cndmask_b32_e32 v18, v18, v5, vcc_lo
	v_cmp_eq_u32_e32 vcc_lo, 4, v21
	s_delay_alu instid0(VALU_DEP_2) | instskip(SKIP_1) | instid1(VALU_DEP_2)
	v_cndmask_b32_e32 v18, v18, v6, vcc_lo
	v_cmp_eq_u32_e32 vcc_lo, 5, v21
	;; [unrolled: 5-line block ×6, first 2 shown]
	v_cndmask_b32_e32 v18, v18, v15, vcc_lo
	v_cmp_eq_u32_e32 vcc_lo, 14, v21
	s_delay_alu instid0(VALU_DEP_2) | instskip(SKIP_1) | instid1(VALU_DEP_1)
	v_cndmask_b32_e32 v18, v18, v16, vcc_lo
	s_wait_dscnt 0x0
	v_fmac_f32_e32 v17, v18, v19
	s_and_saveexec_b32 s6, s3
	s_cbranch_execz .LBB78_300
; %bb.287:
	v_add_nc_u32_e32 v18, 2, v0
	ds_load_b32 v21, v68 offset:8
	s_mov_b32 s3, exec_lo
	v_cmp_eq_u32_e32 vcc_lo, 1, v18
	v_cndmask_b32_e32 v19, v2, v3, vcc_lo
	v_cmp_eq_u32_e32 vcc_lo, 2, v18
	s_delay_alu instid0(VALU_DEP_2) | instskip(SKIP_1) | instid1(VALU_DEP_2)
	v_cndmask_b32_e32 v19, v19, v4, vcc_lo
	v_cmp_eq_u32_e32 vcc_lo, 3, v18
	v_cndmask_b32_e32 v19, v19, v5, vcc_lo
	v_cmp_eq_u32_e32 vcc_lo, 4, v18
	s_delay_alu instid0(VALU_DEP_2) | instskip(SKIP_1) | instid1(VALU_DEP_2)
	v_cndmask_b32_e32 v19, v19, v6, vcc_lo
	;; [unrolled: 5-line block ×6, first 2 shown]
	v_cmp_eq_u32_e32 vcc_lo, 13, v18
	v_cndmask_b32_e32 v19, v19, v15, vcc_lo
	v_cmp_eq_u32_e32 vcc_lo, 14, v18
	s_delay_alu instid0(VALU_DEP_2) | instskip(SKIP_1) | instid1(VALU_DEP_1)
	v_cndmask_b32_e32 v18, v19, v16, vcc_lo
	s_wait_dscnt 0x0
	v_fmac_f32_e32 v17, v18, v21
	v_cmpx_ne_u32_e32 6, v0
	s_cbranch_execz .LBB78_299
; %bb.288:
	v_add_nc_u32_e32 v18, 3, v0
	ds_load_b32 v21, v68 offset:12
	v_cmp_eq_u32_e32 vcc_lo, 1, v18
	v_cndmask_b32_e32 v19, v2, v3, vcc_lo
	v_cmp_eq_u32_e32 vcc_lo, 2, v18
	s_delay_alu instid0(VALU_DEP_2) | instskip(SKIP_1) | instid1(VALU_DEP_2)
	v_cndmask_b32_e32 v19, v19, v4, vcc_lo
	v_cmp_eq_u32_e32 vcc_lo, 3, v18
	v_cndmask_b32_e32 v19, v19, v5, vcc_lo
	v_cmp_eq_u32_e32 vcc_lo, 4, v18
	s_delay_alu instid0(VALU_DEP_2) | instskip(SKIP_1) | instid1(VALU_DEP_2)
	v_cndmask_b32_e32 v19, v19, v6, vcc_lo
	;; [unrolled: 5-line block ×6, first 2 shown]
	v_cmp_eq_u32_e32 vcc_lo, 13, v18
	v_cndmask_b32_e32 v19, v19, v15, vcc_lo
	v_cmp_eq_u32_e32 vcc_lo, 14, v18
	s_delay_alu instid0(VALU_DEP_2) | instskip(SKIP_1) | instid1(VALU_DEP_1)
	v_cndmask_b32_e32 v18, v19, v16, vcc_lo
	s_wait_dscnt 0x0
	v_fmac_f32_e32 v17, v18, v21
	s_and_saveexec_b32 s7, s2
	s_cbranch_execz .LBB78_298
; %bb.289:
	v_add_nc_u32_e32 v18, 4, v0
	ds_load_b32 v21, v68 offset:16
	s_mov_b32 s2, exec_lo
	v_cmp_eq_u32_e32 vcc_lo, 1, v18
	v_cndmask_b32_e32 v19, v2, v3, vcc_lo
	v_cmp_eq_u32_e32 vcc_lo, 2, v18
	s_delay_alu instid0(VALU_DEP_2) | instskip(SKIP_1) | instid1(VALU_DEP_2)
	v_cndmask_b32_e32 v19, v19, v4, vcc_lo
	v_cmp_eq_u32_e32 vcc_lo, 3, v18
	v_cndmask_b32_e32 v19, v19, v5, vcc_lo
	v_cmp_eq_u32_e32 vcc_lo, 4, v18
	s_delay_alu instid0(VALU_DEP_2) | instskip(SKIP_1) | instid1(VALU_DEP_2)
	v_cndmask_b32_e32 v19, v19, v6, vcc_lo
	;; [unrolled: 5-line block ×6, first 2 shown]
	v_cmp_eq_u32_e32 vcc_lo, 13, v18
	v_cndmask_b32_e32 v19, v19, v15, vcc_lo
	v_cmp_eq_u32_e32 vcc_lo, 14, v18
	s_delay_alu instid0(VALU_DEP_2) | instskip(SKIP_1) | instid1(VALU_DEP_1)
	v_cndmask_b32_e32 v18, v19, v16, vcc_lo
	s_wait_dscnt 0x0
	v_fmac_f32_e32 v17, v18, v21
	v_cmpx_ne_u32_e32 4, v0
	s_cbranch_execz .LBB78_297
; %bb.290:
	v_add_nc_u32_e32 v18, 5, v0
	ds_load_b32 v21, v68 offset:20
	v_cmp_eq_u32_e32 vcc_lo, 1, v18
	v_cndmask_b32_e32 v19, v2, v3, vcc_lo
	v_cmp_eq_u32_e32 vcc_lo, 2, v18
	s_delay_alu instid0(VALU_DEP_2) | instskip(SKIP_1) | instid1(VALU_DEP_2)
	v_cndmask_b32_e32 v19, v19, v4, vcc_lo
	v_cmp_eq_u32_e32 vcc_lo, 3, v18
	v_cndmask_b32_e32 v19, v19, v5, vcc_lo
	v_cmp_eq_u32_e32 vcc_lo, 4, v18
	s_delay_alu instid0(VALU_DEP_2) | instskip(SKIP_1) | instid1(VALU_DEP_2)
	v_cndmask_b32_e32 v19, v19, v6, vcc_lo
	;; [unrolled: 5-line block ×6, first 2 shown]
	v_cmp_eq_u32_e32 vcc_lo, 13, v18
	v_cndmask_b32_e32 v19, v19, v15, vcc_lo
	v_cmp_eq_u32_e32 vcc_lo, 14, v18
	s_delay_alu instid0(VALU_DEP_2) | instskip(SKIP_1) | instid1(VALU_DEP_1)
	v_cndmask_b32_e32 v18, v19, v16, vcc_lo
	s_wait_dscnt 0x0
	v_fmac_f32_e32 v17, v18, v21
	s_and_saveexec_b32 s8, s1
	s_cbranch_execz .LBB78_296
; %bb.291:
	v_add_nc_u32_e32 v18, 6, v0
	ds_load_b32 v21, v68 offset:24
	s_mov_b32 s1, exec_lo
	v_cmp_eq_u32_e32 vcc_lo, 1, v18
	v_cndmask_b32_e32 v19, v2, v3, vcc_lo
	v_cmp_eq_u32_e32 vcc_lo, 2, v18
	s_delay_alu instid0(VALU_DEP_2) | instskip(SKIP_1) | instid1(VALU_DEP_2)
	v_cndmask_b32_e32 v19, v19, v4, vcc_lo
	v_cmp_eq_u32_e32 vcc_lo, 3, v18
	v_cndmask_b32_e32 v19, v19, v5, vcc_lo
	v_cmp_eq_u32_e32 vcc_lo, 4, v18
	s_delay_alu instid0(VALU_DEP_2) | instskip(SKIP_1) | instid1(VALU_DEP_2)
	v_cndmask_b32_e32 v19, v19, v6, vcc_lo
	;; [unrolled: 5-line block ×6, first 2 shown]
	v_cmp_eq_u32_e32 vcc_lo, 13, v18
	v_cndmask_b32_e32 v19, v19, v15, vcc_lo
	v_cmp_eq_u32_e32 vcc_lo, 14, v18
	s_delay_alu instid0(VALU_DEP_2) | instskip(SKIP_1) | instid1(VALU_DEP_1)
	v_cndmask_b32_e32 v18, v19, v16, vcc_lo
	s_wait_dscnt 0x0
	v_fmac_f32_e32 v17, v18, v21
	v_cmpx_ne_u32_e32 2, v0
	s_cbranch_execz .LBB78_295
; %bb.292:
	v_add_nc_u32_e32 v18, 7, v0
	s_delay_alu instid0(VALU_DEP_1) | instskip(SKIP_2) | instid1(VALU_DEP_2)
	v_cmp_eq_u32_e32 vcc_lo, 1, v18
	v_cndmask_b32_e32 v19, v2, v3, vcc_lo
	v_cmp_eq_u32_e32 vcc_lo, 2, v18
	v_cndmask_b32_e32 v19, v19, v4, vcc_lo
	v_cmp_eq_u32_e32 vcc_lo, 3, v18
	s_delay_alu instid0(VALU_DEP_2) | instskip(SKIP_1) | instid1(VALU_DEP_2)
	v_cndmask_b32_e32 v19, v19, v5, vcc_lo
	v_cmp_eq_u32_e32 vcc_lo, 4, v18
	v_cndmask_b32_e32 v19, v19, v6, vcc_lo
	v_cmp_eq_u32_e32 vcc_lo, 5, v18
	s_delay_alu instid0(VALU_DEP_2) | instskip(SKIP_1) | instid1(VALU_DEP_2)
	;; [unrolled: 5-line block ×3, first 2 shown]
	v_cndmask_b32_e32 v19, v19, v9, vcc_lo
	v_cmp_eq_u32_e32 vcc_lo, 8, v18
	v_cndmask_b32_e32 v19, v19, v10, vcc_lo
	v_cmp_eq_u32_e32 vcc_lo, 9, v18
	s_delay_alu instid0(VALU_DEP_2) | instskip(SKIP_4) | instid1(VALU_DEP_2)
	v_cndmask_b32_e32 v11, v19, v11, vcc_lo
	v_cmp_eq_u32_e32 vcc_lo, 10, v18
	ds_load_b32 v19, v68 offset:28
	v_cndmask_b32_e32 v11, v11, v12, vcc_lo
	v_cmp_eq_u32_e32 vcc_lo, 11, v18
	v_cndmask_b32_e32 v11, v11, v13, vcc_lo
	v_cmp_eq_u32_e32 vcc_lo, 12, v18
	s_delay_alu instid0(VALU_DEP_2) | instskip(SKIP_1) | instid1(VALU_DEP_2)
	v_cndmask_b32_e32 v11, v11, v14, vcc_lo
	v_cmp_eq_u32_e32 vcc_lo, 13, v18
	v_cndmask_b32_e32 v11, v11, v15, vcc_lo
	v_cmp_eq_u32_e32 vcc_lo, 14, v18
	s_delay_alu instid0(VALU_DEP_2) | instskip(SKIP_1) | instid1(VALU_DEP_1)
	v_cndmask_b32_e32 v11, v11, v16, vcc_lo
	s_wait_dscnt 0x0
	v_fmac_f32_e32 v17, v11, v19
	s_and_saveexec_b32 s9, s0
	s_cbranch_execz .LBB78_294
; %bb.293:
	ds_load_b32 v11, v68 offset:32
	s_wait_dscnt 0x0
	v_fmac_f32_e32 v17, v10, v11
.LBB78_294:
	s_or_b32 exec_lo, exec_lo, s9
.LBB78_295:
	s_delay_alu instid0(SALU_CYCLE_1)
	s_or_b32 exec_lo, exec_lo, s1
.LBB78_296:
	s_delay_alu instid0(SALU_CYCLE_1)
	s_or_b32 exec_lo, exec_lo, s8
.LBB78_297:
	s_delay_alu instid0(SALU_CYCLE_1)
	s_or_b32 exec_lo, exec_lo, s2
.LBB78_298:
	s_delay_alu instid0(SALU_CYCLE_1)
	s_or_b32 exec_lo, exec_lo, s7
.LBB78_299:
	s_delay_alu instid0(SALU_CYCLE_1)
	s_or_b32 exec_lo, exec_lo, s3
.LBB78_300:
	s_delay_alu instid0(SALU_CYCLE_1)
	s_or_b32 exec_lo, exec_lo, s6
.LBB78_301:
	s_delay_alu instid0(SALU_CYCLE_1)
	s_or_b32 exec_lo, exec_lo, s5
	v_mov_b32_e32 v11, 0
	ds_load_b32 v11, v11 offset:36
	s_wait_dscnt 0x0
	v_mul_f32_e32 v11, v17, v11
.LBB78_302:
	s_or_b32 exec_lo, exec_lo, s4
	s_delay_alu instid0(SALU_CYCLE_1)
	s_mov_b32 s0, exec_lo
	ds_store_b32 v68, v12
	s_wait_dscnt 0x0
	s_barrier_signal -1
	s_barrier_wait -1
	v_cmpx_gt_u32_e32 10, v0
	s_cbranch_execz .LBB78_312
; %bb.303:
	v_cmp_ne_u32_e32 vcc_lo, 1, v20
	s_cbranch_vccnz .LBB78_305
; %bb.304:
	v_cmp_eq_u32_e32 vcc_lo, 1, v0
	ds_load_b32 v18, v68
	v_cndmask_b32_e32 v17, v2, v3, vcc_lo
	v_cmp_eq_u32_e32 vcc_lo, 2, v0
	s_delay_alu instid0(VALU_DEP_2) | instskip(SKIP_1) | instid1(VALU_DEP_2)
	v_cndmask_b32_e32 v17, v17, v4, vcc_lo
	v_cmp_eq_u32_e32 vcc_lo, 3, v0
	v_cndmask_b32_e32 v17, v17, v5, vcc_lo
	v_cmp_eq_u32_e32 vcc_lo, 4, v0
	s_delay_alu instid0(VALU_DEP_2) | instskip(SKIP_1) | instid1(VALU_DEP_2)
	v_cndmask_b32_e32 v17, v17, v6, vcc_lo
	v_cmp_eq_u32_e32 vcc_lo, 5, v0
	v_cndmask_b32_e32 v17, v17, v7, vcc_lo
	v_cmp_eq_u32_e32 vcc_lo, 6, v0
	s_delay_alu instid0(VALU_DEP_2) | instskip(SKIP_1) | instid1(VALU_DEP_2)
	v_cndmask_b32_e32 v17, v17, v8, vcc_lo
	v_cmp_eq_u32_e32 vcc_lo, 7, v0
	v_cndmask_b32_e32 v17, v17, v9, vcc_lo
	v_cmp_eq_u32_e32 vcc_lo, 8, v0
	s_delay_alu instid0(VALU_DEP_2) | instskip(SKIP_1) | instid1(VALU_DEP_2)
	v_cndmask_b32_e32 v17, v17, v10, vcc_lo
	v_cmp_eq_u32_e32 vcc_lo, 9, v0
	v_cndmask_b32_e32 v17, v17, v11, vcc_lo
	v_cmp_eq_u32_e32 vcc_lo, 10, v0
	s_delay_alu instid0(VALU_DEP_2) | instskip(SKIP_1) | instid1(VALU_DEP_2)
	v_cndmask_b32_e32 v17, v17, v12, vcc_lo
	v_cmp_eq_u32_e32 vcc_lo, 11, v0
	v_cndmask_b32_e32 v17, v17, v13, vcc_lo
	v_cmp_eq_u32_e32 vcc_lo, 12, v0
	s_delay_alu instid0(VALU_DEP_2) | instskip(SKIP_1) | instid1(VALU_DEP_2)
	v_cndmask_b32_e32 v17, v17, v14, vcc_lo
	v_cmp_eq_u32_e32 vcc_lo, 13, v0
	v_cndmask_b32_e32 v17, v17, v15, vcc_lo
	v_cmp_eq_u32_e32 vcc_lo, 14, v0
	s_delay_alu instid0(VALU_DEP_2) | instskip(SKIP_1) | instid1(VALU_DEP_1)
	v_cndmask_b32_e32 v17, v17, v16, vcc_lo
	s_wait_dscnt 0x0
	v_mul_f32_e32 v17, v17, v18
	s_cbranch_execz .LBB78_306
	s_branch .LBB78_307
.LBB78_305:
                                        ; implicit-def: $vgpr17
.LBB78_306:
	ds_load_b32 v17, v68
.LBB78_307:
	s_mov_b32 s1, exec_lo
	v_cmpx_ne_u32_e32 9, v0
	s_cbranch_execz .LBB78_311
; %bb.308:
	v_mov_b64_e32 v[18:19], v[0:1]
	v_lshl_add_u32 v21, v0, 2, 0x44
	s_mov_b32 s2, 0
.LBB78_309:                             ; =>This Inner Loop Header: Depth=1
	s_delay_alu instid0(VALU_DEP_2)
	v_add_nc_u64_e32 v[18:19], 1, v[18:19]
	ds_load_b32 v23, v21
	v_add_nc_u32_e32 v21, 4, v21
	v_cmp_eq_u32_e32 vcc_lo, 1, v18
	v_cndmask_b32_e32 v22, v2, v3, vcc_lo
	v_cmp_eq_u32_e32 vcc_lo, 2, v18
	s_delay_alu instid0(VALU_DEP_2) | instskip(SKIP_1) | instid1(VALU_DEP_2)
	v_cndmask_b32_e32 v22, v22, v4, vcc_lo
	v_cmp_eq_u32_e32 vcc_lo, 3, v18
	v_cndmask_b32_e32 v22, v22, v5, vcc_lo
	v_cmp_eq_u32_e32 vcc_lo, 4, v18
	s_delay_alu instid0(VALU_DEP_2) | instskip(SKIP_1) | instid1(VALU_DEP_2)
	v_cndmask_b32_e32 v22, v22, v6, vcc_lo
	v_cmp_eq_u32_e32 vcc_lo, 5, v18
	v_cndmask_b32_e32 v22, v22, v7, vcc_lo
	v_cmp_eq_u32_e32 vcc_lo, 6, v18
	s_delay_alu instid0(VALU_DEP_2) | instskip(SKIP_1) | instid1(VALU_DEP_2)
	v_cndmask_b32_e32 v22, v22, v8, vcc_lo
	v_cmp_eq_u32_e32 vcc_lo, 7, v18
	v_cndmask_b32_e32 v22, v22, v9, vcc_lo
	v_cmp_eq_u32_e32 vcc_lo, 8, v18
	s_delay_alu instid0(VALU_DEP_2) | instskip(SKIP_1) | instid1(VALU_DEP_2)
	v_cndmask_b32_e32 v22, v22, v10, vcc_lo
	v_cmp_eq_u32_e32 vcc_lo, 9, v18
	v_cndmask_b32_e32 v22, v22, v11, vcc_lo
	v_cmp_eq_u32_e32 vcc_lo, 10, v18
	s_delay_alu instid0(VALU_DEP_2) | instskip(SKIP_1) | instid1(VALU_DEP_2)
	v_cndmask_b32_e32 v22, v22, v12, vcc_lo
	v_cmp_eq_u32_e32 vcc_lo, 11, v18
	v_cndmask_b32_e32 v22, v22, v13, vcc_lo
	v_cmp_eq_u32_e32 vcc_lo, 12, v18
	s_delay_alu instid0(VALU_DEP_2) | instskip(SKIP_1) | instid1(VALU_DEP_2)
	v_cndmask_b32_e32 v22, v22, v14, vcc_lo
	v_cmp_eq_u32_e32 vcc_lo, 13, v18
	v_cndmask_b32_e32 v22, v22, v15, vcc_lo
	v_cmp_eq_u32_e32 vcc_lo, 14, v18
	s_delay_alu instid0(VALU_DEP_2) | instskip(SKIP_2) | instid1(VALU_DEP_2)
	v_cndmask_b32_e32 v22, v22, v16, vcc_lo
	v_cmp_lt_u32_e32 vcc_lo, 8, v18
	s_wait_dscnt 0x0
	v_fmac_f32_e32 v17, v22, v23
	s_or_b32 s2, vcc_lo, s2
	s_delay_alu instid0(SALU_CYCLE_1)
	s_and_not1_b32 exec_lo, exec_lo, s2
	s_cbranch_execnz .LBB78_309
; %bb.310:
	s_or_b32 exec_lo, exec_lo, s2
.LBB78_311:
	s_delay_alu instid0(SALU_CYCLE_1)
	s_or_b32 exec_lo, exec_lo, s1
	v_mov_b32_e32 v12, 0
	ds_load_b32 v12, v12 offset:40
	s_wait_dscnt 0x0
	v_mul_f32_e32 v12, v17, v12
.LBB78_312:
	s_or_b32 exec_lo, exec_lo, s0
	s_delay_alu instid0(SALU_CYCLE_1)
	s_mov_b32 s0, exec_lo
	ds_store_b32 v68, v13
	s_wait_dscnt 0x0
	s_barrier_signal -1
	s_barrier_wait -1
	v_cmpx_gt_u32_e32 11, v0
	s_cbranch_execz .LBB78_322
; %bb.313:
	v_cmp_ne_u32_e32 vcc_lo, 1, v20
	s_cbranch_vccnz .LBB78_315
; %bb.314:
	v_cmp_eq_u32_e32 vcc_lo, 1, v0
	ds_load_b32 v18, v68
	v_cndmask_b32_e32 v17, v2, v3, vcc_lo
	v_cmp_eq_u32_e32 vcc_lo, 2, v0
	s_delay_alu instid0(VALU_DEP_2) | instskip(SKIP_1) | instid1(VALU_DEP_2)
	v_cndmask_b32_e32 v17, v17, v4, vcc_lo
	v_cmp_eq_u32_e32 vcc_lo, 3, v0
	v_cndmask_b32_e32 v17, v17, v5, vcc_lo
	v_cmp_eq_u32_e32 vcc_lo, 4, v0
	s_delay_alu instid0(VALU_DEP_2) | instskip(SKIP_1) | instid1(VALU_DEP_2)
	v_cndmask_b32_e32 v17, v17, v6, vcc_lo
	v_cmp_eq_u32_e32 vcc_lo, 5, v0
	;; [unrolled: 5-line block ×6, first 2 shown]
	v_cndmask_b32_e32 v17, v17, v15, vcc_lo
	v_cmp_eq_u32_e32 vcc_lo, 14, v0
	s_delay_alu instid0(VALU_DEP_2) | instskip(SKIP_1) | instid1(VALU_DEP_1)
	v_cndmask_b32_e32 v17, v17, v16, vcc_lo
	s_wait_dscnt 0x0
	v_mul_f32_e32 v17, v17, v18
	s_cbranch_execz .LBB78_316
	s_branch .LBB78_317
.LBB78_315:
                                        ; implicit-def: $vgpr17
.LBB78_316:
	ds_load_b32 v17, v68
.LBB78_317:
	s_mov_b32 s1, exec_lo
	v_cmpx_ne_u32_e32 10, v0
	s_cbranch_execz .LBB78_321
; %bb.318:
	v_mov_b64_e32 v[18:19], v[0:1]
	v_lshl_add_u32 v21, v0, 2, 0x44
	s_mov_b32 s2, 0
.LBB78_319:                             ; =>This Inner Loop Header: Depth=1
	s_delay_alu instid0(VALU_DEP_2)
	v_add_nc_u64_e32 v[18:19], 1, v[18:19]
	ds_load_b32 v23, v21
	v_add_nc_u32_e32 v21, 4, v21
	v_cmp_eq_u32_e32 vcc_lo, 1, v18
	v_cndmask_b32_e32 v22, v2, v3, vcc_lo
	v_cmp_eq_u32_e32 vcc_lo, 2, v18
	s_delay_alu instid0(VALU_DEP_2) | instskip(SKIP_1) | instid1(VALU_DEP_2)
	v_cndmask_b32_e32 v22, v22, v4, vcc_lo
	v_cmp_eq_u32_e32 vcc_lo, 3, v18
	v_cndmask_b32_e32 v22, v22, v5, vcc_lo
	v_cmp_eq_u32_e32 vcc_lo, 4, v18
	s_delay_alu instid0(VALU_DEP_2) | instskip(SKIP_1) | instid1(VALU_DEP_2)
	v_cndmask_b32_e32 v22, v22, v6, vcc_lo
	;; [unrolled: 5-line block ×6, first 2 shown]
	v_cmp_eq_u32_e32 vcc_lo, 13, v18
	v_cndmask_b32_e32 v22, v22, v15, vcc_lo
	v_cmp_eq_u32_e32 vcc_lo, 14, v18
	s_delay_alu instid0(VALU_DEP_2) | instskip(SKIP_2) | instid1(VALU_DEP_2)
	v_cndmask_b32_e32 v22, v22, v16, vcc_lo
	v_cmp_lt_u32_e32 vcc_lo, 9, v18
	s_wait_dscnt 0x0
	v_fmac_f32_e32 v17, v22, v23
	s_or_b32 s2, vcc_lo, s2
	s_delay_alu instid0(SALU_CYCLE_1)
	s_and_not1_b32 exec_lo, exec_lo, s2
	s_cbranch_execnz .LBB78_319
; %bb.320:
	s_or_b32 exec_lo, exec_lo, s2
.LBB78_321:
	s_delay_alu instid0(SALU_CYCLE_1)
	s_or_b32 exec_lo, exec_lo, s1
	v_mov_b32_e32 v13, 0
	ds_load_b32 v13, v13 offset:44
	s_wait_dscnt 0x0
	v_mul_f32_e32 v13, v17, v13
.LBB78_322:
	s_or_b32 exec_lo, exec_lo, s0
	s_delay_alu instid0(SALU_CYCLE_1)
	s_mov_b32 s0, exec_lo
	ds_store_b32 v68, v14
	s_wait_dscnt 0x0
	s_barrier_signal -1
	s_barrier_wait -1
	v_cmpx_gt_u32_e32 12, v0
	s_cbranch_execz .LBB78_332
; %bb.323:
	v_cmp_ne_u32_e32 vcc_lo, 1, v20
	s_cbranch_vccnz .LBB78_325
; %bb.324:
	v_cmp_eq_u32_e32 vcc_lo, 1, v0
	ds_load_b32 v18, v68
	v_cndmask_b32_e32 v17, v2, v3, vcc_lo
	v_cmp_eq_u32_e32 vcc_lo, 2, v0
	s_delay_alu instid0(VALU_DEP_2) | instskip(SKIP_1) | instid1(VALU_DEP_2)
	v_cndmask_b32_e32 v17, v17, v4, vcc_lo
	v_cmp_eq_u32_e32 vcc_lo, 3, v0
	v_cndmask_b32_e32 v17, v17, v5, vcc_lo
	v_cmp_eq_u32_e32 vcc_lo, 4, v0
	s_delay_alu instid0(VALU_DEP_2) | instskip(SKIP_1) | instid1(VALU_DEP_2)
	v_cndmask_b32_e32 v17, v17, v6, vcc_lo
	v_cmp_eq_u32_e32 vcc_lo, 5, v0
	;; [unrolled: 5-line block ×6, first 2 shown]
	v_cndmask_b32_e32 v17, v17, v15, vcc_lo
	v_cmp_eq_u32_e32 vcc_lo, 14, v0
	s_delay_alu instid0(VALU_DEP_2) | instskip(SKIP_1) | instid1(VALU_DEP_1)
	v_cndmask_b32_e32 v17, v17, v16, vcc_lo
	s_wait_dscnt 0x0
	v_mul_f32_e32 v17, v17, v18
	s_cbranch_execz .LBB78_326
	s_branch .LBB78_327
.LBB78_325:
                                        ; implicit-def: $vgpr17
.LBB78_326:
	ds_load_b32 v17, v68
.LBB78_327:
	s_mov_b32 s1, exec_lo
	v_cmpx_ne_u32_e32 11, v0
	s_cbranch_execz .LBB78_331
; %bb.328:
	v_mov_b64_e32 v[18:19], v[0:1]
	v_lshl_add_u32 v21, v0, 2, 0x44
	s_mov_b32 s2, 0
.LBB78_329:                             ; =>This Inner Loop Header: Depth=1
	s_delay_alu instid0(VALU_DEP_2)
	v_add_nc_u64_e32 v[18:19], 1, v[18:19]
	ds_load_b32 v23, v21
	v_add_nc_u32_e32 v21, 4, v21
	v_cmp_eq_u32_e32 vcc_lo, 1, v18
	v_cndmask_b32_e32 v22, v2, v3, vcc_lo
	v_cmp_eq_u32_e32 vcc_lo, 2, v18
	s_delay_alu instid0(VALU_DEP_2) | instskip(SKIP_1) | instid1(VALU_DEP_2)
	v_cndmask_b32_e32 v22, v22, v4, vcc_lo
	v_cmp_eq_u32_e32 vcc_lo, 3, v18
	v_cndmask_b32_e32 v22, v22, v5, vcc_lo
	v_cmp_eq_u32_e32 vcc_lo, 4, v18
	s_delay_alu instid0(VALU_DEP_2) | instskip(SKIP_1) | instid1(VALU_DEP_2)
	v_cndmask_b32_e32 v22, v22, v6, vcc_lo
	;; [unrolled: 5-line block ×6, first 2 shown]
	v_cmp_eq_u32_e32 vcc_lo, 13, v18
	v_cndmask_b32_e32 v22, v22, v15, vcc_lo
	v_cmp_eq_u32_e32 vcc_lo, 14, v18
	s_delay_alu instid0(VALU_DEP_2) | instskip(SKIP_2) | instid1(VALU_DEP_2)
	v_cndmask_b32_e32 v22, v22, v16, vcc_lo
	v_cmp_lt_u32_e32 vcc_lo, 10, v18
	s_wait_dscnt 0x0
	v_fmac_f32_e32 v17, v22, v23
	s_or_b32 s2, vcc_lo, s2
	s_delay_alu instid0(SALU_CYCLE_1)
	s_and_not1_b32 exec_lo, exec_lo, s2
	s_cbranch_execnz .LBB78_329
; %bb.330:
	s_or_b32 exec_lo, exec_lo, s2
.LBB78_331:
	s_delay_alu instid0(SALU_CYCLE_1)
	s_or_b32 exec_lo, exec_lo, s1
	v_mov_b32_e32 v14, 0
	ds_load_b32 v14, v14 offset:48
	s_wait_dscnt 0x0
	v_mul_f32_e32 v14, v17, v14
.LBB78_332:
	s_or_b32 exec_lo, exec_lo, s0
	v_cmp_gt_u32_e64 s0, 13, v0
	ds_store_b32 v68, v15
	s_wait_dscnt 0x0
	s_barrier_signal -1
	s_barrier_wait -1
	s_and_saveexec_b32 s1, s0
	s_cbranch_execz .LBB78_342
; %bb.333:
	v_cmp_ne_u32_e32 vcc_lo, 1, v20
	s_cbranch_vccnz .LBB78_335
; %bb.334:
	v_cmp_eq_u32_e32 vcc_lo, 1, v0
	ds_load_b32 v18, v68
	v_cndmask_b32_e32 v17, v2, v3, vcc_lo
	v_cmp_eq_u32_e32 vcc_lo, 2, v0
	s_delay_alu instid0(VALU_DEP_2) | instskip(SKIP_1) | instid1(VALU_DEP_2)
	v_cndmask_b32_e32 v17, v17, v4, vcc_lo
	v_cmp_eq_u32_e32 vcc_lo, 3, v0
	v_cndmask_b32_e32 v17, v17, v5, vcc_lo
	v_cmp_eq_u32_e32 vcc_lo, 4, v0
	s_delay_alu instid0(VALU_DEP_2) | instskip(SKIP_1) | instid1(VALU_DEP_2)
	v_cndmask_b32_e32 v17, v17, v6, vcc_lo
	v_cmp_eq_u32_e32 vcc_lo, 5, v0
	;; [unrolled: 5-line block ×6, first 2 shown]
	v_cndmask_b32_e32 v17, v17, v15, vcc_lo
	v_cmp_eq_u32_e32 vcc_lo, 14, v0
	s_delay_alu instid0(VALU_DEP_2) | instskip(SKIP_1) | instid1(VALU_DEP_1)
	v_cndmask_b32_e32 v17, v17, v16, vcc_lo
	s_wait_dscnt 0x0
	v_mul_f32_e32 v17, v17, v18
	s_cbranch_execz .LBB78_336
	s_branch .LBB78_337
.LBB78_335:
                                        ; implicit-def: $vgpr17
.LBB78_336:
	ds_load_b32 v17, v68
.LBB78_337:
	s_mov_b32 s2, exec_lo
	v_cmpx_ne_u32_e32 12, v0
	s_cbranch_execz .LBB78_341
; %bb.338:
	v_mov_b64_e32 v[18:19], v[0:1]
	v_lshl_add_u32 v21, v0, 2, 0x44
	s_mov_b32 s3, 0
.LBB78_339:                             ; =>This Inner Loop Header: Depth=1
	s_delay_alu instid0(VALU_DEP_2)
	v_add_nc_u64_e32 v[18:19], 1, v[18:19]
	ds_load_b32 v23, v21
	v_add_nc_u32_e32 v21, 4, v21
	v_cmp_eq_u32_e32 vcc_lo, 1, v18
	v_cndmask_b32_e32 v22, v2, v3, vcc_lo
	v_cmp_eq_u32_e32 vcc_lo, 2, v18
	s_delay_alu instid0(VALU_DEP_2) | instskip(SKIP_1) | instid1(VALU_DEP_2)
	v_cndmask_b32_e32 v22, v22, v4, vcc_lo
	v_cmp_eq_u32_e32 vcc_lo, 3, v18
	v_cndmask_b32_e32 v22, v22, v5, vcc_lo
	v_cmp_eq_u32_e32 vcc_lo, 4, v18
	s_delay_alu instid0(VALU_DEP_2) | instskip(SKIP_1) | instid1(VALU_DEP_2)
	v_cndmask_b32_e32 v22, v22, v6, vcc_lo
	;; [unrolled: 5-line block ×6, first 2 shown]
	v_cmp_eq_u32_e32 vcc_lo, 13, v18
	v_cndmask_b32_e32 v22, v22, v15, vcc_lo
	v_cmp_eq_u32_e32 vcc_lo, 14, v18
	s_delay_alu instid0(VALU_DEP_2) | instskip(SKIP_2) | instid1(VALU_DEP_2)
	v_cndmask_b32_e32 v22, v22, v16, vcc_lo
	v_cmp_lt_u32_e32 vcc_lo, 11, v18
	s_wait_dscnt 0x0
	v_fmac_f32_e32 v17, v22, v23
	s_or_b32 s3, vcc_lo, s3
	s_delay_alu instid0(SALU_CYCLE_1)
	s_and_not1_b32 exec_lo, exec_lo, s3
	s_cbranch_execnz .LBB78_339
; %bb.340:
	s_or_b32 exec_lo, exec_lo, s3
.LBB78_341:
	s_delay_alu instid0(SALU_CYCLE_1)
	s_or_b32 exec_lo, exec_lo, s2
	v_mov_b32_e32 v15, 0
	ds_load_b32 v15, v15 offset:52
	s_wait_dscnt 0x0
	v_mul_f32_e32 v15, v17, v15
.LBB78_342:
	s_or_b32 exec_lo, exec_lo, s1
	s_delay_alu instid0(SALU_CYCLE_1)
	s_mov_b32 s1, exec_lo
	ds_store_b32 v68, v16
	s_wait_dscnt 0x0
	s_barrier_signal -1
	s_barrier_wait -1
	v_cmpx_ne_u32_e32 14, v0
	s_cbranch_execz .LBB78_352
; %bb.343:
	v_cmp_ne_u32_e32 vcc_lo, 1, v20
	s_cbranch_vccnz .LBB78_345
; %bb.344:
	v_cmp_eq_u32_e32 vcc_lo, 1, v0
	ds_load_b32 v18, v68
	v_cndmask_b32_e32 v17, v2, v3, vcc_lo
	v_cmp_eq_u32_e32 vcc_lo, 2, v0
	s_delay_alu instid0(VALU_DEP_2) | instskip(SKIP_1) | instid1(VALU_DEP_2)
	v_cndmask_b32_e32 v17, v17, v4, vcc_lo
	v_cmp_eq_u32_e32 vcc_lo, 3, v0
	v_cndmask_b32_e32 v17, v17, v5, vcc_lo
	v_cmp_eq_u32_e32 vcc_lo, 4, v0
	s_delay_alu instid0(VALU_DEP_2) | instskip(SKIP_1) | instid1(VALU_DEP_2)
	v_cndmask_b32_e32 v17, v17, v6, vcc_lo
	v_cmp_eq_u32_e32 vcc_lo, 5, v0
	;; [unrolled: 5-line block ×6, first 2 shown]
	v_cndmask_b32_e32 v17, v17, v15, vcc_lo
	v_cmp_eq_u32_e32 vcc_lo, 14, v0
	s_delay_alu instid0(VALU_DEP_2) | instskip(SKIP_1) | instid1(VALU_DEP_1)
	v_cndmask_b32_e32 v17, v17, v16, vcc_lo
	s_wait_dscnt 0x0
	v_mul_f32_e32 v17, v17, v18
	s_cbranch_execz .LBB78_346
	s_branch .LBB78_347
.LBB78_345:
                                        ; implicit-def: $vgpr17
.LBB78_346:
	ds_load_b32 v17, v68
.LBB78_347:
	s_and_saveexec_b32 s2, s0
	s_cbranch_execz .LBB78_351
; %bb.348:
	v_lshl_add_u32 v18, v0, 2, 0x44
	s_mov_b32 s0, 0
.LBB78_349:                             ; =>This Inner Loop Header: Depth=1
	v_add_nc_u64_e32 v[0:1], 1, v[0:1]
	ds_load_b32 v20, v18
	v_add_nc_u32_e32 v18, 4, v18
	v_cmp_eq_u32_e32 vcc_lo, 1, v0
	v_cndmask_b32_e32 v19, v2, v3, vcc_lo
	v_cmp_eq_u32_e32 vcc_lo, 2, v0
	s_delay_alu instid0(VALU_DEP_2) | instskip(SKIP_1) | instid1(VALU_DEP_2)
	v_cndmask_b32_e32 v19, v19, v4, vcc_lo
	v_cmp_eq_u32_e32 vcc_lo, 3, v0
	v_cndmask_b32_e32 v19, v19, v5, vcc_lo
	v_cmp_eq_u32_e32 vcc_lo, 4, v0
	s_delay_alu instid0(VALU_DEP_2) | instskip(SKIP_1) | instid1(VALU_DEP_2)
	v_cndmask_b32_e32 v19, v19, v6, vcc_lo
	;; [unrolled: 5-line block ×6, first 2 shown]
	v_cmp_eq_u32_e32 vcc_lo, 13, v0
	v_cndmask_b32_e32 v19, v19, v15, vcc_lo
	v_cmp_eq_u32_e32 vcc_lo, 14, v0
	s_delay_alu instid0(VALU_DEP_2) | instskip(SKIP_2) | instid1(VALU_DEP_2)
	v_cndmask_b32_e32 v19, v19, v16, vcc_lo
	v_cmp_lt_u32_e32 vcc_lo, 12, v0
	s_wait_dscnt 0x0
	v_fmac_f32_e32 v17, v19, v20
	s_or_b32 s0, vcc_lo, s0
	s_delay_alu instid0(SALU_CYCLE_1)
	s_and_not1_b32 exec_lo, exec_lo, s0
	s_cbranch_execnz .LBB78_349
; %bb.350:
	s_or_b32 exec_lo, exec_lo, s0
.LBB78_351:
	s_delay_alu instid0(SALU_CYCLE_1)
	s_or_b32 exec_lo, exec_lo, s2
	v_mov_b32_e32 v0, 0
	ds_load_b32 v0, v0 offset:56
	s_wait_dscnt 0x0
	v_mul_f32_e32 v16, v17, v0
.LBB78_352:
	s_or_b32 exec_lo, exec_lo, s1
	s_delay_alu instid0(VALU_DEP_1)
	v_mov_b64_e32 v[32:33], v[16:17]
	v_mov_b64_e32 v[30:31], v[14:15]
	;; [unrolled: 1-line block ×8, first 2 shown]
.LBB78_353:
	s_wait_xcnt 0x6
	v_lshl_add_u64 v[0:1], v[34:35], 2, s[18:19]
	s_wait_loadcnt_dscnt 0x607
	v_lshl_add_u64 v[2:3], v[36:37], 2, s[18:19]
	v_lshl_add_u64 v[4:5], v[38:39], 2, s[18:19]
	;; [unrolled: 1-line block ×4, first 2 shown]
	s_wait_loadcnt_dscnt 0x506
	v_lshl_add_u64 v[10:11], v[44:45], 2, s[18:19]
	s_wait_loadcnt_dscnt 0x304
	v_lshl_add_u64 v[12:13], v[46:47], 2, s[18:19]
	;; [unrolled: 2-line block ×4, first 2 shown]
	v_lshl_add_u64 v[34:35], v[56:57], 2, s[18:19]
	v_lshl_add_u64 v[36:37], v[58:59], 2, s[18:19]
	;; [unrolled: 1-line block ×4, first 2 shown]
	s_clause 0xe
	flat_store_b32 v[48:49], v18
	flat_store_b32 v[54:55], v19
	;; [unrolled: 1-line block ×15, first 2 shown]
.LBB78_354:
	s_sendmsg sendmsg(MSG_DEALLOC_VGPRS)
	s_endpgm
	.section	.rodata,"a",@progbits
	.p2align	6, 0x0
	.amdhsa_kernel _ZN9rocsolver6v33100L18trti2_kernel_smallILi15EfPKPfEEv13rocblas_fill_17rocblas_diagonal_T1_iil
		.amdhsa_group_segment_fixed_size 124
		.amdhsa_private_segment_fixed_size 0
		.amdhsa_kernarg_size 32
		.amdhsa_user_sgpr_count 2
		.amdhsa_user_sgpr_dispatch_ptr 0
		.amdhsa_user_sgpr_queue_ptr 0
		.amdhsa_user_sgpr_kernarg_segment_ptr 1
		.amdhsa_user_sgpr_dispatch_id 0
		.amdhsa_user_sgpr_kernarg_preload_length 0
		.amdhsa_user_sgpr_kernarg_preload_offset 0
		.amdhsa_user_sgpr_private_segment_size 0
		.amdhsa_wavefront_size32 1
		.amdhsa_uses_dynamic_stack 0
		.amdhsa_enable_private_segment 0
		.amdhsa_system_sgpr_workgroup_id_x 1
		.amdhsa_system_sgpr_workgroup_id_y 0
		.amdhsa_system_sgpr_workgroup_id_z 0
		.amdhsa_system_sgpr_workgroup_info 0
		.amdhsa_system_vgpr_workitem_id 0
		.amdhsa_next_free_vgpr 79
		.amdhsa_next_free_sgpr 20
		.amdhsa_named_barrier_count 0
		.amdhsa_reserve_vcc 1
		.amdhsa_float_round_mode_32 0
		.amdhsa_float_round_mode_16_64 0
		.amdhsa_float_denorm_mode_32 3
		.amdhsa_float_denorm_mode_16_64 3
		.amdhsa_fp16_overflow 0
		.amdhsa_memory_ordered 1
		.amdhsa_forward_progress 1
		.amdhsa_inst_pref_size 143
		.amdhsa_round_robin_scheduling 0
		.amdhsa_exception_fp_ieee_invalid_op 0
		.amdhsa_exception_fp_denorm_src 0
		.amdhsa_exception_fp_ieee_div_zero 0
		.amdhsa_exception_fp_ieee_overflow 0
		.amdhsa_exception_fp_ieee_underflow 0
		.amdhsa_exception_fp_ieee_inexact 0
		.amdhsa_exception_int_div_zero 0
	.end_amdhsa_kernel
	.section	.text._ZN9rocsolver6v33100L18trti2_kernel_smallILi15EfPKPfEEv13rocblas_fill_17rocblas_diagonal_T1_iil,"axG",@progbits,_ZN9rocsolver6v33100L18trti2_kernel_smallILi15EfPKPfEEv13rocblas_fill_17rocblas_diagonal_T1_iil,comdat
.Lfunc_end78:
	.size	_ZN9rocsolver6v33100L18trti2_kernel_smallILi15EfPKPfEEv13rocblas_fill_17rocblas_diagonal_T1_iil, .Lfunc_end78-_ZN9rocsolver6v33100L18trti2_kernel_smallILi15EfPKPfEEv13rocblas_fill_17rocblas_diagonal_T1_iil
                                        ; -- End function
	.set _ZN9rocsolver6v33100L18trti2_kernel_smallILi15EfPKPfEEv13rocblas_fill_17rocblas_diagonal_T1_iil.num_vgpr, 79
	.set _ZN9rocsolver6v33100L18trti2_kernel_smallILi15EfPKPfEEv13rocblas_fill_17rocblas_diagonal_T1_iil.num_agpr, 0
	.set _ZN9rocsolver6v33100L18trti2_kernel_smallILi15EfPKPfEEv13rocblas_fill_17rocblas_diagonal_T1_iil.numbered_sgpr, 20
	.set _ZN9rocsolver6v33100L18trti2_kernel_smallILi15EfPKPfEEv13rocblas_fill_17rocblas_diagonal_T1_iil.num_named_barrier, 0
	.set _ZN9rocsolver6v33100L18trti2_kernel_smallILi15EfPKPfEEv13rocblas_fill_17rocblas_diagonal_T1_iil.private_seg_size, 0
	.set _ZN9rocsolver6v33100L18trti2_kernel_smallILi15EfPKPfEEv13rocblas_fill_17rocblas_diagonal_T1_iil.uses_vcc, 1
	.set _ZN9rocsolver6v33100L18trti2_kernel_smallILi15EfPKPfEEv13rocblas_fill_17rocblas_diagonal_T1_iil.uses_flat_scratch, 1
	.set _ZN9rocsolver6v33100L18trti2_kernel_smallILi15EfPKPfEEv13rocblas_fill_17rocblas_diagonal_T1_iil.has_dyn_sized_stack, 0
	.set _ZN9rocsolver6v33100L18trti2_kernel_smallILi15EfPKPfEEv13rocblas_fill_17rocblas_diagonal_T1_iil.has_recursion, 0
	.set _ZN9rocsolver6v33100L18trti2_kernel_smallILi15EfPKPfEEv13rocblas_fill_17rocblas_diagonal_T1_iil.has_indirect_call, 0
	.section	.AMDGPU.csdata,"",@progbits
; Kernel info:
; codeLenInByte = 18216
; TotalNumSgprs: 22
; NumVgprs: 79
; ScratchSize: 0
; MemoryBound: 0
; FloatMode: 240
; IeeeMode: 1
; LDSByteSize: 124 bytes/workgroup (compile time only)
; SGPRBlocks: 0
; VGPRBlocks: 4
; NumSGPRsForWavesPerEU: 22
; NumVGPRsForWavesPerEU: 79
; NamedBarCnt: 0
; Occupancy: 12
; WaveLimiterHint : 1
; COMPUTE_PGM_RSRC2:SCRATCH_EN: 0
; COMPUTE_PGM_RSRC2:USER_SGPR: 2
; COMPUTE_PGM_RSRC2:TRAP_HANDLER: 0
; COMPUTE_PGM_RSRC2:TGID_X_EN: 1
; COMPUTE_PGM_RSRC2:TGID_Y_EN: 0
; COMPUTE_PGM_RSRC2:TGID_Z_EN: 0
; COMPUTE_PGM_RSRC2:TIDIG_COMP_CNT: 0
	.section	.text._ZN9rocsolver6v33100L18trti2_kernel_smallILi16EfPKPfEEv13rocblas_fill_17rocblas_diagonal_T1_iil,"axG",@progbits,_ZN9rocsolver6v33100L18trti2_kernel_smallILi16EfPKPfEEv13rocblas_fill_17rocblas_diagonal_T1_iil,comdat
	.globl	_ZN9rocsolver6v33100L18trti2_kernel_smallILi16EfPKPfEEv13rocblas_fill_17rocblas_diagonal_T1_iil ; -- Begin function _ZN9rocsolver6v33100L18trti2_kernel_smallILi16EfPKPfEEv13rocblas_fill_17rocblas_diagonal_T1_iil
	.p2align	8
	.type	_ZN9rocsolver6v33100L18trti2_kernel_smallILi16EfPKPfEEv13rocblas_fill_17rocblas_diagonal_T1_iil,@function
_ZN9rocsolver6v33100L18trti2_kernel_smallILi16EfPKPfEEv13rocblas_fill_17rocblas_diagonal_T1_iil: ; @_ZN9rocsolver6v33100L18trti2_kernel_smallILi16EfPKPfEEv13rocblas_fill_17rocblas_diagonal_T1_iil
; %bb.0:
	s_mov_b32 s2, exec_lo
	v_cmpx_gt_u32_e32 16, v0
	s_cbranch_execz .LBB79_380
; %bb.1:
	s_clause 0x1
	s_load_b64 s[2:3], s[0:1], 0x10
	s_load_b128 s[16:19], s[0:1], 0x0
	s_wait_xcnt 0x0
	s_bfe_u32 s0, ttmp6, 0x4000c
	s_and_b32 s1, ttmp6, 15
	s_add_co_i32 s0, s0, 1
	s_getreg_b32 s4, hwreg(HW_REG_IB_STS2, 6, 4)
	s_mul_i32 s0, ttmp9, s0
	v_mov_b32_e32 v1, 0
	s_add_co_i32 s0, s1, s0
	s_delay_alu instid0(VALU_DEP_1)
	v_mov_b32_e32 v19, v1
	s_wait_kmcnt 0x0
	v_add3_u32 v34, s3, s3, v0
	s_ashr_i32 s1, s2, 31
	s_cmp_eq_u32 s4, 0
	s_cselect_b32 s4, ttmp9, s0
	s_delay_alu instid0(VALU_DEP_1)
	v_add_nc_u32_e32 v36, s3, v34
	s_ashr_i32 s5, s4, 31
	s_mov_b32 s0, s2
	s_lshl_b64 s[4:5], s[4:5], 3
	s_lshl_b64 s[0:1], s[0:1], 2
	v_add_nc_u32_e32 v38, s3, v36
	s_add_nc_u64 s[4:5], s[18:19], s[4:5]
	s_load_b64 s[4:5], s[4:5], 0x0
	s_delay_alu instid0(VALU_DEP_1) | instskip(NEXT) | instid1(VALU_DEP_1)
	v_add_nc_u32_e32 v40, s3, v38
	v_add_nc_u32_e32 v42, s3, v40
	s_delay_alu instid0(VALU_DEP_1) | instskip(NEXT) | instid1(VALU_DEP_1)
	v_add_nc_u32_e32 v44, s3, v42
	v_add_nc_u32_e32 v46, s3, v44
	s_wait_kmcnt 0x0
	s_add_nc_u64 s[18:19], s[4:5], s[0:1]
	s_mov_b32 s0, s3
	s_delay_alu instid0(VALU_DEP_1) | instskip(SKIP_3) | instid1(VALU_DEP_1)
	v_add_nc_u32_e32 v48, s3, v46
	s_ashr_i32 s1, s3, 31
	s_cmp_lg_u32 s17, 0x84
	s_cselect_b32 s20, -1, 0
	v_add_nc_u32_e32 v52, s3, v48
	s_cmp_eq_u32 s17, 0x84
	s_delay_alu instid0(VALU_DEP_1) | instskip(NEXT) | instid1(VALU_DEP_1)
	v_add_nc_u32_e32 v54, s3, v52
	v_dual_lshlrev_b32 v18, 2, v0 :: v_dual_add_nc_u32 v58, s3, v54
	s_delay_alu instid0(VALU_DEP_1) | instskip(NEXT) | instid1(VALU_DEP_2)
	v_add_nc_u64_e32 v[50:51], s[18:19], v[18:19]
	v_dual_mov_b32 v19, -1.0 :: v_dual_add_nc_u32 v60, s3, v58
	s_delay_alu instid0(VALU_DEP_2) | instskip(SKIP_1) | instid1(VALU_DEP_3)
	v_lshl_add_u64 v[56:57], s[0:1], 2, v[50:51]
	v_cmp_eq_u32_e64 s0, 0, v0
	v_add_nc_u32_e32 v62, s3, v60
	s_clause 0x7
	flat_load_b32 v3, v[56:57]
	flat_load_b32 v4, v34, s[18:19] scale_offset
	flat_load_b32 v5, v36, s[18:19] scale_offset
	;; [unrolled: 1-line block ×7, first 2 shown]
	v_add_nc_u32_e32 v64, s3, v62
	s_clause 0x7
	flat_load_b32 v2, v0, s[18:19] scale_offset
	flat_load_b32 v11, v48, s[18:19] scale_offset
	;; [unrolled: 1-line block ×8, first 2 shown]
	s_cbranch_scc1 .LBB79_3
; %bb.2:
	v_cmp_eq_u32_e64 s1, 1, v0
	v_cmp_eq_u32_e64 s2, 2, v0
	;; [unrolled: 1-line block ×5, first 2 shown]
	s_wait_loadcnt_dscnt 0x707
	v_cndmask_b32_e64 v19, v2, v3, s1
	v_cmp_eq_u32_e64 s6, 6, v0
	v_cmp_eq_u32_e64 s7, 7, v0
	;; [unrolled: 1-line block ×4, first 2 shown]
	v_cndmask_b32_e64 v19, v19, v4, s2
	v_cmp_eq_u32_e64 s10, 10, v0
	v_cmp_eq_u32_e64 s11, 11, v0
	;; [unrolled: 1-line block ×4, first 2 shown]
	v_cndmask_b32_e64 v19, v19, v5, s3
	v_cmp_eq_u32_e64 s14, 14, v0
	v_cmp_eq_u32_e64 s15, 15, v0
	s_delay_alu instid0(VALU_DEP_3) | instskip(NEXT) | instid1(VALU_DEP_1)
	v_cndmask_b32_e64 v19, v19, v6, s4
	v_cndmask_b32_e64 v19, v19, v7, s5
	s_delay_alu instid0(VALU_DEP_1) | instskip(NEXT) | instid1(VALU_DEP_1)
	v_cndmask_b32_e64 v19, v19, v8, s6
	v_cndmask_b32_e64 v19, v19, v9, s7
	s_delay_alu instid0(VALU_DEP_1) | instskip(SKIP_1) | instid1(VALU_DEP_1)
	v_cndmask_b32_e64 v19, v19, v10, s8
	s_wait_loadcnt_dscnt 0x606
	v_cndmask_b32_e64 v19, v19, v11, s9
	s_wait_loadcnt_dscnt 0x505
	s_delay_alu instid0(VALU_DEP_1) | instskip(SKIP_1) | instid1(VALU_DEP_1)
	v_cndmask_b32_e64 v19, v19, v12, s10
	s_wait_loadcnt_dscnt 0x404
	v_cndmask_b32_e64 v19, v19, v13, s11
	s_wait_loadcnt_dscnt 0x303
	;; [unrolled: 5-line block ×3, first 2 shown]
	s_delay_alu instid0(VALU_DEP_1) | instskip(SKIP_1) | instid1(VALU_DEP_1)
	v_cndmask_b32_e64 v19, v19, v16, s14
	s_wait_loadcnt_dscnt 0x0
	v_cndmask_b32_e64 v19, v19, v17, s15
	s_delay_alu instid0(VALU_DEP_1) | instskip(SKIP_1) | instid1(VALU_DEP_2)
	v_div_scale_f32 v20, null, v19, v19, 1.0
	v_div_scale_f32 v23, vcc_lo, 1.0, v19, 1.0
	v_rcp_f32_e32 v21, v20
	v_nop
	s_delay_alu instid0(TRANS32_DEP_1) | instskip(NEXT) | instid1(VALU_DEP_1)
	v_fma_f32 v22, -v20, v21, 1.0
	v_fmac_f32_e32 v21, v22, v21
	s_delay_alu instid0(VALU_DEP_1) | instskip(NEXT) | instid1(VALU_DEP_1)
	v_mul_f32_e32 v22, v23, v21
	v_fma_f32 v24, -v20, v22, v23
	s_delay_alu instid0(VALU_DEP_1) | instskip(NEXT) | instid1(VALU_DEP_1)
	v_fmac_f32_e32 v22, v24, v21
	v_fma_f32 v20, -v20, v22, v23
	s_delay_alu instid0(VALU_DEP_1) | instskip(NEXT) | instid1(VALU_DEP_1)
	v_div_fmas_f32 v20, v20, v21, v22
	v_div_fixup_f32 v19, v20, v19, 1.0
	s_delay_alu instid0(VALU_DEP_1)
	v_dual_cndmask_b32 v17, v17, v19, s15 :: v_dual_cndmask_b32 v16, v16, v19, s14
	v_dual_cndmask_b32 v15, v15, v19, s13 :: v_dual_cndmask_b32 v14, v14, v19, s12
	;; [unrolled: 1-line block ×8, first 2 shown]
	v_xor_b32_e32 v19, 0x80000000, v19
.LBB79_3:
	v_dual_ashrrev_i32 v35, 31, v34 :: v_dual_ashrrev_i32 v37, 31, v36
	v_dual_ashrrev_i32 v39, 31, v38 :: v_dual_ashrrev_i32 v41, 31, v40
	;; [unrolled: 1-line block ×7, first 2 shown]
	v_add_nc_u32_e32 v70, 64, v18
	s_cmp_eq_u32 s16, 0x79
	ds_store_b32 v18, v19
	s_cbranch_scc1 .LBB79_7
; %bb.4:
	s_wait_loadcnt_dscnt 0x1
	v_mov_b64_e32 v[32:33], v[16:17]
	v_mov_b64_e32 v[30:31], v[14:15]
	;; [unrolled: 1-line block ×8, first 2 shown]
	v_cmp_eq_u32_e64 s0, 15, v0
	ds_store_b32 v70, v16
	s_wait_dscnt 0x0
	s_barrier_signal -1
	s_barrier_wait -1
	s_and_saveexec_b32 s1, s0
	s_cbranch_execz .LBB79_11
; %bb.5:
	s_and_b32 vcc_lo, exec_lo, s20
	s_cbranch_vccz .LBB79_8
; %bb.6:
	v_cmp_eq_u32_e32 vcc_lo, 1, v0
	ds_load_b32 v19, v70
	v_cndmask_b32_e32 v18, v2, v3, vcc_lo
	v_cmp_eq_u32_e32 vcc_lo, 2, v0
	s_delay_alu instid0(VALU_DEP_2) | instskip(SKIP_1) | instid1(VALU_DEP_2)
	v_cndmask_b32_e32 v18, v18, v4, vcc_lo
	v_cmp_eq_u32_e32 vcc_lo, 3, v0
	v_cndmask_b32_e32 v18, v18, v5, vcc_lo
	v_cmp_eq_u32_e32 vcc_lo, 4, v0
	s_delay_alu instid0(VALU_DEP_2) | instskip(SKIP_1) | instid1(VALU_DEP_2)
	v_cndmask_b32_e32 v18, v18, v6, vcc_lo
	v_cmp_eq_u32_e32 vcc_lo, 5, v0
	v_cndmask_b32_e32 v18, v18, v7, vcc_lo
	v_cmp_eq_u32_e32 vcc_lo, 6, v0
	s_delay_alu instid0(VALU_DEP_2) | instskip(SKIP_1) | instid1(VALU_DEP_2)
	v_cndmask_b32_e32 v18, v18, v8, vcc_lo
	v_cmp_eq_u32_e32 vcc_lo, 7, v0
	v_cndmask_b32_e32 v18, v18, v9, vcc_lo
	v_cmp_eq_u32_e32 vcc_lo, 8, v0
	s_delay_alu instid0(VALU_DEP_2) | instskip(SKIP_1) | instid1(VALU_DEP_2)
	v_cndmask_b32_e32 v18, v18, v10, vcc_lo
	v_cmp_eq_u32_e32 vcc_lo, 9, v0
	v_cndmask_b32_e32 v18, v18, v11, vcc_lo
	v_cmp_eq_u32_e32 vcc_lo, 10, v0
	s_delay_alu instid0(VALU_DEP_2) | instskip(SKIP_1) | instid1(VALU_DEP_2)
	v_cndmask_b32_e32 v18, v18, v12, vcc_lo
	v_cmp_eq_u32_e32 vcc_lo, 11, v0
	v_cndmask_b32_e32 v18, v18, v13, vcc_lo
	v_cmp_eq_u32_e32 vcc_lo, 12, v0
	s_delay_alu instid0(VALU_DEP_2) | instskip(SKIP_1) | instid1(VALU_DEP_2)
	v_cndmask_b32_e32 v18, v18, v14, vcc_lo
	v_cmp_eq_u32_e32 vcc_lo, 13, v0
	v_cndmask_b32_e32 v18, v18, v15, vcc_lo
	v_cmp_eq_u32_e32 vcc_lo, 14, v0
	s_delay_alu instid0(VALU_DEP_2) | instskip(SKIP_1) | instid1(VALU_DEP_2)
	v_cndmask_b32_e32 v18, v18, v16, vcc_lo
	v_cmp_eq_u32_e32 vcc_lo, 15, v0
	v_cndmask_b32_e32 v18, v18, v17, vcc_lo
	s_wait_dscnt 0x0
	s_delay_alu instid0(VALU_DEP_1)
	v_mul_f32_e32 v18, v18, v19
	s_cbranch_execz .LBB79_9
	s_branch .LBB79_10
.LBB79_7:
                                        ; implicit-def: $vgpr18_vgpr19_vgpr20_vgpr21_vgpr22_vgpr23_vgpr24_vgpr25_vgpr26_vgpr27_vgpr28_vgpr29_vgpr30_vgpr31_vgpr32_vgpr33
	s_cbranch_execnz .LBB79_226
	s_branch .LBB79_379
.LBB79_8:
                                        ; implicit-def: $vgpr18
.LBB79_9:
	ds_load_b32 v18, v70
.LBB79_10:
	v_mov_b32_e32 v19, 0
	ds_load_b32 v19, v19 offset:56
	s_wait_dscnt 0x0
	v_mul_f32_e32 v66, v18, v19
	v_mov_b64_e32 v[32:33], v[16:17]
	v_mov_b64_e32 v[30:31], v[14:15]
	;; [unrolled: 1-line block ×8, first 2 shown]
	v_mov_b32_e32 v32, v66
.LBB79_11:
	s_or_b32 exec_lo, exec_lo, s1
	v_cmp_lt_u32_e64 s1, 13, v0
	ds_store_b32 v70, v31
	s_wait_dscnt 0x0
	s_barrier_signal -1
	s_barrier_wait -1
	s_and_saveexec_b32 s2, s1
	s_cbranch_execz .LBB79_17
; %bb.12:
	s_and_not1_b32 vcc_lo, exec_lo, s20
	s_cbranch_vccnz .LBB79_14
; %bb.13:
	v_cmp_eq_u32_e32 vcc_lo, 1, v0
	ds_load_b32 v67, v70
	v_cndmask_b32_e32 v66, v18, v19, vcc_lo
	v_cmp_eq_u32_e32 vcc_lo, 2, v0
	s_delay_alu instid0(VALU_DEP_2) | instskip(SKIP_1) | instid1(VALU_DEP_2)
	v_cndmask_b32_e32 v66, v66, v20, vcc_lo
	v_cmp_eq_u32_e32 vcc_lo, 3, v0
	v_cndmask_b32_e32 v66, v66, v21, vcc_lo
	v_cmp_eq_u32_e32 vcc_lo, 4, v0
	s_delay_alu instid0(VALU_DEP_2) | instskip(SKIP_1) | instid1(VALU_DEP_2)
	v_cndmask_b32_e32 v66, v66, v22, vcc_lo
	v_cmp_eq_u32_e32 vcc_lo, 5, v0
	;; [unrolled: 5-line block ×7, first 2 shown]
	v_cndmask_b32_e32 v31, v31, v33, vcc_lo
	s_wait_dscnt 0x0
	s_delay_alu instid0(VALU_DEP_1)
	v_mul_f32_e32 v31, v31, v67
	s_cbranch_execz .LBB79_15
	s_branch .LBB79_16
.LBB79_14:
                                        ; implicit-def: $vgpr31
.LBB79_15:
	ds_load_b32 v31, v70
.LBB79_16:
	v_mov_b32_e32 v66, 0
	ds_load_2addr_b32 v[66:67], v66 offset0:13 offset1:30
	s_wait_dscnt 0x0
	v_fma_f32 v67, v32, v67, v31
	s_delay_alu instid0(VALU_DEP_1) | instskip(NEXT) | instid1(VALU_DEP_1)
	v_cndmask_b32_e64 v31, v31, v67, s0
	v_mul_f32_e32 v31, v31, v66
.LBB79_17:
	s_or_b32 exec_lo, exec_lo, s2
	v_cmp_lt_u32_e64 s0, 12, v0
	ds_store_b32 v70, v30
	s_wait_dscnt 0x0
	s_barrier_signal -1
	s_barrier_wait -1
	s_and_saveexec_b32 s4, s0
	s_cbranch_execz .LBB79_33
; %bb.18:
	s_and_not1_b32 vcc_lo, exec_lo, s20
	s_cbranch_vccnz .LBB79_20
; %bb.19:
	v_cmp_eq_u32_e32 vcc_lo, 1, v0
	ds_load_b32 v67, v70
	v_cndmask_b32_e32 v66, v18, v19, vcc_lo
	v_cmp_eq_u32_e32 vcc_lo, 2, v0
	s_delay_alu instid0(VALU_DEP_2) | instskip(SKIP_1) | instid1(VALU_DEP_2)
	v_cndmask_b32_e32 v66, v66, v20, vcc_lo
	v_cmp_eq_u32_e32 vcc_lo, 3, v0
	v_cndmask_b32_e32 v66, v66, v21, vcc_lo
	v_cmp_eq_u32_e32 vcc_lo, 4, v0
	s_delay_alu instid0(VALU_DEP_2) | instskip(SKIP_1) | instid1(VALU_DEP_2)
	v_cndmask_b32_e32 v66, v66, v22, vcc_lo
	v_cmp_eq_u32_e32 vcc_lo, 5, v0
	;; [unrolled: 5-line block ×7, first 2 shown]
	v_cndmask_b32_e32 v66, v66, v33, vcc_lo
	s_wait_dscnt 0x0
	s_delay_alu instid0(VALU_DEP_1)
	v_mul_f32_e32 v69, v66, v67
	s_cbranch_execz .LBB79_21
	s_branch .LBB79_22
.LBB79_20:
                                        ; implicit-def: $vgpr69
.LBB79_21:
	ds_load_b32 v69, v70
.LBB79_22:
	s_and_saveexec_b32 s5, s1
	s_cbranch_execz .LBB79_32
; %bb.23:
	v_dual_add_nc_u32 v66, -14, v0 :: v_dual_add_nc_u32 v67, -13, v0
	s_delay_alu instid0(VALU_DEP_1)
	v_cmp_lt_u32_e32 vcc_lo, 6, v66
	v_mov_b32_e32 v66, 13
	s_and_saveexec_b32 s1, vcc_lo
	s_cbranch_execz .LBB79_27
; %bb.24:
	v_and_b32_e32 v66, -8, v67
	s_mov_b32 s6, 0
	s_mov_b64 s[2:3], 20
	s_movk_i32 s7, 0x74
	s_delay_alu instid0(VALU_DEP_1)
	v_sub_nc_u32_e32 v68, 0, v66
.LBB79_25:                              ; =>This Inner Loop Header: Depth=1
	s_add_co_i32 m0, s2, -7
	v_movrels_b32_e32 v71, v18
	v_mov_b32_e32 v66, s7
	s_add_co_i32 m0, s2, -6
	s_add_co_i32 s7, s7, 32
	v_movrels_b32_e32 v80, v18
	ds_load_2addr_b32 v[72:73], v66 offset1:1
	ds_load_2addr_b32 v[74:75], v66 offset0:2 offset1:3
	s_add_co_i32 m0, s2, -5
	s_wait_dscnt 0x1
	v_fmac_f32_e32 v69, v71, v72
	ds_load_2addr_b32 v[76:77], v66 offset0:4 offset1:5
	ds_load_2addr_b32 v[78:79], v66 offset0:6 offset1:7
	v_movrels_b32_e32 v66, v18
	s_add_co_i32 m0, s2, -4
	v_fmac_f32_e32 v69, v80, v73
	v_movrels_b32_e32 v71, v18
	s_add_co_i32 m0, s2, -3
	s_wait_dscnt 0x2
	s_delay_alu instid0(VALU_DEP_2) | instskip(SKIP_2) | instid1(VALU_DEP_2)
	v_fmac_f32_e32 v69, v66, v74
	v_movrels_b32_e32 v66, v18
	s_add_co_i32 m0, s2, -2
	v_fmac_f32_e32 v69, v71, v75
	v_movrels_b32_e32 v71, v18
	s_add_co_i32 m0, s2, -1
	s_wait_dscnt 0x1
	s_delay_alu instid0(VALU_DEP_2)
	v_fmac_f32_e32 v69, v66, v76
	v_movrels_b32_e32 v66, v18
	s_mov_b32 m0, s2
	s_add_nc_u64 s[2:3], s[2:3], 8
	v_movrels_b32_e32 v72, v18
	v_dual_fmac_f32 v69, v71, v77 :: v_dual_add_nc_u32 v71, s2, v68
	s_add_co_i32 s8, s2, -7
	s_wait_dscnt 0x0
	s_delay_alu instid0(VALU_DEP_1) | instskip(NEXT) | instid1(VALU_DEP_2)
	v_fmac_f32_e32 v69, v66, v78
	v_cmp_eq_u32_e32 vcc_lo, 20, v71
	s_delay_alu instid0(VALU_DEP_2) | instskip(SKIP_1) | instid1(SALU_CYCLE_1)
	v_dual_mov_b32 v66, s8 :: v_dual_fmac_f32 v69, v72, v79
	s_or_b32 s6, vcc_lo, s6
	s_and_not1_b32 exec_lo, exec_lo, s6
	s_cbranch_execnz .LBB79_25
; %bb.26:
	s_or_b32 exec_lo, exec_lo, s6
.LBB79_27:
	s_delay_alu instid0(SALU_CYCLE_1) | instskip(SKIP_3) | instid1(VALU_DEP_1)
	s_or_b32 exec_lo, exec_lo, s1
	v_and_b32_e32 v68, 7, v67
	s_mov_b32 s2, 0
	s_mov_b32 s1, exec_lo
	v_cmpx_ne_u32_e32 0, v68
	s_cbranch_execz .LBB79_31
; %bb.28:
	v_lshl_add_u32 v71, v66, 2, 64
	v_mov_b32_e32 v67, 0
.LBB79_29:                              ; =>This Inner Loop Header: Depth=1
	v_cmp_eq_u32_e32 vcc_lo, 1, v66
	ds_load_b32 v73, v71
	v_dual_add_nc_u32 v68, -1, v68 :: v_dual_add_nc_u32 v71, 4, v71
	v_cndmask_b32_e32 v72, v18, v19, vcc_lo
	v_cmp_eq_u32_e32 vcc_lo, 2, v66
	s_delay_alu instid0(VALU_DEP_2) | instskip(SKIP_1) | instid1(VALU_DEP_2)
	v_cndmask_b32_e32 v72, v72, v20, vcc_lo
	v_cmp_eq_u32_e32 vcc_lo, 3, v66
	v_cndmask_b32_e32 v72, v72, v21, vcc_lo
	v_cmp_eq_u32_e32 vcc_lo, 4, v66
	s_delay_alu instid0(VALU_DEP_2) | instskip(SKIP_1) | instid1(VALU_DEP_2)
	v_cndmask_b32_e32 v72, v72, v22, vcc_lo
	v_cmp_eq_u32_e32 vcc_lo, 5, v66
	;; [unrolled: 5-line block ×6, first 2 shown]
	v_cndmask_b32_e32 v72, v72, v31, vcc_lo
	v_cmp_eq_u32_e32 vcc_lo, 14, v66
	s_delay_alu instid0(VALU_DEP_2) | instskip(SKIP_2) | instid1(VALU_DEP_3)
	v_cndmask_b32_e32 v72, v72, v32, vcc_lo
	v_cmp_eq_u32_e32 vcc_lo, 15, v66
	v_add_nc_u64_e32 v[66:67], 1, v[66:67]
	v_cndmask_b32_e32 v72, v72, v33, vcc_lo
	v_cmp_eq_u32_e32 vcc_lo, 0, v68
	s_wait_dscnt 0x0
	s_delay_alu instid0(VALU_DEP_2) | instskip(SKIP_1) | instid1(SALU_CYCLE_1)
	v_fmac_f32_e32 v69, v72, v73
	s_or_b32 s2, vcc_lo, s2
	s_and_not1_b32 exec_lo, exec_lo, s2
	s_cbranch_execnz .LBB79_29
; %bb.30:
	s_or_b32 exec_lo, exec_lo, s2
.LBB79_31:
	s_delay_alu instid0(SALU_CYCLE_1)
	s_or_b32 exec_lo, exec_lo, s1
.LBB79_32:
	s_delay_alu instid0(SALU_CYCLE_1)
	s_or_b32 exec_lo, exec_lo, s5
	v_mov_b32_e32 v30, 0
	ds_load_b32 v30, v30 offset:48
	s_wait_dscnt 0x0
	v_mul_f32_e32 v30, v69, v30
.LBB79_33:
	s_or_b32 exec_lo, exec_lo, s4
	v_cmp_lt_u32_e64 s1, 11, v0
	ds_store_b32 v70, v29
	s_wait_dscnt 0x0
	s_barrier_signal -1
	s_barrier_wait -1
	s_and_saveexec_b32 s4, s1
	s_cbranch_execz .LBB79_49
; %bb.34:
	s_and_not1_b32 vcc_lo, exec_lo, s20
	s_cbranch_vccnz .LBB79_36
; %bb.35:
	v_cmp_eq_u32_e32 vcc_lo, 1, v0
	ds_load_b32 v67, v70
	v_cndmask_b32_e32 v66, v18, v19, vcc_lo
	v_cmp_eq_u32_e32 vcc_lo, 2, v0
	s_delay_alu instid0(VALU_DEP_2) | instskip(SKIP_1) | instid1(VALU_DEP_2)
	v_cndmask_b32_e32 v66, v66, v20, vcc_lo
	v_cmp_eq_u32_e32 vcc_lo, 3, v0
	v_cndmask_b32_e32 v66, v66, v21, vcc_lo
	v_cmp_eq_u32_e32 vcc_lo, 4, v0
	s_delay_alu instid0(VALU_DEP_2) | instskip(SKIP_1) | instid1(VALU_DEP_2)
	v_cndmask_b32_e32 v66, v66, v22, vcc_lo
	v_cmp_eq_u32_e32 vcc_lo, 5, v0
	;; [unrolled: 5-line block ×7, first 2 shown]
	v_cndmask_b32_e32 v66, v66, v33, vcc_lo
	s_wait_dscnt 0x0
	s_delay_alu instid0(VALU_DEP_1)
	v_mul_f32_e32 v69, v66, v67
	s_cbranch_execz .LBB79_37
	s_branch .LBB79_38
.LBB79_36:
                                        ; implicit-def: $vgpr69
.LBB79_37:
	ds_load_b32 v69, v70
.LBB79_38:
	s_and_saveexec_b32 s5, s0
	s_cbranch_execz .LBB79_48
; %bb.39:
	v_dual_add_nc_u32 v66, -13, v0 :: v_dual_add_nc_u32 v67, -12, v0
	s_delay_alu instid0(VALU_DEP_1)
	v_cmp_lt_u32_e32 vcc_lo, 6, v66
	v_mov_b32_e32 v66, 12
	s_and_saveexec_b32 s0, vcc_lo
	s_cbranch_execz .LBB79_43
; %bb.40:
	v_and_b32_e32 v66, -8, v67
	s_mov_b32 s6, 0
	s_mov_b64 s[2:3], 19
	s_movk_i32 s7, 0x70
	s_delay_alu instid0(VALU_DEP_1)
	v_sub_nc_u32_e32 v68, 0, v66
.LBB79_41:                              ; =>This Inner Loop Header: Depth=1
	s_add_co_i32 m0, s2, -7
	v_movrels_b32_e32 v71, v18
	v_mov_b32_e32 v66, s7
	s_add_co_i32 m0, s2, -6
	s_add_co_i32 s7, s7, 32
	v_movrels_b32_e32 v80, v18
	s_add_co_i32 m0, s2, -5
	ds_load_b128 v[72:75], v66
	ds_load_b128 v[76:79], v66 offset:16
	v_movrels_b32_e32 v66, v18
	s_add_co_i32 m0, s2, -4
	s_wait_dscnt 0x1
	v_fmac_f32_e32 v69, v71, v72
	v_movrels_b32_e32 v71, v18
	s_add_co_i32 m0, s2, -3
	s_delay_alu instid0(VALU_DEP_2) | instskip(NEXT) | instid1(VALU_DEP_1)
	v_fmac_f32_e32 v69, v80, v73
	v_fmac_f32_e32 v69, v66, v74
	v_movrels_b32_e32 v66, v18
	s_add_co_i32 m0, s2, -2
	s_delay_alu instid0(VALU_DEP_2) | instskip(SKIP_3) | instid1(VALU_DEP_2)
	v_fmac_f32_e32 v69, v71, v75
	v_movrels_b32_e32 v71, v18
	s_add_co_i32 m0, s2, -1
	s_wait_dscnt 0x0
	v_fmac_f32_e32 v69, v66, v76
	v_movrels_b32_e32 v66, v18
	s_mov_b32 m0, s2
	s_add_nc_u64 s[2:3], s[2:3], 8
	v_movrels_b32_e32 v72, v18
	v_dual_fmac_f32 v69, v71, v77 :: v_dual_add_nc_u32 v71, s2, v68
	s_add_co_i32 s8, s2, -7
	s_delay_alu instid0(VALU_DEP_1) | instskip(NEXT) | instid1(VALU_DEP_2)
	v_fmac_f32_e32 v69, v66, v78
	v_cmp_eq_u32_e32 vcc_lo, 19, v71
	s_delay_alu instid0(VALU_DEP_2) | instskip(SKIP_1) | instid1(SALU_CYCLE_1)
	v_dual_mov_b32 v66, s8 :: v_dual_fmac_f32 v69, v72, v79
	s_or_b32 s6, vcc_lo, s6
	s_and_not1_b32 exec_lo, exec_lo, s6
	s_cbranch_execnz .LBB79_41
; %bb.42:
	s_or_b32 exec_lo, exec_lo, s6
.LBB79_43:
	s_delay_alu instid0(SALU_CYCLE_1) | instskip(SKIP_3) | instid1(VALU_DEP_1)
	s_or_b32 exec_lo, exec_lo, s0
	v_and_b32_e32 v68, 7, v67
	s_mov_b32 s2, 0
	s_mov_b32 s0, exec_lo
	v_cmpx_ne_u32_e32 0, v68
	s_cbranch_execz .LBB79_47
; %bb.44:
	v_lshl_add_u32 v71, v66, 2, 64
	v_mov_b32_e32 v67, 0
.LBB79_45:                              ; =>This Inner Loop Header: Depth=1
	v_cmp_eq_u32_e32 vcc_lo, 1, v66
	ds_load_b32 v73, v71
	v_dual_add_nc_u32 v68, -1, v68 :: v_dual_add_nc_u32 v71, 4, v71
	v_cndmask_b32_e32 v72, v18, v19, vcc_lo
	v_cmp_eq_u32_e32 vcc_lo, 2, v66
	s_delay_alu instid0(VALU_DEP_2) | instskip(SKIP_1) | instid1(VALU_DEP_2)
	v_cndmask_b32_e32 v72, v72, v20, vcc_lo
	v_cmp_eq_u32_e32 vcc_lo, 3, v66
	v_cndmask_b32_e32 v72, v72, v21, vcc_lo
	v_cmp_eq_u32_e32 vcc_lo, 4, v66
	s_delay_alu instid0(VALU_DEP_2) | instskip(SKIP_1) | instid1(VALU_DEP_2)
	v_cndmask_b32_e32 v72, v72, v22, vcc_lo
	v_cmp_eq_u32_e32 vcc_lo, 5, v66
	;; [unrolled: 5-line block ×6, first 2 shown]
	v_cndmask_b32_e32 v72, v72, v31, vcc_lo
	v_cmp_eq_u32_e32 vcc_lo, 14, v66
	s_delay_alu instid0(VALU_DEP_2) | instskip(SKIP_2) | instid1(VALU_DEP_3)
	v_cndmask_b32_e32 v72, v72, v32, vcc_lo
	v_cmp_eq_u32_e32 vcc_lo, 15, v66
	v_add_nc_u64_e32 v[66:67], 1, v[66:67]
	v_cndmask_b32_e32 v72, v72, v33, vcc_lo
	v_cmp_eq_u32_e32 vcc_lo, 0, v68
	s_wait_dscnt 0x0
	s_delay_alu instid0(VALU_DEP_2) | instskip(SKIP_1) | instid1(SALU_CYCLE_1)
	v_fmac_f32_e32 v69, v72, v73
	s_or_b32 s2, vcc_lo, s2
	s_and_not1_b32 exec_lo, exec_lo, s2
	s_cbranch_execnz .LBB79_45
; %bb.46:
	s_or_b32 exec_lo, exec_lo, s2
.LBB79_47:
	s_delay_alu instid0(SALU_CYCLE_1)
	s_or_b32 exec_lo, exec_lo, s0
.LBB79_48:
	s_delay_alu instid0(SALU_CYCLE_1)
	s_or_b32 exec_lo, exec_lo, s5
	v_mov_b32_e32 v29, 0
	ds_load_b32 v29, v29 offset:44
	s_wait_dscnt 0x0
	v_mul_f32_e32 v29, v69, v29
.LBB79_49:
	s_or_b32 exec_lo, exec_lo, s4
	v_cmp_lt_u32_e64 s0, 10, v0
	ds_store_b32 v70, v28
	s_wait_dscnt 0x0
	s_barrier_signal -1
	s_barrier_wait -1
	s_and_saveexec_b32 s4, s0
	s_cbranch_execz .LBB79_65
; %bb.50:
	s_and_not1_b32 vcc_lo, exec_lo, s20
	s_cbranch_vccnz .LBB79_52
; %bb.51:
	v_cmp_eq_u32_e32 vcc_lo, 1, v0
	ds_load_b32 v67, v70
	v_cndmask_b32_e32 v66, v18, v19, vcc_lo
	v_cmp_eq_u32_e32 vcc_lo, 2, v0
	s_delay_alu instid0(VALU_DEP_2) | instskip(SKIP_1) | instid1(VALU_DEP_2)
	v_cndmask_b32_e32 v66, v66, v20, vcc_lo
	v_cmp_eq_u32_e32 vcc_lo, 3, v0
	v_cndmask_b32_e32 v66, v66, v21, vcc_lo
	v_cmp_eq_u32_e32 vcc_lo, 4, v0
	s_delay_alu instid0(VALU_DEP_2) | instskip(SKIP_1) | instid1(VALU_DEP_2)
	v_cndmask_b32_e32 v66, v66, v22, vcc_lo
	v_cmp_eq_u32_e32 vcc_lo, 5, v0
	;; [unrolled: 5-line block ×7, first 2 shown]
	v_cndmask_b32_e32 v66, v66, v33, vcc_lo
	s_wait_dscnt 0x0
	s_delay_alu instid0(VALU_DEP_1)
	v_mul_f32_e32 v69, v66, v67
	s_cbranch_execz .LBB79_53
	s_branch .LBB79_54
.LBB79_52:
                                        ; implicit-def: $vgpr69
.LBB79_53:
	ds_load_b32 v69, v70
.LBB79_54:
	s_and_saveexec_b32 s5, s1
	s_cbranch_execz .LBB79_64
; %bb.55:
	v_dual_add_nc_u32 v66, -12, v0 :: v_dual_add_nc_u32 v67, -11, v0
	s_delay_alu instid0(VALU_DEP_1)
	v_cmp_lt_u32_e32 vcc_lo, 6, v66
	v_mov_b32_e32 v66, 11
	s_and_saveexec_b32 s1, vcc_lo
	s_cbranch_execz .LBB79_59
; %bb.56:
	v_and_b32_e32 v66, -8, v67
	s_mov_b32 s6, 0
	s_mov_b64 s[2:3], 18
	s_movk_i32 s7, 0x6c
	s_delay_alu instid0(VALU_DEP_1)
	v_sub_nc_u32_e32 v68, 0, v66
.LBB79_57:                              ; =>This Inner Loop Header: Depth=1
	s_add_co_i32 m0, s2, -7
	v_movrels_b32_e32 v71, v18
	v_mov_b32_e32 v66, s7
	s_add_co_i32 m0, s2, -6
	s_add_co_i32 s7, s7, 32
	v_movrels_b32_e32 v80, v18
	ds_load_2addr_b32 v[72:73], v66 offset1:1
	ds_load_2addr_b32 v[74:75], v66 offset0:2 offset1:3
	s_add_co_i32 m0, s2, -5
	s_wait_dscnt 0x1
	v_fmac_f32_e32 v69, v71, v72
	ds_load_2addr_b32 v[76:77], v66 offset0:4 offset1:5
	ds_load_2addr_b32 v[78:79], v66 offset0:6 offset1:7
	v_movrels_b32_e32 v66, v18
	s_add_co_i32 m0, s2, -4
	v_fmac_f32_e32 v69, v80, v73
	v_movrels_b32_e32 v71, v18
	s_add_co_i32 m0, s2, -3
	s_wait_dscnt 0x2
	s_delay_alu instid0(VALU_DEP_2) | instskip(SKIP_2) | instid1(VALU_DEP_2)
	v_fmac_f32_e32 v69, v66, v74
	v_movrels_b32_e32 v66, v18
	s_add_co_i32 m0, s2, -2
	v_fmac_f32_e32 v69, v71, v75
	v_movrels_b32_e32 v71, v18
	s_add_co_i32 m0, s2, -1
	s_wait_dscnt 0x1
	s_delay_alu instid0(VALU_DEP_2)
	v_fmac_f32_e32 v69, v66, v76
	v_movrels_b32_e32 v66, v18
	s_mov_b32 m0, s2
	s_add_nc_u64 s[2:3], s[2:3], 8
	v_movrels_b32_e32 v72, v18
	v_dual_fmac_f32 v69, v71, v77 :: v_dual_add_nc_u32 v71, s2, v68
	s_add_co_i32 s8, s2, -7
	s_wait_dscnt 0x0
	s_delay_alu instid0(VALU_DEP_1) | instskip(NEXT) | instid1(VALU_DEP_2)
	v_fmac_f32_e32 v69, v66, v78
	v_cmp_eq_u32_e32 vcc_lo, 18, v71
	s_delay_alu instid0(VALU_DEP_2) | instskip(SKIP_1) | instid1(SALU_CYCLE_1)
	v_dual_mov_b32 v66, s8 :: v_dual_fmac_f32 v69, v72, v79
	s_or_b32 s6, vcc_lo, s6
	s_and_not1_b32 exec_lo, exec_lo, s6
	s_cbranch_execnz .LBB79_57
; %bb.58:
	s_or_b32 exec_lo, exec_lo, s6
.LBB79_59:
	s_delay_alu instid0(SALU_CYCLE_1) | instskip(SKIP_3) | instid1(VALU_DEP_1)
	s_or_b32 exec_lo, exec_lo, s1
	v_and_b32_e32 v68, 7, v67
	s_mov_b32 s2, 0
	s_mov_b32 s1, exec_lo
	v_cmpx_ne_u32_e32 0, v68
	s_cbranch_execz .LBB79_63
; %bb.60:
	v_lshl_add_u32 v71, v66, 2, 64
	v_mov_b32_e32 v67, 0
.LBB79_61:                              ; =>This Inner Loop Header: Depth=1
	v_cmp_eq_u32_e32 vcc_lo, 1, v66
	ds_load_b32 v73, v71
	v_dual_add_nc_u32 v68, -1, v68 :: v_dual_add_nc_u32 v71, 4, v71
	v_cndmask_b32_e32 v72, v18, v19, vcc_lo
	v_cmp_eq_u32_e32 vcc_lo, 2, v66
	s_delay_alu instid0(VALU_DEP_2) | instskip(SKIP_1) | instid1(VALU_DEP_2)
	v_cndmask_b32_e32 v72, v72, v20, vcc_lo
	v_cmp_eq_u32_e32 vcc_lo, 3, v66
	v_cndmask_b32_e32 v72, v72, v21, vcc_lo
	v_cmp_eq_u32_e32 vcc_lo, 4, v66
	s_delay_alu instid0(VALU_DEP_2) | instskip(SKIP_1) | instid1(VALU_DEP_2)
	v_cndmask_b32_e32 v72, v72, v22, vcc_lo
	v_cmp_eq_u32_e32 vcc_lo, 5, v66
	;; [unrolled: 5-line block ×6, first 2 shown]
	v_cndmask_b32_e32 v72, v72, v31, vcc_lo
	v_cmp_eq_u32_e32 vcc_lo, 14, v66
	s_delay_alu instid0(VALU_DEP_2) | instskip(SKIP_2) | instid1(VALU_DEP_3)
	v_cndmask_b32_e32 v72, v72, v32, vcc_lo
	v_cmp_eq_u32_e32 vcc_lo, 15, v66
	v_add_nc_u64_e32 v[66:67], 1, v[66:67]
	v_cndmask_b32_e32 v72, v72, v33, vcc_lo
	v_cmp_eq_u32_e32 vcc_lo, 0, v68
	s_wait_dscnt 0x0
	s_delay_alu instid0(VALU_DEP_2) | instskip(SKIP_1) | instid1(SALU_CYCLE_1)
	v_fmac_f32_e32 v69, v72, v73
	s_or_b32 s2, vcc_lo, s2
	s_and_not1_b32 exec_lo, exec_lo, s2
	s_cbranch_execnz .LBB79_61
; %bb.62:
	s_or_b32 exec_lo, exec_lo, s2
.LBB79_63:
	s_delay_alu instid0(SALU_CYCLE_1)
	s_or_b32 exec_lo, exec_lo, s1
.LBB79_64:
	s_delay_alu instid0(SALU_CYCLE_1)
	s_or_b32 exec_lo, exec_lo, s5
	v_mov_b32_e32 v28, 0
	ds_load_b32 v28, v28 offset:40
	s_wait_dscnt 0x0
	v_mul_f32_e32 v28, v69, v28
.LBB79_65:
	s_or_b32 exec_lo, exec_lo, s4
	v_cmp_lt_u32_e64 s1, 9, v0
	ds_store_b32 v70, v27
	s_wait_dscnt 0x0
	s_barrier_signal -1
	s_barrier_wait -1
	s_and_saveexec_b32 s4, s1
	s_cbranch_execz .LBB79_81
; %bb.66:
	s_and_not1_b32 vcc_lo, exec_lo, s20
	s_cbranch_vccnz .LBB79_68
; %bb.67:
	v_cmp_eq_u32_e32 vcc_lo, 1, v0
	ds_load_b32 v67, v70
	v_cndmask_b32_e32 v66, v18, v19, vcc_lo
	v_cmp_eq_u32_e32 vcc_lo, 2, v0
	s_delay_alu instid0(VALU_DEP_2) | instskip(SKIP_1) | instid1(VALU_DEP_2)
	v_cndmask_b32_e32 v66, v66, v20, vcc_lo
	v_cmp_eq_u32_e32 vcc_lo, 3, v0
	v_cndmask_b32_e32 v66, v66, v21, vcc_lo
	v_cmp_eq_u32_e32 vcc_lo, 4, v0
	s_delay_alu instid0(VALU_DEP_2) | instskip(SKIP_1) | instid1(VALU_DEP_2)
	v_cndmask_b32_e32 v66, v66, v22, vcc_lo
	v_cmp_eq_u32_e32 vcc_lo, 5, v0
	;; [unrolled: 5-line block ×7, first 2 shown]
	v_cndmask_b32_e32 v66, v66, v33, vcc_lo
	s_wait_dscnt 0x0
	s_delay_alu instid0(VALU_DEP_1)
	v_mul_f32_e32 v69, v66, v67
	s_cbranch_execz .LBB79_69
	s_branch .LBB79_70
.LBB79_68:
                                        ; implicit-def: $vgpr69
.LBB79_69:
	ds_load_b32 v69, v70
.LBB79_70:
	s_and_saveexec_b32 s5, s0
	s_cbranch_execz .LBB79_80
; %bb.71:
	v_dual_add_nc_u32 v66, -11, v0 :: v_dual_add_nc_u32 v67, -10, v0
	s_delay_alu instid0(VALU_DEP_1)
	v_cmp_lt_u32_e32 vcc_lo, 6, v66
	v_mov_b32_e32 v66, 10
	s_and_saveexec_b32 s0, vcc_lo
	s_cbranch_execz .LBB79_75
; %bb.72:
	v_and_b32_e32 v66, -8, v67
	s_mov_b32 s6, 0
	s_mov_b64 s[2:3], 17
	s_movk_i32 s7, 0x68
	s_delay_alu instid0(VALU_DEP_1)
	v_sub_nc_u32_e32 v68, 0, v66
.LBB79_73:                              ; =>This Inner Loop Header: Depth=1
	s_add_co_i32 m0, s2, -7
	v_movrels_b32_e32 v71, v18
	v_mov_b32_e32 v66, s7
	s_add_co_i32 m0, s2, -6
	s_add_co_i32 s7, s7, 32
	v_movrels_b32_e32 v80, v18
	s_add_co_i32 m0, s2, -5
	ds_load_2addr_b64 v[72:75], v66 offset1:1
	ds_load_2addr_b64 v[76:79], v66 offset0:2 offset1:3
	v_movrels_b32_e32 v66, v18
	s_add_co_i32 m0, s2, -4
	s_wait_dscnt 0x1
	v_fmac_f32_e32 v69, v71, v72
	v_movrels_b32_e32 v71, v18
	s_add_co_i32 m0, s2, -3
	s_delay_alu instid0(VALU_DEP_2) | instskip(NEXT) | instid1(VALU_DEP_1)
	v_fmac_f32_e32 v69, v80, v73
	v_fmac_f32_e32 v69, v66, v74
	v_movrels_b32_e32 v66, v18
	s_add_co_i32 m0, s2, -2
	s_delay_alu instid0(VALU_DEP_2) | instskip(SKIP_3) | instid1(VALU_DEP_2)
	v_fmac_f32_e32 v69, v71, v75
	v_movrels_b32_e32 v71, v18
	s_add_co_i32 m0, s2, -1
	s_wait_dscnt 0x0
	v_fmac_f32_e32 v69, v66, v76
	v_movrels_b32_e32 v66, v18
	s_mov_b32 m0, s2
	s_add_nc_u64 s[2:3], s[2:3], 8
	v_movrels_b32_e32 v72, v18
	v_dual_fmac_f32 v69, v71, v77 :: v_dual_add_nc_u32 v71, s2, v68
	s_add_co_i32 s8, s2, -7
	s_delay_alu instid0(VALU_DEP_1) | instskip(NEXT) | instid1(VALU_DEP_2)
	v_fmac_f32_e32 v69, v66, v78
	v_cmp_eq_u32_e32 vcc_lo, 17, v71
	s_delay_alu instid0(VALU_DEP_2) | instskip(SKIP_1) | instid1(SALU_CYCLE_1)
	v_dual_mov_b32 v66, s8 :: v_dual_fmac_f32 v69, v72, v79
	s_or_b32 s6, vcc_lo, s6
	s_and_not1_b32 exec_lo, exec_lo, s6
	s_cbranch_execnz .LBB79_73
; %bb.74:
	s_or_b32 exec_lo, exec_lo, s6
.LBB79_75:
	s_delay_alu instid0(SALU_CYCLE_1) | instskip(SKIP_3) | instid1(VALU_DEP_1)
	s_or_b32 exec_lo, exec_lo, s0
	v_and_b32_e32 v68, 7, v67
	s_mov_b32 s2, 0
	s_mov_b32 s0, exec_lo
	v_cmpx_ne_u32_e32 0, v68
	s_cbranch_execz .LBB79_79
; %bb.76:
	v_lshl_add_u32 v71, v66, 2, 64
	v_mov_b32_e32 v67, 0
.LBB79_77:                              ; =>This Inner Loop Header: Depth=1
	v_cmp_eq_u32_e32 vcc_lo, 1, v66
	ds_load_b32 v73, v71
	v_dual_add_nc_u32 v68, -1, v68 :: v_dual_add_nc_u32 v71, 4, v71
	v_cndmask_b32_e32 v72, v18, v19, vcc_lo
	v_cmp_eq_u32_e32 vcc_lo, 2, v66
	s_delay_alu instid0(VALU_DEP_2) | instskip(SKIP_1) | instid1(VALU_DEP_2)
	v_cndmask_b32_e32 v72, v72, v20, vcc_lo
	v_cmp_eq_u32_e32 vcc_lo, 3, v66
	v_cndmask_b32_e32 v72, v72, v21, vcc_lo
	v_cmp_eq_u32_e32 vcc_lo, 4, v66
	s_delay_alu instid0(VALU_DEP_2) | instskip(SKIP_1) | instid1(VALU_DEP_2)
	v_cndmask_b32_e32 v72, v72, v22, vcc_lo
	v_cmp_eq_u32_e32 vcc_lo, 5, v66
	;; [unrolled: 5-line block ×6, first 2 shown]
	v_cndmask_b32_e32 v72, v72, v31, vcc_lo
	v_cmp_eq_u32_e32 vcc_lo, 14, v66
	s_delay_alu instid0(VALU_DEP_2) | instskip(SKIP_2) | instid1(VALU_DEP_3)
	v_cndmask_b32_e32 v72, v72, v32, vcc_lo
	v_cmp_eq_u32_e32 vcc_lo, 15, v66
	v_add_nc_u64_e32 v[66:67], 1, v[66:67]
	v_cndmask_b32_e32 v72, v72, v33, vcc_lo
	v_cmp_eq_u32_e32 vcc_lo, 0, v68
	s_wait_dscnt 0x0
	s_delay_alu instid0(VALU_DEP_2) | instskip(SKIP_1) | instid1(SALU_CYCLE_1)
	v_fmac_f32_e32 v69, v72, v73
	s_or_b32 s2, vcc_lo, s2
	s_and_not1_b32 exec_lo, exec_lo, s2
	s_cbranch_execnz .LBB79_77
; %bb.78:
	s_or_b32 exec_lo, exec_lo, s2
.LBB79_79:
	s_delay_alu instid0(SALU_CYCLE_1)
	s_or_b32 exec_lo, exec_lo, s0
.LBB79_80:
	s_delay_alu instid0(SALU_CYCLE_1)
	s_or_b32 exec_lo, exec_lo, s5
	v_mov_b32_e32 v27, 0
	ds_load_b32 v27, v27 offset:36
	s_wait_dscnt 0x0
	v_mul_f32_e32 v27, v69, v27
.LBB79_81:
	s_or_b32 exec_lo, exec_lo, s4
	v_cmp_lt_u32_e64 s0, 8, v0
	ds_store_b32 v70, v26
	s_wait_dscnt 0x0
	s_barrier_signal -1
	s_barrier_wait -1
	s_and_saveexec_b32 s4, s0
	s_cbranch_execz .LBB79_97
; %bb.82:
	s_and_not1_b32 vcc_lo, exec_lo, s20
	s_cbranch_vccnz .LBB79_84
; %bb.83:
	v_cmp_eq_u32_e32 vcc_lo, 1, v0
	ds_load_b32 v67, v70
	v_cndmask_b32_e32 v66, v18, v19, vcc_lo
	v_cmp_eq_u32_e32 vcc_lo, 2, v0
	s_delay_alu instid0(VALU_DEP_2) | instskip(SKIP_1) | instid1(VALU_DEP_2)
	v_cndmask_b32_e32 v66, v66, v20, vcc_lo
	v_cmp_eq_u32_e32 vcc_lo, 3, v0
	v_cndmask_b32_e32 v66, v66, v21, vcc_lo
	v_cmp_eq_u32_e32 vcc_lo, 4, v0
	s_delay_alu instid0(VALU_DEP_2) | instskip(SKIP_1) | instid1(VALU_DEP_2)
	v_cndmask_b32_e32 v66, v66, v22, vcc_lo
	v_cmp_eq_u32_e32 vcc_lo, 5, v0
	;; [unrolled: 5-line block ×7, first 2 shown]
	v_cndmask_b32_e32 v66, v66, v33, vcc_lo
	s_wait_dscnt 0x0
	s_delay_alu instid0(VALU_DEP_1)
	v_mul_f32_e32 v69, v66, v67
	s_cbranch_execz .LBB79_85
	s_branch .LBB79_86
.LBB79_84:
                                        ; implicit-def: $vgpr69
.LBB79_85:
	ds_load_b32 v69, v70
.LBB79_86:
	s_and_saveexec_b32 s5, s1
	s_cbranch_execz .LBB79_96
; %bb.87:
	v_dual_add_nc_u32 v66, -10, v0 :: v_dual_add_nc_u32 v67, -9, v0
	s_delay_alu instid0(VALU_DEP_1)
	v_cmp_lt_u32_e32 vcc_lo, 6, v66
	v_mov_b32_e32 v66, 9
	s_and_saveexec_b32 s1, vcc_lo
	s_cbranch_execz .LBB79_91
; %bb.88:
	v_and_b32_e32 v66, -8, v67
	s_mov_b32 s6, 0
	s_mov_b64 s[2:3], 16
	s_movk_i32 s7, 0x64
	s_delay_alu instid0(VALU_DEP_1)
	v_sub_nc_u32_e32 v68, 0, v66
.LBB79_89:                              ; =>This Inner Loop Header: Depth=1
	s_add_co_i32 m0, s2, -7
	v_movrels_b32_e32 v71, v18
	v_mov_b32_e32 v66, s7
	s_add_co_i32 m0, s2, -6
	s_add_co_i32 s7, s7, 32
	v_movrels_b32_e32 v80, v18
	ds_load_2addr_b32 v[72:73], v66 offset1:1
	ds_load_2addr_b32 v[74:75], v66 offset0:2 offset1:3
	s_add_co_i32 m0, s2, -5
	s_wait_dscnt 0x1
	v_fmac_f32_e32 v69, v71, v72
	ds_load_2addr_b32 v[76:77], v66 offset0:4 offset1:5
	ds_load_2addr_b32 v[78:79], v66 offset0:6 offset1:7
	v_movrels_b32_e32 v66, v18
	s_add_co_i32 m0, s2, -4
	v_fmac_f32_e32 v69, v80, v73
	v_movrels_b32_e32 v71, v18
	s_add_co_i32 m0, s2, -3
	s_wait_dscnt 0x2
	s_delay_alu instid0(VALU_DEP_2) | instskip(SKIP_2) | instid1(VALU_DEP_2)
	v_fmac_f32_e32 v69, v66, v74
	v_movrels_b32_e32 v66, v18
	s_add_co_i32 m0, s2, -2
	v_fmac_f32_e32 v69, v71, v75
	v_movrels_b32_e32 v71, v18
	s_add_co_i32 m0, s2, -1
	s_wait_dscnt 0x1
	s_delay_alu instid0(VALU_DEP_2)
	v_fmac_f32_e32 v69, v66, v76
	v_movrels_b32_e32 v66, v18
	s_mov_b32 m0, s2
	s_add_nc_u64 s[2:3], s[2:3], 8
	v_movrels_b32_e32 v72, v18
	v_dual_fmac_f32 v69, v71, v77 :: v_dual_add_nc_u32 v71, s2, v68
	s_add_co_i32 s8, s2, -7
	s_wait_dscnt 0x0
	s_delay_alu instid0(VALU_DEP_1) | instskip(NEXT) | instid1(VALU_DEP_2)
	v_fmac_f32_e32 v69, v66, v78
	v_cmp_eq_u32_e32 vcc_lo, 16, v71
	s_delay_alu instid0(VALU_DEP_2) | instskip(SKIP_1) | instid1(SALU_CYCLE_1)
	v_dual_mov_b32 v66, s8 :: v_dual_fmac_f32 v69, v72, v79
	s_or_b32 s6, vcc_lo, s6
	s_and_not1_b32 exec_lo, exec_lo, s6
	s_cbranch_execnz .LBB79_89
; %bb.90:
	s_or_b32 exec_lo, exec_lo, s6
.LBB79_91:
	s_delay_alu instid0(SALU_CYCLE_1) | instskip(SKIP_3) | instid1(VALU_DEP_1)
	s_or_b32 exec_lo, exec_lo, s1
	v_and_b32_e32 v68, 7, v67
	s_mov_b32 s2, 0
	s_mov_b32 s1, exec_lo
	v_cmpx_ne_u32_e32 0, v68
	s_cbranch_execz .LBB79_95
; %bb.92:
	v_lshl_add_u32 v71, v66, 2, 64
	v_mov_b32_e32 v67, 0
.LBB79_93:                              ; =>This Inner Loop Header: Depth=1
	v_cmp_eq_u32_e32 vcc_lo, 1, v66
	ds_load_b32 v73, v71
	v_dual_add_nc_u32 v68, -1, v68 :: v_dual_add_nc_u32 v71, 4, v71
	v_cndmask_b32_e32 v72, v18, v19, vcc_lo
	v_cmp_eq_u32_e32 vcc_lo, 2, v66
	s_delay_alu instid0(VALU_DEP_2) | instskip(SKIP_1) | instid1(VALU_DEP_2)
	v_cndmask_b32_e32 v72, v72, v20, vcc_lo
	v_cmp_eq_u32_e32 vcc_lo, 3, v66
	v_cndmask_b32_e32 v72, v72, v21, vcc_lo
	v_cmp_eq_u32_e32 vcc_lo, 4, v66
	s_delay_alu instid0(VALU_DEP_2) | instskip(SKIP_1) | instid1(VALU_DEP_2)
	v_cndmask_b32_e32 v72, v72, v22, vcc_lo
	v_cmp_eq_u32_e32 vcc_lo, 5, v66
	;; [unrolled: 5-line block ×6, first 2 shown]
	v_cndmask_b32_e32 v72, v72, v31, vcc_lo
	v_cmp_eq_u32_e32 vcc_lo, 14, v66
	s_delay_alu instid0(VALU_DEP_2) | instskip(SKIP_2) | instid1(VALU_DEP_3)
	v_cndmask_b32_e32 v72, v72, v32, vcc_lo
	v_cmp_eq_u32_e32 vcc_lo, 15, v66
	v_add_nc_u64_e32 v[66:67], 1, v[66:67]
	v_cndmask_b32_e32 v72, v72, v33, vcc_lo
	v_cmp_eq_u32_e32 vcc_lo, 0, v68
	s_wait_dscnt 0x0
	s_delay_alu instid0(VALU_DEP_2) | instskip(SKIP_1) | instid1(SALU_CYCLE_1)
	v_fmac_f32_e32 v69, v72, v73
	s_or_b32 s2, vcc_lo, s2
	s_and_not1_b32 exec_lo, exec_lo, s2
	s_cbranch_execnz .LBB79_93
; %bb.94:
	s_or_b32 exec_lo, exec_lo, s2
.LBB79_95:
	s_delay_alu instid0(SALU_CYCLE_1)
	s_or_b32 exec_lo, exec_lo, s1
.LBB79_96:
	s_delay_alu instid0(SALU_CYCLE_1)
	s_or_b32 exec_lo, exec_lo, s5
	v_mov_b32_e32 v26, 0
	ds_load_b32 v26, v26 offset:32
	s_wait_dscnt 0x0
	v_mul_f32_e32 v26, v69, v26
.LBB79_97:
	s_or_b32 exec_lo, exec_lo, s4
	v_cmp_lt_u32_e64 s1, 7, v0
	ds_store_b32 v70, v25
	s_wait_dscnt 0x0
	s_barrier_signal -1
	s_barrier_wait -1
	s_and_saveexec_b32 s4, s1
	s_cbranch_execz .LBB79_113
; %bb.98:
	s_and_not1_b32 vcc_lo, exec_lo, s20
	s_cbranch_vccnz .LBB79_100
; %bb.99:
	v_cmp_eq_u32_e32 vcc_lo, 1, v0
	ds_load_b32 v67, v70
	v_cndmask_b32_e32 v66, v18, v19, vcc_lo
	v_cmp_eq_u32_e32 vcc_lo, 2, v0
	s_delay_alu instid0(VALU_DEP_2) | instskip(SKIP_1) | instid1(VALU_DEP_2)
	v_cndmask_b32_e32 v66, v66, v20, vcc_lo
	v_cmp_eq_u32_e32 vcc_lo, 3, v0
	v_cndmask_b32_e32 v66, v66, v21, vcc_lo
	v_cmp_eq_u32_e32 vcc_lo, 4, v0
	s_delay_alu instid0(VALU_DEP_2) | instskip(SKIP_1) | instid1(VALU_DEP_2)
	v_cndmask_b32_e32 v66, v66, v22, vcc_lo
	v_cmp_eq_u32_e32 vcc_lo, 5, v0
	v_cndmask_b32_e32 v66, v66, v23, vcc_lo
	v_cmp_eq_u32_e32 vcc_lo, 6, v0
	s_delay_alu instid0(VALU_DEP_2) | instskip(SKIP_1) | instid1(VALU_DEP_2)
	v_cndmask_b32_e32 v66, v66, v24, vcc_lo
	v_cmp_eq_u32_e32 vcc_lo, 7, v0
	v_cndmask_b32_e32 v66, v66, v25, vcc_lo
	v_cmp_eq_u32_e32 vcc_lo, 8, v0
	s_delay_alu instid0(VALU_DEP_2) | instskip(SKIP_1) | instid1(VALU_DEP_2)
	v_cndmask_b32_e32 v66, v66, v26, vcc_lo
	v_cmp_eq_u32_e32 vcc_lo, 9, v0
	v_cndmask_b32_e32 v66, v66, v27, vcc_lo
	v_cmp_eq_u32_e32 vcc_lo, 10, v0
	s_delay_alu instid0(VALU_DEP_2) | instskip(SKIP_1) | instid1(VALU_DEP_2)
	v_cndmask_b32_e32 v66, v66, v28, vcc_lo
	v_cmp_eq_u32_e32 vcc_lo, 11, v0
	v_cndmask_b32_e32 v66, v66, v29, vcc_lo
	v_cmp_eq_u32_e32 vcc_lo, 12, v0
	s_delay_alu instid0(VALU_DEP_2) | instskip(SKIP_1) | instid1(VALU_DEP_2)
	v_cndmask_b32_e32 v66, v66, v30, vcc_lo
	v_cmp_eq_u32_e32 vcc_lo, 13, v0
	v_cndmask_b32_e32 v66, v66, v31, vcc_lo
	v_cmp_eq_u32_e32 vcc_lo, 14, v0
	s_delay_alu instid0(VALU_DEP_2) | instskip(SKIP_1) | instid1(VALU_DEP_2)
	v_cndmask_b32_e32 v66, v66, v32, vcc_lo
	v_cmp_eq_u32_e32 vcc_lo, 15, v0
	v_cndmask_b32_e32 v66, v66, v33, vcc_lo
	s_wait_dscnt 0x0
	s_delay_alu instid0(VALU_DEP_1)
	v_mul_f32_e32 v71, v66, v67
	s_cbranch_execz .LBB79_101
	s_branch .LBB79_102
.LBB79_100:
                                        ; implicit-def: $vgpr71
.LBB79_101:
	ds_load_b32 v71, v70
.LBB79_102:
	s_and_saveexec_b32 s5, s0
	s_cbranch_execz .LBB79_112
; %bb.103:
	v_add_nc_u32_e32 v66, -9, v0
	s_delay_alu instid0(VALU_DEP_1)
	v_cmp_lt_u32_e32 vcc_lo, 6, v66
	v_mov_b32_e32 v66, 8
	s_and_saveexec_b32 s0, vcc_lo
	s_cbranch_execz .LBB79_107
; %bb.104:
	v_bfe_u32 v66, v0, 3, 1
	v_mov_b32_e32 v67, 0
	s_mov_b64 s[2:3], 0xfffffff8
	s_movk_i32 s7, 0x60
	s_mov_b32 s6, 0
	s_delay_alu instid0(VALU_DEP_1)
	v_mul_u64_e32 v[68:69], s[2:3], v[66:67]
	s_mov_b64 s[2:3], 15
.LBB79_105:                             ; =>This Inner Loop Header: Depth=1
	s_delay_alu instid0(SALU_CYCLE_1)
	s_add_co_i32 m0, s2, -7
	v_movrels_b32_e32 v67, v18
	v_mov_b32_e32 v66, s7
	s_add_co_i32 m0, s2, -6
	s_add_co_i32 s7, s7, 32
	v_movrels_b32_e32 v69, v18
	s_add_co_i32 m0, s2, -5
	ds_load_b128 v[72:75], v66
	ds_load_b128 v[76:79], v66 offset:16
	v_movrels_b32_e32 v66, v18
	s_add_co_i32 m0, s2, -4
	s_wait_dscnt 0x1
	v_fmac_f32_e32 v71, v67, v72
	v_movrels_b32_e32 v67, v18
	s_add_co_i32 m0, s2, -3
	s_delay_alu instid0(VALU_DEP_2) | instskip(NEXT) | instid1(VALU_DEP_1)
	v_fmac_f32_e32 v71, v69, v73
	v_fmac_f32_e32 v71, v66, v74
	v_movrels_b32_e32 v66, v18
	s_add_co_i32 m0, s2, -2
	s_delay_alu instid0(VALU_DEP_2) | instskip(SKIP_3) | instid1(VALU_DEP_2)
	v_fmac_f32_e32 v71, v67, v75
	v_movrels_b32_e32 v67, v18
	s_add_co_i32 m0, s2, -1
	s_wait_dscnt 0x0
	v_fmac_f32_e32 v71, v66, v76
	v_movrels_b32_e32 v66, v18
	s_mov_b32 m0, s2
	s_add_nc_u64 s[2:3], s[2:3], 8
	v_movrels_b32_e32 v69, v18
	v_dual_fmac_f32 v71, v67, v77 :: v_dual_add_nc_u32 v67, s2, v68
	s_add_co_i32 s8, s2, -7
	s_delay_alu instid0(VALU_DEP_1) | instskip(NEXT) | instid1(VALU_DEP_2)
	v_fmac_f32_e32 v71, v66, v78
	v_cmp_eq_u32_e32 vcc_lo, 7, v67
	s_delay_alu instid0(VALU_DEP_2) | instskip(SKIP_1) | instid1(SALU_CYCLE_1)
	v_dual_mov_b32 v66, s8 :: v_dual_fmac_f32 v71, v69, v79
	s_or_b32 s6, vcc_lo, s6
	s_and_not1_b32 exec_lo, exec_lo, s6
	s_cbranch_execnz .LBB79_105
; %bb.106:
	s_or_b32 exec_lo, exec_lo, s6
.LBB79_107:
	s_delay_alu instid0(SALU_CYCLE_1) | instskip(SKIP_3) | instid1(VALU_DEP_1)
	s_or_b32 exec_lo, exec_lo, s0
	v_and_b32_e32 v68, 7, v0
	s_mov_b32 s2, 0
	s_mov_b32 s0, exec_lo
	v_cmpx_ne_u32_e32 0, v68
	s_cbranch_execz .LBB79_111
; %bb.108:
	v_lshl_add_u32 v69, v66, 2, 64
	v_mov_b32_e32 v67, 0
.LBB79_109:                             ; =>This Inner Loop Header: Depth=1
	v_cmp_eq_u32_e32 vcc_lo, 1, v66
	ds_load_b32 v73, v69
	v_dual_add_nc_u32 v68, -1, v68 :: v_dual_add_nc_u32 v69, 4, v69
	v_cndmask_b32_e32 v72, v18, v19, vcc_lo
	v_cmp_eq_u32_e32 vcc_lo, 2, v66
	s_delay_alu instid0(VALU_DEP_2) | instskip(SKIP_1) | instid1(VALU_DEP_2)
	v_cndmask_b32_e32 v72, v72, v20, vcc_lo
	v_cmp_eq_u32_e32 vcc_lo, 3, v66
	v_cndmask_b32_e32 v72, v72, v21, vcc_lo
	v_cmp_eq_u32_e32 vcc_lo, 4, v66
	s_delay_alu instid0(VALU_DEP_2) | instskip(SKIP_1) | instid1(VALU_DEP_2)
	v_cndmask_b32_e32 v72, v72, v22, vcc_lo
	v_cmp_eq_u32_e32 vcc_lo, 5, v66
	v_cndmask_b32_e32 v72, v72, v23, vcc_lo
	v_cmp_eq_u32_e32 vcc_lo, 6, v66
	s_delay_alu instid0(VALU_DEP_2) | instskip(SKIP_1) | instid1(VALU_DEP_2)
	v_cndmask_b32_e32 v72, v72, v24, vcc_lo
	v_cmp_eq_u32_e32 vcc_lo, 7, v66
	v_cndmask_b32_e32 v72, v72, v25, vcc_lo
	v_cmp_eq_u32_e32 vcc_lo, 8, v66
	s_delay_alu instid0(VALU_DEP_2) | instskip(SKIP_1) | instid1(VALU_DEP_2)
	v_cndmask_b32_e32 v72, v72, v26, vcc_lo
	v_cmp_eq_u32_e32 vcc_lo, 9, v66
	v_cndmask_b32_e32 v72, v72, v27, vcc_lo
	v_cmp_eq_u32_e32 vcc_lo, 10, v66
	s_delay_alu instid0(VALU_DEP_2) | instskip(SKIP_1) | instid1(VALU_DEP_2)
	v_cndmask_b32_e32 v72, v72, v28, vcc_lo
	v_cmp_eq_u32_e32 vcc_lo, 11, v66
	v_cndmask_b32_e32 v72, v72, v29, vcc_lo
	v_cmp_eq_u32_e32 vcc_lo, 12, v66
	s_delay_alu instid0(VALU_DEP_2) | instskip(SKIP_1) | instid1(VALU_DEP_2)
	v_cndmask_b32_e32 v72, v72, v30, vcc_lo
	v_cmp_eq_u32_e32 vcc_lo, 13, v66
	v_cndmask_b32_e32 v72, v72, v31, vcc_lo
	v_cmp_eq_u32_e32 vcc_lo, 14, v66
	s_delay_alu instid0(VALU_DEP_2) | instskip(SKIP_2) | instid1(VALU_DEP_3)
	v_cndmask_b32_e32 v72, v72, v32, vcc_lo
	v_cmp_eq_u32_e32 vcc_lo, 15, v66
	v_add_nc_u64_e32 v[66:67], 1, v[66:67]
	v_cndmask_b32_e32 v72, v72, v33, vcc_lo
	v_cmp_eq_u32_e32 vcc_lo, 0, v68
	s_wait_dscnt 0x0
	s_delay_alu instid0(VALU_DEP_2) | instskip(SKIP_1) | instid1(SALU_CYCLE_1)
	v_fmac_f32_e32 v71, v72, v73
	s_or_b32 s2, vcc_lo, s2
	s_and_not1_b32 exec_lo, exec_lo, s2
	s_cbranch_execnz .LBB79_109
; %bb.110:
	s_or_b32 exec_lo, exec_lo, s2
.LBB79_111:
	s_delay_alu instid0(SALU_CYCLE_1)
	s_or_b32 exec_lo, exec_lo, s0
.LBB79_112:
	s_delay_alu instid0(SALU_CYCLE_1)
	s_or_b32 exec_lo, exec_lo, s5
	v_mov_b32_e32 v25, 0
	ds_load_b32 v25, v25 offset:28
	s_wait_dscnt 0x0
	v_mul_f32_e32 v25, v71, v25
.LBB79_113:
	s_or_b32 exec_lo, exec_lo, s4
	v_cmp_lt_u32_e64 s0, 6, v0
	ds_store_b32 v70, v24
	s_wait_dscnt 0x0
	s_barrier_signal -1
	s_barrier_wait -1
	s_and_saveexec_b32 s4, s0
	s_cbranch_execz .LBB79_129
; %bb.114:
	s_and_not1_b32 vcc_lo, exec_lo, s20
	s_cbranch_vccnz .LBB79_116
; %bb.115:
	v_cmp_eq_u32_e32 vcc_lo, 1, v0
	ds_load_b32 v67, v70
	v_cndmask_b32_e32 v66, v18, v19, vcc_lo
	v_cmp_eq_u32_e32 vcc_lo, 2, v0
	s_delay_alu instid0(VALU_DEP_2) | instskip(SKIP_1) | instid1(VALU_DEP_2)
	v_cndmask_b32_e32 v66, v66, v20, vcc_lo
	v_cmp_eq_u32_e32 vcc_lo, 3, v0
	v_cndmask_b32_e32 v66, v66, v21, vcc_lo
	v_cmp_eq_u32_e32 vcc_lo, 4, v0
	s_delay_alu instid0(VALU_DEP_2) | instskip(SKIP_1) | instid1(VALU_DEP_2)
	v_cndmask_b32_e32 v66, v66, v22, vcc_lo
	v_cmp_eq_u32_e32 vcc_lo, 5, v0
	;; [unrolled: 5-line block ×7, first 2 shown]
	v_cndmask_b32_e32 v66, v66, v33, vcc_lo
	s_wait_dscnt 0x0
	s_delay_alu instid0(VALU_DEP_1)
	v_mul_f32_e32 v69, v66, v67
	s_cbranch_execz .LBB79_117
	s_branch .LBB79_118
.LBB79_116:
                                        ; implicit-def: $vgpr69
.LBB79_117:
	ds_load_b32 v69, v70
.LBB79_118:
	s_and_saveexec_b32 s5, s1
	s_cbranch_execz .LBB79_128
; %bb.119:
	v_dual_add_nc_u32 v66, -8, v0 :: v_dual_add_nc_u32 v67, -7, v0
	s_delay_alu instid0(VALU_DEP_1)
	v_cmp_lt_u32_e32 vcc_lo, 6, v66
	v_mov_b32_e32 v66, 7
	s_and_saveexec_b32 s1, vcc_lo
	s_cbranch_execz .LBB79_123
; %bb.120:
	v_and_b32_e32 v66, -8, v67
	s_mov_b32 s6, 0
	s_mov_b64 s[2:3], 14
	s_movk_i32 s7, 0x5c
	s_delay_alu instid0(VALU_DEP_1)
	v_sub_nc_u32_e32 v68, 0, v66
.LBB79_121:                             ; =>This Inner Loop Header: Depth=1
	s_add_co_i32 m0, s2, -7
	v_movrels_b32_e32 v71, v18
	v_mov_b32_e32 v66, s7
	s_add_co_i32 m0, s2, -6
	s_add_co_i32 s7, s7, 32
	v_movrels_b32_e32 v80, v18
	ds_load_2addr_b32 v[72:73], v66 offset1:1
	ds_load_2addr_b32 v[74:75], v66 offset0:2 offset1:3
	s_add_co_i32 m0, s2, -5
	s_wait_dscnt 0x1
	v_fmac_f32_e32 v69, v71, v72
	ds_load_2addr_b32 v[76:77], v66 offset0:4 offset1:5
	ds_load_2addr_b32 v[78:79], v66 offset0:6 offset1:7
	v_movrels_b32_e32 v66, v18
	s_add_co_i32 m0, s2, -4
	v_fmac_f32_e32 v69, v80, v73
	v_movrels_b32_e32 v71, v18
	s_add_co_i32 m0, s2, -3
	s_wait_dscnt 0x2
	s_delay_alu instid0(VALU_DEP_2) | instskip(SKIP_2) | instid1(VALU_DEP_2)
	v_fmac_f32_e32 v69, v66, v74
	v_movrels_b32_e32 v66, v18
	s_add_co_i32 m0, s2, -2
	v_fmac_f32_e32 v69, v71, v75
	v_movrels_b32_e32 v71, v18
	s_add_co_i32 m0, s2, -1
	s_wait_dscnt 0x1
	s_delay_alu instid0(VALU_DEP_2)
	v_fmac_f32_e32 v69, v66, v76
	v_movrels_b32_e32 v66, v18
	s_mov_b32 m0, s2
	s_add_nc_u64 s[2:3], s[2:3], 8
	v_movrels_b32_e32 v72, v18
	v_dual_fmac_f32 v69, v71, v77 :: v_dual_add_nc_u32 v71, s2, v68
	s_add_co_i32 s8, s2, -7
	s_wait_dscnt 0x0
	s_delay_alu instid0(VALU_DEP_1) | instskip(NEXT) | instid1(VALU_DEP_2)
	v_fmac_f32_e32 v69, v66, v78
	v_cmp_eq_u32_e32 vcc_lo, 14, v71
	s_delay_alu instid0(VALU_DEP_2) | instskip(SKIP_1) | instid1(SALU_CYCLE_1)
	v_dual_mov_b32 v66, s8 :: v_dual_fmac_f32 v69, v72, v79
	s_or_b32 s6, vcc_lo, s6
	s_and_not1_b32 exec_lo, exec_lo, s6
	s_cbranch_execnz .LBB79_121
; %bb.122:
	s_or_b32 exec_lo, exec_lo, s6
.LBB79_123:
	s_delay_alu instid0(SALU_CYCLE_1) | instskip(SKIP_3) | instid1(VALU_DEP_1)
	s_or_b32 exec_lo, exec_lo, s1
	v_and_b32_e32 v68, 7, v67
	s_mov_b32 s2, 0
	s_mov_b32 s1, exec_lo
	v_cmpx_ne_u32_e32 0, v68
	s_cbranch_execz .LBB79_127
; %bb.124:
	v_lshl_add_u32 v71, v66, 2, 64
	v_mov_b32_e32 v67, 0
.LBB79_125:                             ; =>This Inner Loop Header: Depth=1
	v_cmp_eq_u32_e32 vcc_lo, 1, v66
	ds_load_b32 v73, v71
	v_dual_add_nc_u32 v68, -1, v68 :: v_dual_add_nc_u32 v71, 4, v71
	v_cndmask_b32_e32 v72, v18, v19, vcc_lo
	v_cmp_eq_u32_e32 vcc_lo, 2, v66
	s_delay_alu instid0(VALU_DEP_2) | instskip(SKIP_1) | instid1(VALU_DEP_2)
	v_cndmask_b32_e32 v72, v72, v20, vcc_lo
	v_cmp_eq_u32_e32 vcc_lo, 3, v66
	v_cndmask_b32_e32 v72, v72, v21, vcc_lo
	v_cmp_eq_u32_e32 vcc_lo, 4, v66
	s_delay_alu instid0(VALU_DEP_2) | instskip(SKIP_1) | instid1(VALU_DEP_2)
	v_cndmask_b32_e32 v72, v72, v22, vcc_lo
	v_cmp_eq_u32_e32 vcc_lo, 5, v66
	;; [unrolled: 5-line block ×6, first 2 shown]
	v_cndmask_b32_e32 v72, v72, v31, vcc_lo
	v_cmp_eq_u32_e32 vcc_lo, 14, v66
	s_delay_alu instid0(VALU_DEP_2) | instskip(SKIP_2) | instid1(VALU_DEP_3)
	v_cndmask_b32_e32 v72, v72, v32, vcc_lo
	v_cmp_eq_u32_e32 vcc_lo, 15, v66
	v_add_nc_u64_e32 v[66:67], 1, v[66:67]
	v_cndmask_b32_e32 v72, v72, v33, vcc_lo
	v_cmp_eq_u32_e32 vcc_lo, 0, v68
	s_wait_dscnt 0x0
	s_delay_alu instid0(VALU_DEP_2) | instskip(SKIP_1) | instid1(SALU_CYCLE_1)
	v_fmac_f32_e32 v69, v72, v73
	s_or_b32 s2, vcc_lo, s2
	s_and_not1_b32 exec_lo, exec_lo, s2
	s_cbranch_execnz .LBB79_125
; %bb.126:
	s_or_b32 exec_lo, exec_lo, s2
.LBB79_127:
	s_delay_alu instid0(SALU_CYCLE_1)
	s_or_b32 exec_lo, exec_lo, s1
.LBB79_128:
	s_delay_alu instid0(SALU_CYCLE_1)
	s_or_b32 exec_lo, exec_lo, s5
	v_mov_b32_e32 v24, 0
	ds_load_b32 v24, v24 offset:24
	s_wait_dscnt 0x0
	v_mul_f32_e32 v24, v69, v24
.LBB79_129:
	s_or_b32 exec_lo, exec_lo, s4
	v_cmp_lt_u32_e64 s1, 5, v0
	ds_store_b32 v70, v23
	s_wait_dscnt 0x0
	s_barrier_signal -1
	s_barrier_wait -1
	s_and_saveexec_b32 s4, s1
	s_cbranch_execz .LBB79_145
; %bb.130:
	s_and_not1_b32 vcc_lo, exec_lo, s20
	s_cbranch_vccnz .LBB79_132
; %bb.131:
	v_cmp_eq_u32_e32 vcc_lo, 1, v0
	ds_load_b32 v67, v70
	v_cndmask_b32_e32 v66, v18, v19, vcc_lo
	v_cmp_eq_u32_e32 vcc_lo, 2, v0
	s_delay_alu instid0(VALU_DEP_2) | instskip(SKIP_1) | instid1(VALU_DEP_2)
	v_cndmask_b32_e32 v66, v66, v20, vcc_lo
	v_cmp_eq_u32_e32 vcc_lo, 3, v0
	v_cndmask_b32_e32 v66, v66, v21, vcc_lo
	v_cmp_eq_u32_e32 vcc_lo, 4, v0
	s_delay_alu instid0(VALU_DEP_2) | instskip(SKIP_1) | instid1(VALU_DEP_2)
	v_cndmask_b32_e32 v66, v66, v22, vcc_lo
	v_cmp_eq_u32_e32 vcc_lo, 5, v0
	;; [unrolled: 5-line block ×7, first 2 shown]
	v_cndmask_b32_e32 v66, v66, v33, vcc_lo
	s_wait_dscnt 0x0
	s_delay_alu instid0(VALU_DEP_1)
	v_mul_f32_e32 v69, v66, v67
	s_cbranch_execz .LBB79_133
	s_branch .LBB79_134
.LBB79_132:
                                        ; implicit-def: $vgpr69
.LBB79_133:
	ds_load_b32 v69, v70
.LBB79_134:
	s_and_saveexec_b32 s5, s0
	s_cbranch_execz .LBB79_144
; %bb.135:
	v_dual_add_nc_u32 v68, -7, v0 :: v_dual_add_nc_u32 v67, -6, v0
	v_mov_b32_e32 v66, 6
	s_mov_b32 s0, exec_lo
	s_delay_alu instid0(VALU_DEP_2)
	v_cmpx_lt_u32_e32 6, v68
	s_cbranch_execz .LBB79_139
; %bb.136:
	v_and_b32_e32 v66, -8, v67
	s_mov_b32 s6, 0
	s_mov_b64 s[2:3], 13
	s_movk_i32 s7, 0x58
	s_delay_alu instid0(VALU_DEP_1)
	v_sub_nc_u32_e32 v68, 0, v66
.LBB79_137:                             ; =>This Inner Loop Header: Depth=1
	s_add_co_i32 m0, s2, -7
	v_movrels_b32_e32 v71, v18
	v_mov_b32_e32 v66, s7
	s_add_co_i32 m0, s2, -6
	s_add_co_i32 s7, s7, 32
	v_movrels_b32_e32 v80, v18
	s_add_co_i32 m0, s2, -5
	ds_load_2addr_b64 v[72:75], v66 offset1:1
	ds_load_2addr_b64 v[76:79], v66 offset0:2 offset1:3
	v_movrels_b32_e32 v66, v18
	s_add_co_i32 m0, s2, -4
	s_wait_dscnt 0x1
	v_fmac_f32_e32 v69, v71, v72
	v_movrels_b32_e32 v71, v18
	s_add_co_i32 m0, s2, -3
	s_delay_alu instid0(VALU_DEP_2) | instskip(NEXT) | instid1(VALU_DEP_1)
	v_fmac_f32_e32 v69, v80, v73
	v_fmac_f32_e32 v69, v66, v74
	v_movrels_b32_e32 v66, v18
	s_add_co_i32 m0, s2, -2
	s_delay_alu instid0(VALU_DEP_2) | instskip(SKIP_3) | instid1(VALU_DEP_2)
	v_fmac_f32_e32 v69, v71, v75
	v_movrels_b32_e32 v71, v18
	s_add_co_i32 m0, s2, -1
	s_wait_dscnt 0x0
	v_fmac_f32_e32 v69, v66, v76
	v_movrels_b32_e32 v66, v18
	s_mov_b32 m0, s2
	s_add_nc_u64 s[2:3], s[2:3], 8
	v_movrels_b32_e32 v72, v18
	v_dual_fmac_f32 v69, v71, v77 :: v_dual_add_nc_u32 v71, s2, v68
	s_add_co_i32 s8, s2, -7
	s_delay_alu instid0(VALU_DEP_1) | instskip(NEXT) | instid1(VALU_DEP_2)
	v_fmac_f32_e32 v69, v66, v78
	v_cmp_eq_u32_e32 vcc_lo, 13, v71
	s_delay_alu instid0(VALU_DEP_2) | instskip(SKIP_1) | instid1(SALU_CYCLE_1)
	v_dual_mov_b32 v66, s8 :: v_dual_fmac_f32 v69, v72, v79
	s_or_b32 s6, vcc_lo, s6
	s_and_not1_b32 exec_lo, exec_lo, s6
	s_cbranch_execnz .LBB79_137
; %bb.138:
	s_or_b32 exec_lo, exec_lo, s6
.LBB79_139:
	s_delay_alu instid0(SALU_CYCLE_1) | instskip(SKIP_3) | instid1(VALU_DEP_1)
	s_or_b32 exec_lo, exec_lo, s0
	v_and_b32_e32 v68, 7, v67
	s_mov_b32 s2, 0
	s_mov_b32 s0, exec_lo
	v_cmpx_ne_u32_e32 0, v68
	s_cbranch_execz .LBB79_143
; %bb.140:
	v_lshl_add_u32 v71, v66, 2, 64
	v_mov_b32_e32 v67, 0
.LBB79_141:                             ; =>This Inner Loop Header: Depth=1
	v_cmp_eq_u32_e32 vcc_lo, 1, v66
	ds_load_b32 v73, v71
	v_dual_add_nc_u32 v68, -1, v68 :: v_dual_add_nc_u32 v71, 4, v71
	v_cndmask_b32_e32 v72, v18, v19, vcc_lo
	v_cmp_eq_u32_e32 vcc_lo, 2, v66
	s_delay_alu instid0(VALU_DEP_2) | instskip(SKIP_1) | instid1(VALU_DEP_2)
	v_cndmask_b32_e32 v72, v72, v20, vcc_lo
	v_cmp_eq_u32_e32 vcc_lo, 3, v66
	v_cndmask_b32_e32 v72, v72, v21, vcc_lo
	v_cmp_eq_u32_e32 vcc_lo, 4, v66
	s_delay_alu instid0(VALU_DEP_2) | instskip(SKIP_1) | instid1(VALU_DEP_2)
	v_cndmask_b32_e32 v72, v72, v22, vcc_lo
	v_cmp_eq_u32_e32 vcc_lo, 5, v66
	;; [unrolled: 5-line block ×6, first 2 shown]
	v_cndmask_b32_e32 v72, v72, v31, vcc_lo
	v_cmp_eq_u32_e32 vcc_lo, 14, v66
	s_delay_alu instid0(VALU_DEP_2) | instskip(SKIP_2) | instid1(VALU_DEP_3)
	v_cndmask_b32_e32 v72, v72, v32, vcc_lo
	v_cmp_eq_u32_e32 vcc_lo, 15, v66
	v_add_nc_u64_e32 v[66:67], 1, v[66:67]
	v_cndmask_b32_e32 v72, v72, v33, vcc_lo
	v_cmp_eq_u32_e32 vcc_lo, 0, v68
	s_wait_dscnt 0x0
	s_delay_alu instid0(VALU_DEP_2) | instskip(SKIP_1) | instid1(SALU_CYCLE_1)
	v_fmac_f32_e32 v69, v72, v73
	s_or_b32 s2, vcc_lo, s2
	s_and_not1_b32 exec_lo, exec_lo, s2
	s_cbranch_execnz .LBB79_141
; %bb.142:
	s_or_b32 exec_lo, exec_lo, s2
.LBB79_143:
	s_delay_alu instid0(SALU_CYCLE_1)
	s_or_b32 exec_lo, exec_lo, s0
.LBB79_144:
	s_delay_alu instid0(SALU_CYCLE_1)
	s_or_b32 exec_lo, exec_lo, s5
	v_mov_b32_e32 v23, 0
	ds_load_b32 v23, v23 offset:20
	s_wait_dscnt 0x0
	v_mul_f32_e32 v23, v69, v23
.LBB79_145:
	s_or_b32 exec_lo, exec_lo, s4
	v_cmp_lt_u32_e64 s0, 4, v0
	ds_store_b32 v70, v22
	s_wait_dscnt 0x0
	s_barrier_signal -1
	s_barrier_wait -1
	s_and_saveexec_b32 s4, s0
	s_cbranch_execz .LBB79_161
; %bb.146:
	s_and_not1_b32 vcc_lo, exec_lo, s20
	s_cbranch_vccnz .LBB79_148
; %bb.147:
	v_cmp_eq_u32_e32 vcc_lo, 1, v0
	ds_load_b32 v67, v70
	v_cndmask_b32_e32 v66, v18, v19, vcc_lo
	v_cmp_eq_u32_e32 vcc_lo, 2, v0
	s_delay_alu instid0(VALU_DEP_2) | instskip(SKIP_1) | instid1(VALU_DEP_2)
	v_cndmask_b32_e32 v66, v66, v20, vcc_lo
	v_cmp_eq_u32_e32 vcc_lo, 3, v0
	v_cndmask_b32_e32 v66, v66, v21, vcc_lo
	v_cmp_eq_u32_e32 vcc_lo, 4, v0
	s_delay_alu instid0(VALU_DEP_2) | instskip(SKIP_1) | instid1(VALU_DEP_2)
	v_cndmask_b32_e32 v66, v66, v22, vcc_lo
	v_cmp_eq_u32_e32 vcc_lo, 5, v0
	;; [unrolled: 5-line block ×7, first 2 shown]
	v_cndmask_b32_e32 v66, v66, v33, vcc_lo
	s_wait_dscnt 0x0
	s_delay_alu instid0(VALU_DEP_1)
	v_mul_f32_e32 v69, v66, v67
	s_cbranch_execz .LBB79_149
	s_branch .LBB79_150
.LBB79_148:
                                        ; implicit-def: $vgpr69
.LBB79_149:
	ds_load_b32 v69, v70
.LBB79_150:
	s_and_saveexec_b32 s5, s1
	s_cbranch_execz .LBB79_160
; %bb.151:
	v_dual_add_nc_u32 v66, -6, v0 :: v_dual_add_nc_u32 v67, -5, v0
	s_delay_alu instid0(VALU_DEP_1)
	v_cmp_lt_u32_e32 vcc_lo, 6, v66
	v_mov_b32_e32 v66, 5
	s_and_saveexec_b32 s1, vcc_lo
	s_cbranch_execz .LBB79_155
; %bb.152:
	v_and_b32_e32 v66, -8, v67
	s_mov_b32 s6, 0
	s_mov_b64 s[2:3], 12
	s_movk_i32 s7, 0x54
	s_delay_alu instid0(VALU_DEP_1)
	v_sub_nc_u32_e32 v68, 0, v66
.LBB79_153:                             ; =>This Inner Loop Header: Depth=1
	s_add_co_i32 m0, s2, -7
	v_movrels_b32_e32 v71, v18
	v_mov_b32_e32 v66, s7
	s_add_co_i32 m0, s2, -6
	s_add_co_i32 s7, s7, 32
	v_movrels_b32_e32 v80, v18
	ds_load_2addr_b32 v[72:73], v66 offset1:1
	ds_load_2addr_b32 v[74:75], v66 offset0:2 offset1:3
	s_add_co_i32 m0, s2, -5
	s_wait_dscnt 0x1
	v_fmac_f32_e32 v69, v71, v72
	ds_load_2addr_b32 v[76:77], v66 offset0:4 offset1:5
	ds_load_2addr_b32 v[78:79], v66 offset0:6 offset1:7
	v_movrels_b32_e32 v66, v18
	s_add_co_i32 m0, s2, -4
	v_fmac_f32_e32 v69, v80, v73
	v_movrels_b32_e32 v71, v18
	s_add_co_i32 m0, s2, -3
	s_wait_dscnt 0x2
	s_delay_alu instid0(VALU_DEP_2) | instskip(SKIP_2) | instid1(VALU_DEP_2)
	v_fmac_f32_e32 v69, v66, v74
	v_movrels_b32_e32 v66, v18
	s_add_co_i32 m0, s2, -2
	v_fmac_f32_e32 v69, v71, v75
	v_movrels_b32_e32 v71, v18
	s_add_co_i32 m0, s2, -1
	s_wait_dscnt 0x1
	s_delay_alu instid0(VALU_DEP_2)
	v_fmac_f32_e32 v69, v66, v76
	v_movrels_b32_e32 v66, v18
	s_mov_b32 m0, s2
	s_add_nc_u64 s[2:3], s[2:3], 8
	v_movrels_b32_e32 v72, v18
	v_dual_fmac_f32 v69, v71, v77 :: v_dual_add_nc_u32 v71, s2, v68
	s_add_co_i32 s8, s2, -7
	s_wait_dscnt 0x0
	s_delay_alu instid0(VALU_DEP_1) | instskip(NEXT) | instid1(VALU_DEP_2)
	v_fmac_f32_e32 v69, v66, v78
	v_cmp_eq_u32_e32 vcc_lo, 12, v71
	s_delay_alu instid0(VALU_DEP_2) | instskip(SKIP_1) | instid1(SALU_CYCLE_1)
	v_dual_mov_b32 v66, s8 :: v_dual_fmac_f32 v69, v72, v79
	s_or_b32 s6, vcc_lo, s6
	s_and_not1_b32 exec_lo, exec_lo, s6
	s_cbranch_execnz .LBB79_153
; %bb.154:
	s_or_b32 exec_lo, exec_lo, s6
.LBB79_155:
	s_delay_alu instid0(SALU_CYCLE_1) | instskip(SKIP_3) | instid1(VALU_DEP_1)
	s_or_b32 exec_lo, exec_lo, s1
	v_and_b32_e32 v68, 7, v67
	s_mov_b32 s2, 0
	s_mov_b32 s1, exec_lo
	v_cmpx_ne_u32_e32 0, v68
	s_cbranch_execz .LBB79_159
; %bb.156:
	v_lshl_add_u32 v71, v66, 2, 64
	v_mov_b32_e32 v67, 0
.LBB79_157:                             ; =>This Inner Loop Header: Depth=1
	v_cmp_eq_u32_e32 vcc_lo, 1, v66
	ds_load_b32 v73, v71
	v_dual_add_nc_u32 v68, -1, v68 :: v_dual_add_nc_u32 v71, 4, v71
	v_cndmask_b32_e32 v72, v18, v19, vcc_lo
	v_cmp_eq_u32_e32 vcc_lo, 2, v66
	s_delay_alu instid0(VALU_DEP_2) | instskip(SKIP_1) | instid1(VALU_DEP_2)
	v_cndmask_b32_e32 v72, v72, v20, vcc_lo
	v_cmp_eq_u32_e32 vcc_lo, 3, v66
	v_cndmask_b32_e32 v72, v72, v21, vcc_lo
	v_cmp_eq_u32_e32 vcc_lo, 4, v66
	s_delay_alu instid0(VALU_DEP_2) | instskip(SKIP_1) | instid1(VALU_DEP_2)
	v_cndmask_b32_e32 v72, v72, v22, vcc_lo
	v_cmp_eq_u32_e32 vcc_lo, 5, v66
	;; [unrolled: 5-line block ×6, first 2 shown]
	v_cndmask_b32_e32 v72, v72, v31, vcc_lo
	v_cmp_eq_u32_e32 vcc_lo, 14, v66
	s_delay_alu instid0(VALU_DEP_2) | instskip(SKIP_2) | instid1(VALU_DEP_3)
	v_cndmask_b32_e32 v72, v72, v32, vcc_lo
	v_cmp_eq_u32_e32 vcc_lo, 15, v66
	v_add_nc_u64_e32 v[66:67], 1, v[66:67]
	v_cndmask_b32_e32 v72, v72, v33, vcc_lo
	v_cmp_eq_u32_e32 vcc_lo, 0, v68
	s_wait_dscnt 0x0
	s_delay_alu instid0(VALU_DEP_2) | instskip(SKIP_1) | instid1(SALU_CYCLE_1)
	v_fmac_f32_e32 v69, v72, v73
	s_or_b32 s2, vcc_lo, s2
	s_and_not1_b32 exec_lo, exec_lo, s2
	s_cbranch_execnz .LBB79_157
; %bb.158:
	s_or_b32 exec_lo, exec_lo, s2
.LBB79_159:
	s_delay_alu instid0(SALU_CYCLE_1)
	s_or_b32 exec_lo, exec_lo, s1
.LBB79_160:
	s_delay_alu instid0(SALU_CYCLE_1)
	s_or_b32 exec_lo, exec_lo, s5
	v_mov_b32_e32 v22, 0
	ds_load_b32 v22, v22 offset:16
	s_wait_dscnt 0x0
	v_mul_f32_e32 v22, v69, v22
.LBB79_161:
	s_or_b32 exec_lo, exec_lo, s4
	v_cmp_lt_u32_e64 s1, 3, v0
	ds_store_b32 v70, v21
	s_wait_dscnt 0x0
	s_barrier_signal -1
	s_barrier_wait -1
	s_and_saveexec_b32 s4, s1
	s_cbranch_execz .LBB79_177
; %bb.162:
	s_and_not1_b32 vcc_lo, exec_lo, s20
	s_cbranch_vccnz .LBB79_164
; %bb.163:
	v_cmp_eq_u32_e32 vcc_lo, 1, v0
	ds_load_b32 v67, v70
	v_cndmask_b32_e32 v66, v18, v19, vcc_lo
	v_cmp_eq_u32_e32 vcc_lo, 2, v0
	s_delay_alu instid0(VALU_DEP_2) | instskip(SKIP_1) | instid1(VALU_DEP_2)
	v_cndmask_b32_e32 v66, v66, v20, vcc_lo
	v_cmp_eq_u32_e32 vcc_lo, 3, v0
	v_cndmask_b32_e32 v66, v66, v21, vcc_lo
	v_cmp_eq_u32_e32 vcc_lo, 4, v0
	s_delay_alu instid0(VALU_DEP_2) | instskip(SKIP_1) | instid1(VALU_DEP_2)
	v_cndmask_b32_e32 v66, v66, v22, vcc_lo
	v_cmp_eq_u32_e32 vcc_lo, 5, v0
	;; [unrolled: 5-line block ×7, first 2 shown]
	v_cndmask_b32_e32 v66, v66, v33, vcc_lo
	s_wait_dscnt 0x0
	s_delay_alu instid0(VALU_DEP_1)
	v_mul_f32_e32 v69, v66, v67
	s_cbranch_execz .LBB79_165
	s_branch .LBB79_166
.LBB79_164:
                                        ; implicit-def: $vgpr69
.LBB79_165:
	ds_load_b32 v69, v70
.LBB79_166:
	s_and_saveexec_b32 s5, s0
	s_cbranch_execz .LBB79_176
; %bb.167:
	v_dual_add_nc_u32 v66, -5, v0 :: v_dual_add_nc_u32 v67, -4, v0
	s_delay_alu instid0(VALU_DEP_1)
	v_cmp_lt_u32_e32 vcc_lo, 6, v66
	v_mov_b32_e32 v66, 4
	s_and_saveexec_b32 s0, vcc_lo
	s_cbranch_execz .LBB79_171
; %bb.168:
	v_and_b32_e32 v66, -8, v67
	s_mov_b32 s6, 0
	s_mov_b64 s[2:3], 5
	s_movk_i32 s7, 0x50
	s_delay_alu instid0(VALU_DEP_1)
	v_sub_nc_u32_e32 v68, 0, v66
.LBB79_169:                             ; =>This Inner Loop Header: Depth=1
	s_add_co_i32 m0, s2, -1
	v_movrels_b32_e32 v71, v18
	v_mov_b32_e32 v66, s7
	s_mov_b32 m0, s2
	s_add_co_i32 s7, s7, 32
	v_movrels_b32_e32 v80, v18
	s_add_co_i32 m0, s2, 1
	ds_load_b128 v[72:75], v66
	ds_load_b128 v[76:79], v66 offset:16
	v_movrels_b32_e32 v66, v18
	s_add_co_i32 m0, s2, 2
	s_wait_dscnt 0x1
	v_fmac_f32_e32 v69, v71, v72
	v_movrels_b32_e32 v71, v18
	s_add_co_i32 m0, s2, 3
	s_delay_alu instid0(VALU_DEP_2) | instskip(NEXT) | instid1(VALU_DEP_1)
	v_fmac_f32_e32 v69, v80, v73
	v_fmac_f32_e32 v69, v66, v74
	v_movrels_b32_e32 v66, v18
	s_add_co_i32 m0, s2, 4
	s_delay_alu instid0(VALU_DEP_2) | instskip(SKIP_3) | instid1(VALU_DEP_2)
	v_fmac_f32_e32 v69, v71, v75
	v_movrels_b32_e32 v71, v18
	s_add_co_i32 m0, s2, 5
	s_wait_dscnt 0x0
	v_fmac_f32_e32 v69, v66, v76
	v_movrels_b32_e32 v66, v18
	s_add_co_i32 m0, s2, 6
	s_add_nc_u64 s[2:3], s[2:3], 8
	v_movrels_b32_e32 v72, v18
	v_dual_fmac_f32 v69, v71, v77 :: v_dual_add_nc_u32 v71, s2, v68
	s_add_co_i32 s8, s2, -1
	s_delay_alu instid0(VALU_DEP_1) | instskip(NEXT) | instid1(VALU_DEP_2)
	v_fmac_f32_e32 v69, v66, v78
	v_cmp_eq_u32_e32 vcc_lo, 5, v71
	s_delay_alu instid0(VALU_DEP_2) | instskip(SKIP_1) | instid1(SALU_CYCLE_1)
	v_dual_mov_b32 v66, s8 :: v_dual_fmac_f32 v69, v72, v79
	s_or_b32 s6, vcc_lo, s6
	s_and_not1_b32 exec_lo, exec_lo, s6
	s_cbranch_execnz .LBB79_169
; %bb.170:
	s_or_b32 exec_lo, exec_lo, s6
.LBB79_171:
	s_delay_alu instid0(SALU_CYCLE_1) | instskip(SKIP_3) | instid1(VALU_DEP_1)
	s_or_b32 exec_lo, exec_lo, s0
	v_and_b32_e32 v68, 7, v67
	s_mov_b32 s2, 0
	s_mov_b32 s0, exec_lo
	v_cmpx_ne_u32_e32 0, v68
	s_cbranch_execz .LBB79_175
; %bb.172:
	v_lshl_add_u32 v71, v66, 2, 64
	v_mov_b32_e32 v67, 0
.LBB79_173:                             ; =>This Inner Loop Header: Depth=1
	v_cmp_eq_u32_e32 vcc_lo, 1, v66
	ds_load_b32 v73, v71
	v_dual_add_nc_u32 v68, -1, v68 :: v_dual_add_nc_u32 v71, 4, v71
	v_cndmask_b32_e32 v72, v18, v19, vcc_lo
	v_cmp_eq_u32_e32 vcc_lo, 2, v66
	s_delay_alu instid0(VALU_DEP_2) | instskip(SKIP_1) | instid1(VALU_DEP_2)
	v_cndmask_b32_e32 v72, v72, v20, vcc_lo
	v_cmp_eq_u32_e32 vcc_lo, 3, v66
	v_cndmask_b32_e32 v72, v72, v21, vcc_lo
	v_cmp_eq_u32_e32 vcc_lo, 4, v66
	s_delay_alu instid0(VALU_DEP_2) | instskip(SKIP_1) | instid1(VALU_DEP_2)
	v_cndmask_b32_e32 v72, v72, v22, vcc_lo
	v_cmp_eq_u32_e32 vcc_lo, 5, v66
	;; [unrolled: 5-line block ×6, first 2 shown]
	v_cndmask_b32_e32 v72, v72, v31, vcc_lo
	v_cmp_eq_u32_e32 vcc_lo, 14, v66
	s_delay_alu instid0(VALU_DEP_2) | instskip(SKIP_2) | instid1(VALU_DEP_3)
	v_cndmask_b32_e32 v72, v72, v32, vcc_lo
	v_cmp_eq_u32_e32 vcc_lo, 15, v66
	v_add_nc_u64_e32 v[66:67], 1, v[66:67]
	v_cndmask_b32_e32 v72, v72, v33, vcc_lo
	v_cmp_eq_u32_e32 vcc_lo, 0, v68
	s_wait_dscnt 0x0
	s_delay_alu instid0(VALU_DEP_2) | instskip(SKIP_1) | instid1(SALU_CYCLE_1)
	v_fmac_f32_e32 v69, v72, v73
	s_or_b32 s2, vcc_lo, s2
	s_and_not1_b32 exec_lo, exec_lo, s2
	s_cbranch_execnz .LBB79_173
; %bb.174:
	s_or_b32 exec_lo, exec_lo, s2
.LBB79_175:
	s_delay_alu instid0(SALU_CYCLE_1)
	s_or_b32 exec_lo, exec_lo, s0
.LBB79_176:
	s_delay_alu instid0(SALU_CYCLE_1)
	s_or_b32 exec_lo, exec_lo, s5
	v_mov_b32_e32 v21, 0
	ds_load_b32 v21, v21 offset:12
	s_wait_dscnt 0x0
	v_mul_f32_e32 v21, v69, v21
.LBB79_177:
	s_or_b32 exec_lo, exec_lo, s4
	v_cmp_lt_u32_e64 s0, 2, v0
	ds_store_b32 v70, v20
	s_wait_dscnt 0x0
	s_barrier_signal -1
	s_barrier_wait -1
	s_and_saveexec_b32 s4, s0
	s_cbranch_execz .LBB79_193
; %bb.178:
	s_and_not1_b32 vcc_lo, exec_lo, s20
	s_cbranch_vccnz .LBB79_180
; %bb.179:
	v_cmp_eq_u32_e32 vcc_lo, 1, v0
	ds_load_b32 v67, v70
	v_cndmask_b32_e32 v66, v18, v19, vcc_lo
	v_cmp_eq_u32_e32 vcc_lo, 2, v0
	s_delay_alu instid0(VALU_DEP_2) | instskip(SKIP_1) | instid1(VALU_DEP_2)
	v_cndmask_b32_e32 v66, v66, v20, vcc_lo
	v_cmp_eq_u32_e32 vcc_lo, 3, v0
	v_cndmask_b32_e32 v66, v66, v21, vcc_lo
	v_cmp_eq_u32_e32 vcc_lo, 4, v0
	s_delay_alu instid0(VALU_DEP_2) | instskip(SKIP_1) | instid1(VALU_DEP_2)
	v_cndmask_b32_e32 v66, v66, v22, vcc_lo
	v_cmp_eq_u32_e32 vcc_lo, 5, v0
	;; [unrolled: 5-line block ×7, first 2 shown]
	v_cndmask_b32_e32 v66, v66, v33, vcc_lo
	s_wait_dscnt 0x0
	s_delay_alu instid0(VALU_DEP_1)
	v_mul_f32_e32 v69, v66, v67
	s_cbranch_execz .LBB79_181
	s_branch .LBB79_182
.LBB79_180:
                                        ; implicit-def: $vgpr69
.LBB79_181:
	ds_load_b32 v69, v70
.LBB79_182:
	s_and_saveexec_b32 s5, s1
	s_cbranch_execz .LBB79_192
; %bb.183:
	v_dual_add_nc_u32 v66, -4, v0 :: v_dual_add_nc_u32 v67, -3, v0
	s_delay_alu instid0(VALU_DEP_1)
	v_cmp_lt_u32_e32 vcc_lo, 6, v66
	v_mov_b32_e32 v66, 3
	s_and_saveexec_b32 s1, vcc_lo
	s_cbranch_execz .LBB79_187
; %bb.184:
	v_and_b32_e32 v66, -8, v67
	s_mov_b32 s6, 0
	s_mov_b64 s[2:3], 10
	s_movk_i32 s7, 0x4c
	s_delay_alu instid0(VALU_DEP_1)
	v_sub_nc_u32_e32 v68, 0, v66
.LBB79_185:                             ; =>This Inner Loop Header: Depth=1
	s_add_co_i32 m0, s2, -7
	v_movrels_b32_e32 v71, v18
	v_mov_b32_e32 v66, s7
	s_add_co_i32 m0, s2, -6
	s_add_co_i32 s7, s7, 32
	v_movrels_b32_e32 v80, v18
	ds_load_2addr_b32 v[72:73], v66 offset1:1
	ds_load_2addr_b32 v[74:75], v66 offset0:2 offset1:3
	s_add_co_i32 m0, s2, -5
	s_wait_dscnt 0x1
	v_fmac_f32_e32 v69, v71, v72
	ds_load_2addr_b32 v[76:77], v66 offset0:4 offset1:5
	ds_load_2addr_b32 v[78:79], v66 offset0:6 offset1:7
	v_movrels_b32_e32 v66, v18
	s_add_co_i32 m0, s2, -4
	v_fmac_f32_e32 v69, v80, v73
	v_movrels_b32_e32 v71, v18
	s_add_co_i32 m0, s2, -3
	s_wait_dscnt 0x2
	s_delay_alu instid0(VALU_DEP_2) | instskip(SKIP_2) | instid1(VALU_DEP_2)
	v_fmac_f32_e32 v69, v66, v74
	v_movrels_b32_e32 v66, v18
	s_add_co_i32 m0, s2, -2
	v_fmac_f32_e32 v69, v71, v75
	v_movrels_b32_e32 v71, v18
	s_add_co_i32 m0, s2, -1
	s_wait_dscnt 0x1
	s_delay_alu instid0(VALU_DEP_2)
	v_fmac_f32_e32 v69, v66, v76
	v_movrels_b32_e32 v66, v18
	s_mov_b32 m0, s2
	s_add_nc_u64 s[2:3], s[2:3], 8
	v_movrels_b32_e32 v72, v18
	v_dual_fmac_f32 v69, v71, v77 :: v_dual_add_nc_u32 v71, s2, v68
	s_add_co_i32 s8, s2, -7
	s_wait_dscnt 0x0
	s_delay_alu instid0(VALU_DEP_1) | instskip(NEXT) | instid1(VALU_DEP_2)
	v_fmac_f32_e32 v69, v66, v78
	v_cmp_eq_u32_e32 vcc_lo, 10, v71
	s_delay_alu instid0(VALU_DEP_2) | instskip(SKIP_1) | instid1(SALU_CYCLE_1)
	v_dual_mov_b32 v66, s8 :: v_dual_fmac_f32 v69, v72, v79
	s_or_b32 s6, vcc_lo, s6
	s_and_not1_b32 exec_lo, exec_lo, s6
	s_cbranch_execnz .LBB79_185
; %bb.186:
	s_or_b32 exec_lo, exec_lo, s6
.LBB79_187:
	s_delay_alu instid0(SALU_CYCLE_1) | instskip(SKIP_3) | instid1(VALU_DEP_1)
	s_or_b32 exec_lo, exec_lo, s1
	v_and_b32_e32 v68, 7, v67
	s_mov_b32 s2, 0
	s_mov_b32 s1, exec_lo
	v_cmpx_ne_u32_e32 0, v68
	s_cbranch_execz .LBB79_191
; %bb.188:
	v_lshl_add_u32 v71, v66, 2, 64
	v_mov_b32_e32 v67, 0
.LBB79_189:                             ; =>This Inner Loop Header: Depth=1
	v_cmp_eq_u32_e32 vcc_lo, 1, v66
	ds_load_b32 v73, v71
	v_dual_add_nc_u32 v68, -1, v68 :: v_dual_add_nc_u32 v71, 4, v71
	v_cndmask_b32_e32 v72, v18, v19, vcc_lo
	v_cmp_eq_u32_e32 vcc_lo, 2, v66
	s_delay_alu instid0(VALU_DEP_2) | instskip(SKIP_1) | instid1(VALU_DEP_2)
	v_cndmask_b32_e32 v72, v72, v20, vcc_lo
	v_cmp_eq_u32_e32 vcc_lo, 3, v66
	v_cndmask_b32_e32 v72, v72, v21, vcc_lo
	v_cmp_eq_u32_e32 vcc_lo, 4, v66
	s_delay_alu instid0(VALU_DEP_2) | instskip(SKIP_1) | instid1(VALU_DEP_2)
	v_cndmask_b32_e32 v72, v72, v22, vcc_lo
	v_cmp_eq_u32_e32 vcc_lo, 5, v66
	;; [unrolled: 5-line block ×6, first 2 shown]
	v_cndmask_b32_e32 v72, v72, v31, vcc_lo
	v_cmp_eq_u32_e32 vcc_lo, 14, v66
	s_delay_alu instid0(VALU_DEP_2) | instskip(SKIP_2) | instid1(VALU_DEP_3)
	v_cndmask_b32_e32 v72, v72, v32, vcc_lo
	v_cmp_eq_u32_e32 vcc_lo, 15, v66
	v_add_nc_u64_e32 v[66:67], 1, v[66:67]
	v_cndmask_b32_e32 v72, v72, v33, vcc_lo
	v_cmp_eq_u32_e32 vcc_lo, 0, v68
	s_wait_dscnt 0x0
	s_delay_alu instid0(VALU_DEP_2) | instskip(SKIP_1) | instid1(SALU_CYCLE_1)
	v_fmac_f32_e32 v69, v72, v73
	s_or_b32 s2, vcc_lo, s2
	s_and_not1_b32 exec_lo, exec_lo, s2
	s_cbranch_execnz .LBB79_189
; %bb.190:
	s_or_b32 exec_lo, exec_lo, s2
.LBB79_191:
	s_delay_alu instid0(SALU_CYCLE_1)
	s_or_b32 exec_lo, exec_lo, s1
.LBB79_192:
	s_delay_alu instid0(SALU_CYCLE_1)
	s_or_b32 exec_lo, exec_lo, s5
	v_mov_b32_e32 v20, 0
	ds_load_b32 v20, v20 offset:8
	s_wait_dscnt 0x0
	v_mul_f32_e32 v20, v69, v20
.LBB79_193:
	s_or_b32 exec_lo, exec_lo, s4
	v_cmp_lt_u32_e64 s1, 1, v0
	ds_store_b32 v70, v19
	s_wait_dscnt 0x0
	s_barrier_signal -1
	s_barrier_wait -1
	s_and_saveexec_b32 s4, s1
	s_cbranch_execz .LBB79_209
; %bb.194:
	s_and_not1_b32 vcc_lo, exec_lo, s20
	s_cbranch_vccnz .LBB79_196
; %bb.195:
	v_cmp_eq_u32_e32 vcc_lo, 1, v0
	ds_load_b32 v67, v70
	v_cndmask_b32_e32 v66, v18, v19, vcc_lo
	v_cmp_eq_u32_e32 vcc_lo, 2, v0
	s_delay_alu instid0(VALU_DEP_2) | instskip(SKIP_1) | instid1(VALU_DEP_2)
	v_cndmask_b32_e32 v66, v66, v20, vcc_lo
	v_cmp_eq_u32_e32 vcc_lo, 3, v0
	v_cndmask_b32_e32 v66, v66, v21, vcc_lo
	v_cmp_eq_u32_e32 vcc_lo, 4, v0
	s_delay_alu instid0(VALU_DEP_2) | instskip(SKIP_1) | instid1(VALU_DEP_2)
	v_cndmask_b32_e32 v66, v66, v22, vcc_lo
	v_cmp_eq_u32_e32 vcc_lo, 5, v0
	;; [unrolled: 5-line block ×7, first 2 shown]
	v_cndmask_b32_e32 v66, v66, v33, vcc_lo
	s_wait_dscnt 0x0
	s_delay_alu instid0(VALU_DEP_1)
	v_mul_f32_e32 v69, v66, v67
	s_cbranch_execz .LBB79_197
	s_branch .LBB79_198
.LBB79_196:
                                        ; implicit-def: $vgpr69
.LBB79_197:
	ds_load_b32 v69, v70
.LBB79_198:
	s_and_saveexec_b32 s5, s0
	s_cbranch_execz .LBB79_208
; %bb.199:
	v_dual_add_nc_u32 v66, -3, v0 :: v_dual_add_nc_u32 v67, -2, v0
	s_delay_alu instid0(VALU_DEP_1)
	v_cmp_lt_u32_e32 vcc_lo, 6, v66
	v_mov_b32_e32 v66, 2
	s_and_saveexec_b32 s0, vcc_lo
	s_cbranch_execz .LBB79_203
; %bb.200:
	v_and_b32_e32 v66, -8, v67
	s_mov_b32 s6, 0
	s_mov_b64 s[2:3], 9
	s_movk_i32 s7, 0x48
	s_delay_alu instid0(VALU_DEP_1)
	v_sub_nc_u32_e32 v68, 0, v66
.LBB79_201:                             ; =>This Inner Loop Header: Depth=1
	s_add_co_i32 m0, s2, -7
	v_movrels_b32_e32 v71, v18
	v_mov_b32_e32 v66, s7
	s_add_co_i32 m0, s2, -6
	s_add_co_i32 s7, s7, 32
	v_movrels_b32_e32 v80, v18
	s_add_co_i32 m0, s2, -5
	ds_load_2addr_b64 v[72:75], v66 offset1:1
	ds_load_2addr_b64 v[76:79], v66 offset0:2 offset1:3
	v_movrels_b32_e32 v66, v18
	s_add_co_i32 m0, s2, -4
	s_wait_dscnt 0x1
	v_fmac_f32_e32 v69, v71, v72
	v_movrels_b32_e32 v71, v18
	s_add_co_i32 m0, s2, -3
	s_delay_alu instid0(VALU_DEP_2) | instskip(NEXT) | instid1(VALU_DEP_1)
	v_fmac_f32_e32 v69, v80, v73
	v_fmac_f32_e32 v69, v66, v74
	v_movrels_b32_e32 v66, v18
	s_add_co_i32 m0, s2, -2
	s_delay_alu instid0(VALU_DEP_2) | instskip(SKIP_3) | instid1(VALU_DEP_2)
	v_fmac_f32_e32 v69, v71, v75
	v_movrels_b32_e32 v71, v18
	s_add_co_i32 m0, s2, -1
	s_wait_dscnt 0x0
	v_fmac_f32_e32 v69, v66, v76
	v_movrels_b32_e32 v66, v18
	s_mov_b32 m0, s2
	s_add_nc_u64 s[2:3], s[2:3], 8
	v_movrels_b32_e32 v72, v18
	v_dual_fmac_f32 v69, v71, v77 :: v_dual_add_nc_u32 v71, s2, v68
	s_add_co_i32 s8, s2, -7
	s_delay_alu instid0(VALU_DEP_1) | instskip(NEXT) | instid1(VALU_DEP_2)
	v_fmac_f32_e32 v69, v66, v78
	v_cmp_eq_u32_e32 vcc_lo, 9, v71
	s_delay_alu instid0(VALU_DEP_2) | instskip(SKIP_1) | instid1(SALU_CYCLE_1)
	v_dual_mov_b32 v66, s8 :: v_dual_fmac_f32 v69, v72, v79
	s_or_b32 s6, vcc_lo, s6
	s_and_not1_b32 exec_lo, exec_lo, s6
	s_cbranch_execnz .LBB79_201
; %bb.202:
	s_or_b32 exec_lo, exec_lo, s6
.LBB79_203:
	s_delay_alu instid0(SALU_CYCLE_1) | instskip(SKIP_3) | instid1(VALU_DEP_1)
	s_or_b32 exec_lo, exec_lo, s0
	v_and_b32_e32 v68, 7, v67
	s_mov_b32 s2, 0
	s_mov_b32 s0, exec_lo
	v_cmpx_ne_u32_e32 0, v68
	s_cbranch_execz .LBB79_207
; %bb.204:
	v_lshl_add_u32 v71, v66, 2, 64
	v_mov_b32_e32 v67, 0
.LBB79_205:                             ; =>This Inner Loop Header: Depth=1
	v_cmp_eq_u32_e32 vcc_lo, 1, v66
	ds_load_b32 v73, v71
	v_dual_add_nc_u32 v68, -1, v68 :: v_dual_add_nc_u32 v71, 4, v71
	v_cndmask_b32_e32 v72, v18, v19, vcc_lo
	v_cmp_eq_u32_e32 vcc_lo, 2, v66
	s_delay_alu instid0(VALU_DEP_2) | instskip(SKIP_1) | instid1(VALU_DEP_2)
	v_cndmask_b32_e32 v72, v72, v20, vcc_lo
	v_cmp_eq_u32_e32 vcc_lo, 3, v66
	v_cndmask_b32_e32 v72, v72, v21, vcc_lo
	v_cmp_eq_u32_e32 vcc_lo, 4, v66
	s_delay_alu instid0(VALU_DEP_2) | instskip(SKIP_1) | instid1(VALU_DEP_2)
	v_cndmask_b32_e32 v72, v72, v22, vcc_lo
	v_cmp_eq_u32_e32 vcc_lo, 5, v66
	;; [unrolled: 5-line block ×6, first 2 shown]
	v_cndmask_b32_e32 v72, v72, v31, vcc_lo
	v_cmp_eq_u32_e32 vcc_lo, 14, v66
	s_delay_alu instid0(VALU_DEP_2) | instskip(SKIP_2) | instid1(VALU_DEP_3)
	v_cndmask_b32_e32 v72, v72, v32, vcc_lo
	v_cmp_eq_u32_e32 vcc_lo, 15, v66
	v_add_nc_u64_e32 v[66:67], 1, v[66:67]
	v_cndmask_b32_e32 v72, v72, v33, vcc_lo
	v_cmp_eq_u32_e32 vcc_lo, 0, v68
	s_wait_dscnt 0x0
	s_delay_alu instid0(VALU_DEP_2) | instskip(SKIP_1) | instid1(SALU_CYCLE_1)
	v_fmac_f32_e32 v69, v72, v73
	s_or_b32 s2, vcc_lo, s2
	s_and_not1_b32 exec_lo, exec_lo, s2
	s_cbranch_execnz .LBB79_205
; %bb.206:
	s_or_b32 exec_lo, exec_lo, s2
.LBB79_207:
	s_delay_alu instid0(SALU_CYCLE_1)
	s_or_b32 exec_lo, exec_lo, s0
.LBB79_208:
	s_delay_alu instid0(SALU_CYCLE_1)
	s_or_b32 exec_lo, exec_lo, s5
	v_mov_b32_e32 v19, 0
	ds_load_b32 v19, v19 offset:4
	s_wait_dscnt 0x0
	v_mul_f32_e32 v19, v69, v19
.LBB79_209:
	s_or_b32 exec_lo, exec_lo, s4
	s_mov_b32 s2, 0
	s_mov_b32 s3, exec_lo
	ds_store_b32 v70, v18
	s_wait_dscnt 0x0
	s_barrier_signal -1
	s_barrier_wait -1
	v_cmpx_ne_u32_e32 0, v0
	s_cbranch_execz .LBB79_225
; %bb.210:
	s_and_not1_b32 vcc_lo, exec_lo, s20
	s_cbranch_vccnz .LBB79_212
; %bb.211:
	v_cmp_eq_u32_e32 vcc_lo, 1, v0
	ds_load_b32 v67, v70
	v_cndmask_b32_e32 v66, v18, v19, vcc_lo
	v_cmp_eq_u32_e32 vcc_lo, 2, v0
	s_delay_alu instid0(VALU_DEP_2) | instskip(SKIP_1) | instid1(VALU_DEP_2)
	v_cndmask_b32_e32 v66, v66, v20, vcc_lo
	v_cmp_eq_u32_e32 vcc_lo, 3, v0
	v_cndmask_b32_e32 v66, v66, v21, vcc_lo
	v_cmp_eq_u32_e32 vcc_lo, 4, v0
	s_delay_alu instid0(VALU_DEP_2) | instskip(SKIP_1) | instid1(VALU_DEP_2)
	v_cndmask_b32_e32 v66, v66, v22, vcc_lo
	v_cmp_eq_u32_e32 vcc_lo, 5, v0
	;; [unrolled: 5-line block ×7, first 2 shown]
	v_cndmask_b32_e32 v66, v66, v33, vcc_lo
	s_wait_dscnt 0x0
	s_delay_alu instid0(VALU_DEP_1)
	v_mul_f32_e32 v69, v66, v67
	s_cbranch_execz .LBB79_213
	s_branch .LBB79_214
.LBB79_212:
                                        ; implicit-def: $vgpr69
.LBB79_213:
	ds_load_b32 v69, v70
.LBB79_214:
	s_and_saveexec_b32 s4, s1
	s_cbranch_execz .LBB79_224
; %bb.215:
	v_dual_add_nc_u32 v66, -2, v0 :: v_dual_add_nc_u32 v67, -1, v0
	s_delay_alu instid0(VALU_DEP_1)
	v_cmp_lt_u32_e32 vcc_lo, 6, v66
	v_mov_b32_e32 v66, 1
	s_and_saveexec_b32 s5, vcc_lo
	s_cbranch_execz .LBB79_219
; %bb.216:
	v_and_b32_e32 v66, -8, v67
	s_mov_b32 s6, 0
	s_mov_b64 s[0:1], 8
	s_movk_i32 s7, 0x44
	s_delay_alu instid0(VALU_DEP_1)
	v_sub_nc_u32_e32 v68, 0, v66
.LBB79_217:                             ; =>This Inner Loop Header: Depth=1
	s_add_co_i32 m0, s0, -7
	v_movrels_b32_e32 v71, v18
	v_mov_b32_e32 v66, s7
	s_add_co_i32 m0, s0, -6
	s_add_co_i32 s7, s7, 32
	v_movrels_b32_e32 v80, v18
	ds_load_2addr_b32 v[72:73], v66 offset1:1
	ds_load_2addr_b32 v[74:75], v66 offset0:2 offset1:3
	s_add_co_i32 m0, s0, -5
	s_wait_dscnt 0x1
	v_fmac_f32_e32 v69, v71, v72
	ds_load_2addr_b32 v[76:77], v66 offset0:4 offset1:5
	ds_load_2addr_b32 v[78:79], v66 offset0:6 offset1:7
	v_movrels_b32_e32 v66, v18
	s_add_co_i32 m0, s0, -4
	v_fmac_f32_e32 v69, v80, v73
	v_movrels_b32_e32 v71, v18
	s_add_co_i32 m0, s0, -3
	s_wait_dscnt 0x2
	s_delay_alu instid0(VALU_DEP_2) | instskip(SKIP_2) | instid1(VALU_DEP_2)
	v_fmac_f32_e32 v69, v66, v74
	v_movrels_b32_e32 v66, v18
	s_add_co_i32 m0, s0, -2
	v_fmac_f32_e32 v69, v71, v75
	v_movrels_b32_e32 v71, v18
	s_add_co_i32 m0, s0, -1
	s_wait_dscnt 0x1
	s_delay_alu instid0(VALU_DEP_2)
	v_fmac_f32_e32 v69, v66, v76
	v_movrels_b32_e32 v66, v18
	s_mov_b32 m0, s0
	s_add_nc_u64 s[0:1], s[0:1], 8
	v_movrels_b32_e32 v72, v18
	v_dual_fmac_f32 v69, v71, v77 :: v_dual_add_nc_u32 v71, s0, v68
	s_add_co_i32 s8, s0, -7
	s_wait_dscnt 0x0
	s_delay_alu instid0(VALU_DEP_1) | instskip(NEXT) | instid1(VALU_DEP_2)
	v_fmac_f32_e32 v69, v66, v78
	v_cmp_eq_u32_e32 vcc_lo, 8, v71
	s_delay_alu instid0(VALU_DEP_2) | instskip(SKIP_1) | instid1(SALU_CYCLE_1)
	v_dual_mov_b32 v66, s8 :: v_dual_fmac_f32 v69, v72, v79
	s_or_b32 s6, vcc_lo, s6
	s_and_not1_b32 exec_lo, exec_lo, s6
	s_cbranch_execnz .LBB79_217
; %bb.218:
	s_or_b32 exec_lo, exec_lo, s6
.LBB79_219:
	s_delay_alu instid0(SALU_CYCLE_1) | instskip(SKIP_3) | instid1(VALU_DEP_1)
	s_or_b32 exec_lo, exec_lo, s5
	v_and_b32_e32 v68, 7, v67
	s_mov_b32 s1, 0
	s_mov_b32 s0, exec_lo
	v_cmpx_ne_u32_e32 0, v68
	s_cbranch_execz .LBB79_223
; %bb.220:
	v_lshl_add_u32 v71, v66, 2, 64
	v_mov_b32_e32 v67, 0
.LBB79_221:                             ; =>This Inner Loop Header: Depth=1
	v_cmp_eq_u32_e32 vcc_lo, 1, v66
	ds_load_b32 v73, v71
	v_dual_add_nc_u32 v68, -1, v68 :: v_dual_add_nc_u32 v71, 4, v71
	v_cndmask_b32_e32 v72, v18, v19, vcc_lo
	v_cmp_eq_u32_e32 vcc_lo, 2, v66
	s_delay_alu instid0(VALU_DEP_2) | instskip(SKIP_1) | instid1(VALU_DEP_2)
	v_cndmask_b32_e32 v72, v72, v20, vcc_lo
	v_cmp_eq_u32_e32 vcc_lo, 3, v66
	v_cndmask_b32_e32 v72, v72, v21, vcc_lo
	v_cmp_eq_u32_e32 vcc_lo, 4, v66
	s_delay_alu instid0(VALU_DEP_2) | instskip(SKIP_1) | instid1(VALU_DEP_2)
	v_cndmask_b32_e32 v72, v72, v22, vcc_lo
	v_cmp_eq_u32_e32 vcc_lo, 5, v66
	;; [unrolled: 5-line block ×6, first 2 shown]
	v_cndmask_b32_e32 v72, v72, v31, vcc_lo
	v_cmp_eq_u32_e32 vcc_lo, 14, v66
	s_delay_alu instid0(VALU_DEP_2) | instskip(SKIP_2) | instid1(VALU_DEP_3)
	v_cndmask_b32_e32 v72, v72, v32, vcc_lo
	v_cmp_eq_u32_e32 vcc_lo, 15, v66
	v_add_nc_u64_e32 v[66:67], 1, v[66:67]
	v_cndmask_b32_e32 v72, v72, v33, vcc_lo
	v_cmp_eq_u32_e32 vcc_lo, 0, v68
	s_wait_dscnt 0x0
	s_delay_alu instid0(VALU_DEP_2) | instskip(SKIP_1) | instid1(SALU_CYCLE_1)
	v_fmac_f32_e32 v69, v72, v73
	s_or_b32 s1, vcc_lo, s1
	s_and_not1_b32 exec_lo, exec_lo, s1
	s_cbranch_execnz .LBB79_221
; %bb.222:
	s_or_b32 exec_lo, exec_lo, s1
.LBB79_223:
	s_delay_alu instid0(SALU_CYCLE_1)
	s_or_b32 exec_lo, exec_lo, s0
.LBB79_224:
	s_delay_alu instid0(SALU_CYCLE_1)
	s_or_b32 exec_lo, exec_lo, s4
	v_mov_b32_e32 v18, 0
	ds_load_b32 v18, v18
	s_wait_dscnt 0x0
	v_mul_f32_e32 v18, v69, v18
.LBB79_225:
	s_or_b32 exec_lo, exec_lo, s3
	s_delay_alu instid0(SALU_CYCLE_1)
	s_and_b32 vcc_lo, exec_lo, s2
	s_cbranch_vccz .LBB79_379
.LBB79_226:
	v_cmp_eq_u32_e64 s0, 0, v0
	s_wait_loadcnt_dscnt 0xf10
	ds_store_b32 v70, v3
	s_wait_loadcnt_dscnt 0x0
	s_barrier_signal -1
	s_barrier_wait -1
	s_and_saveexec_b32 s1, s0
	s_cbranch_execz .LBB79_232
; %bb.227:
	s_and_b32 vcc_lo, exec_lo, s20
	s_cbranch_vccz .LBB79_229
; %bb.228:
	v_cmp_eq_u32_e32 vcc_lo, 1, v0
	ds_load_b32 v18, v70
	v_cndmask_b32_e32 v3, v2, v3, vcc_lo
	v_cmp_eq_u32_e32 vcc_lo, 2, v0
	s_delay_alu instid0(VALU_DEP_2) | instskip(SKIP_1) | instid1(VALU_DEP_2)
	v_cndmask_b32_e32 v3, v3, v4, vcc_lo
	v_cmp_eq_u32_e32 vcc_lo, 3, v0
	v_cndmask_b32_e32 v3, v3, v5, vcc_lo
	v_cmp_eq_u32_e32 vcc_lo, 4, v0
	s_delay_alu instid0(VALU_DEP_2) | instskip(SKIP_1) | instid1(VALU_DEP_2)
	v_cndmask_b32_e32 v3, v3, v6, vcc_lo
	v_cmp_eq_u32_e32 vcc_lo, 5, v0
	;; [unrolled: 5-line block ×7, first 2 shown]
	v_cndmask_b32_e32 v3, v3, v17, vcc_lo
	s_wait_dscnt 0x0
	s_delay_alu instid0(VALU_DEP_1)
	v_mul_f32_e32 v3, v3, v18
	s_cbranch_execz .LBB79_230
	s_branch .LBB79_231
.LBB79_229:
                                        ; implicit-def: $vgpr3
.LBB79_230:
	ds_load_b32 v3, v70
.LBB79_231:
	v_mov_b32_e32 v18, 0
	ds_load_b32 v18, v18 offset:4
	s_wait_dscnt 0x0
	v_mul_f32_e32 v3, v3, v18
.LBB79_232:
	s_or_b32 exec_lo, exec_lo, s1
	v_cndmask_b32_e64 v20, 0, 1, s20
	s_mov_b32 s1, exec_lo
	ds_store_b32 v70, v4
	s_wait_dscnt 0x0
	s_barrier_signal -1
	s_barrier_wait -1
	v_cmpx_gt_u32_e32 2, v0
	s_cbranch_execz .LBB79_238
; %bb.233:
	s_and_not1_b32 vcc_lo, exec_lo, s20
	s_cbranch_vccnz .LBB79_235
; %bb.234:
	v_cmp_eq_u32_e32 vcc_lo, 1, v0
	v_cndmask_b32_e32 v18, v2, v3, vcc_lo
	v_cmp_eq_u32_e32 vcc_lo, 2, v0
	s_delay_alu instid0(VALU_DEP_2) | instskip(SKIP_4) | instid1(VALU_DEP_2)
	v_cndmask_b32_e32 v4, v18, v4, vcc_lo
	v_cmp_eq_u32_e32 vcc_lo, 3, v0
	ds_load_b32 v18, v70
	v_cndmask_b32_e32 v4, v4, v5, vcc_lo
	v_cmp_eq_u32_e32 vcc_lo, 4, v0
	v_cndmask_b32_e32 v4, v4, v6, vcc_lo
	v_cmp_eq_u32_e32 vcc_lo, 5, v0
	s_delay_alu instid0(VALU_DEP_2) | instskip(SKIP_1) | instid1(VALU_DEP_2)
	v_cndmask_b32_e32 v4, v4, v7, vcc_lo
	v_cmp_eq_u32_e32 vcc_lo, 6, v0
	v_cndmask_b32_e32 v4, v4, v8, vcc_lo
	v_cmp_eq_u32_e32 vcc_lo, 7, v0
	s_delay_alu instid0(VALU_DEP_2) | instskip(SKIP_1) | instid1(VALU_DEP_2)
	;; [unrolled: 5-line block ×5, first 2 shown]
	v_cndmask_b32_e32 v4, v4, v15, vcc_lo
	v_cmp_eq_u32_e32 vcc_lo, 14, v0
	v_cndmask_b32_e32 v4, v4, v16, vcc_lo
	v_cmp_eq_u32_e32 vcc_lo, 15, v0
	s_delay_alu instid0(VALU_DEP_2) | instskip(SKIP_1) | instid1(VALU_DEP_1)
	v_cndmask_b32_e32 v4, v4, v17, vcc_lo
	s_wait_dscnt 0x0
	v_mul_f32_e32 v4, v4, v18
	s_cbranch_execz .LBB79_236
	s_branch .LBB79_237
.LBB79_235:
                                        ; implicit-def: $vgpr4
.LBB79_236:
	ds_load_b32 v4, v70
.LBB79_237:
	v_mov_b32_e32 v18, 0
	ds_load_2addr_b32 v[18:19], v18 offset0:2 offset1:17
	s_wait_dscnt 0x0
	v_fma_f32 v19, v3, v19, v4
	s_delay_alu instid0(VALU_DEP_1) | instskip(NEXT) | instid1(VALU_DEP_1)
	v_cndmask_b32_e64 v4, v4, v19, s0
	v_mul_f32_e32 v4, v4, v18
.LBB79_238:
	s_or_b32 exec_lo, exec_lo, s1
	v_add_nc_u32_e32 v21, 1, v0
	v_cmp_gt_u32_e64 s1, 3, v0
	ds_store_b32 v70, v5
	s_wait_dscnt 0x0
	s_barrier_signal -1
	s_barrier_wait -1
	s_and_saveexec_b32 s2, s1
	s_cbranch_execz .LBB79_246
; %bb.239:
	v_cmp_ne_u32_e32 vcc_lo, 1, v20
	s_cbranch_vccnz .LBB79_241
; %bb.240:
	v_cmp_eq_u32_e32 vcc_lo, 1, v0
	ds_load_b32 v19, v70
	v_cndmask_b32_e32 v18, v2, v3, vcc_lo
	v_cmp_eq_u32_e32 vcc_lo, 2, v0
	s_delay_alu instid0(VALU_DEP_2) | instskip(SKIP_1) | instid1(VALU_DEP_2)
	v_cndmask_b32_e32 v18, v18, v4, vcc_lo
	v_cmp_eq_u32_e32 vcc_lo, 3, v0
	v_cndmask_b32_e32 v18, v18, v5, vcc_lo
	v_cmp_eq_u32_e32 vcc_lo, 4, v0
	s_delay_alu instid0(VALU_DEP_2) | instskip(SKIP_1) | instid1(VALU_DEP_2)
	v_cndmask_b32_e32 v18, v18, v6, vcc_lo
	v_cmp_eq_u32_e32 vcc_lo, 5, v0
	;; [unrolled: 5-line block ×7, first 2 shown]
	v_cndmask_b32_e32 v18, v18, v17, vcc_lo
	s_wait_dscnt 0x0
	s_delay_alu instid0(VALU_DEP_1)
	v_mul_f32_e32 v18, v18, v19
	s_cbranch_execz .LBB79_242
	s_branch .LBB79_243
.LBB79_241:
                                        ; implicit-def: $vgpr18
.LBB79_242:
	ds_load_b32 v18, v70
.LBB79_243:
	s_mov_b32 s3, exec_lo
	v_cmpx_ne_u32_e32 2, v0
	s_cbranch_execz .LBB79_245
; %bb.244:
	v_cmp_eq_u32_e32 vcc_lo, 1, v21
	v_dual_mov_b32 v22, 0 :: v_dual_cndmask_b32 v19, v2, v3
	v_cmp_eq_u32_e32 vcc_lo, 2, v21
	ds_load_b32 v22, v22 offset:72
	v_cndmask_b32_e32 v19, v19, v4, vcc_lo
	v_cmp_eq_u32_e32 vcc_lo, 3, v21
	s_delay_alu instid0(VALU_DEP_2) | instskip(SKIP_4) | instid1(VALU_DEP_2)
	v_cndmask_b32_e32 v5, v19, v5, vcc_lo
	v_cmp_eq_u32_e32 vcc_lo, 4, v21
	ds_load_b32 v19, v70 offset:4
	v_cndmask_b32_e32 v5, v5, v6, vcc_lo
	v_cmp_eq_u32_e32 vcc_lo, 5, v21
	v_cndmask_b32_e32 v5, v5, v7, vcc_lo
	v_cmp_eq_u32_e32 vcc_lo, 6, v21
	s_delay_alu instid0(VALU_DEP_2) | instskip(SKIP_1) | instid1(VALU_DEP_2)
	v_cndmask_b32_e32 v5, v5, v8, vcc_lo
	v_cmp_eq_u32_e32 vcc_lo, 7, v21
	v_cndmask_b32_e32 v5, v5, v9, vcc_lo
	v_cmp_eq_u32_e32 vcc_lo, 8, v21
	s_delay_alu instid0(VALU_DEP_2) | instskip(SKIP_1) | instid1(VALU_DEP_2)
	;; [unrolled: 5-line block ×5, first 2 shown]
	v_cndmask_b32_e32 v5, v5, v16, vcc_lo
	v_cmp_eq_u32_e32 vcc_lo, 15, v21
	v_cndmask_b32_e32 v5, v5, v17, vcc_lo
	s_wait_dscnt 0x0
	s_delay_alu instid0(VALU_DEP_1) | instskip(NEXT) | instid1(VALU_DEP_1)
	v_fmac_f32_e32 v18, v5, v19
	v_fma_f32 v5, v4, v22, v18
	s_delay_alu instid0(VALU_DEP_1)
	v_cndmask_b32_e64 v18, v18, v5, s0
.LBB79_245:
	s_or_b32 exec_lo, exec_lo, s3
	v_mov_b32_e32 v5, 0
	ds_load_b32 v5, v5 offset:12
	s_wait_dscnt 0x0
	v_mul_f32_e32 v5, v18, v5
.LBB79_246:
	s_or_b32 exec_lo, exec_lo, s2
	s_delay_alu instid0(SALU_CYCLE_1)
	s_mov_b32 s2, exec_lo
	ds_store_b32 v70, v6
	s_wait_dscnt 0x0
	s_barrier_signal -1
	s_barrier_wait -1
	v_cmpx_gt_u32_e32 4, v0
	s_cbranch_execz .LBB79_256
; %bb.247:
	v_cmp_ne_u32_e32 vcc_lo, 1, v20
	s_cbranch_vccnz .LBB79_249
; %bb.248:
	v_cmp_eq_u32_e32 vcc_lo, 1, v0
	ds_load_b32 v19, v70
	v_cndmask_b32_e32 v18, v2, v3, vcc_lo
	v_cmp_eq_u32_e32 vcc_lo, 2, v0
	s_delay_alu instid0(VALU_DEP_2) | instskip(SKIP_1) | instid1(VALU_DEP_2)
	v_cndmask_b32_e32 v18, v18, v4, vcc_lo
	v_cmp_eq_u32_e32 vcc_lo, 3, v0
	v_cndmask_b32_e32 v18, v18, v5, vcc_lo
	v_cmp_eq_u32_e32 vcc_lo, 4, v0
	s_delay_alu instid0(VALU_DEP_2) | instskip(SKIP_1) | instid1(VALU_DEP_2)
	v_cndmask_b32_e32 v18, v18, v6, vcc_lo
	v_cmp_eq_u32_e32 vcc_lo, 5, v0
	;; [unrolled: 5-line block ×7, first 2 shown]
	v_cndmask_b32_e32 v18, v18, v17, vcc_lo
	s_wait_dscnt 0x0
	s_delay_alu instid0(VALU_DEP_1)
	v_mul_f32_e32 v22, v18, v19
	s_cbranch_execz .LBB79_250
	s_branch .LBB79_251
.LBB79_249:
                                        ; implicit-def: $vgpr22
.LBB79_250:
	ds_load_b32 v22, v70
.LBB79_251:
	s_mov_b32 s3, exec_lo
	v_cmpx_ne_u32_e32 3, v0
	s_cbranch_execz .LBB79_255
; %bb.252:
	v_mov_b64_e32 v[18:19], v[0:1]
	v_lshl_add_u32 v23, v0, 2, 0x44
	s_mov_b32 s4, 0
.LBB79_253:                             ; =>This Inner Loop Header: Depth=1
	s_delay_alu instid0(VALU_DEP_2)
	v_add_nc_u64_e32 v[18:19], 1, v[18:19]
	ds_load_b32 v25, v23
	v_add_nc_u32_e32 v23, 4, v23
	v_cmp_eq_u32_e32 vcc_lo, 1, v18
	v_cndmask_b32_e32 v24, v2, v3, vcc_lo
	v_cmp_eq_u32_e32 vcc_lo, 2, v18
	s_delay_alu instid0(VALU_DEP_2) | instskip(SKIP_1) | instid1(VALU_DEP_2)
	v_cndmask_b32_e32 v24, v24, v4, vcc_lo
	v_cmp_eq_u32_e32 vcc_lo, 3, v18
	v_cndmask_b32_e32 v24, v24, v5, vcc_lo
	v_cmp_eq_u32_e32 vcc_lo, 4, v18
	s_delay_alu instid0(VALU_DEP_2) | instskip(SKIP_1) | instid1(VALU_DEP_2)
	v_cndmask_b32_e32 v24, v24, v6, vcc_lo
	;; [unrolled: 5-line block ×7, first 2 shown]
	v_cmp_eq_u32_e32 vcc_lo, 15, v18
	v_cndmask_b32_e32 v24, v24, v17, vcc_lo
	v_cmp_lt_u32_e32 vcc_lo, 2, v18
	s_wait_dscnt 0x0
	s_delay_alu instid0(VALU_DEP_2) | instskip(SKIP_1) | instid1(SALU_CYCLE_1)
	v_fmac_f32_e32 v22, v24, v25
	s_or_b32 s4, vcc_lo, s4
	s_and_not1_b32 exec_lo, exec_lo, s4
	s_cbranch_execnz .LBB79_253
; %bb.254:
	s_or_b32 exec_lo, exec_lo, s4
.LBB79_255:
	s_delay_alu instid0(SALU_CYCLE_1)
	s_or_b32 exec_lo, exec_lo, s3
	v_mov_b32_e32 v6, 0
	ds_load_b32 v6, v6 offset:16
	s_wait_dscnt 0x0
	v_mul_f32_e32 v6, v22, v6
.LBB79_256:
	s_or_b32 exec_lo, exec_lo, s2
	v_cmp_gt_u32_e64 s2, 5, v0
	ds_store_b32 v70, v7
	s_wait_dscnt 0x0
	s_barrier_signal -1
	s_barrier_wait -1
	s_and_saveexec_b32 s3, s2
	s_cbranch_execz .LBB79_266
; %bb.257:
	v_cmp_ne_u32_e32 vcc_lo, 1, v20
	s_cbranch_vccnz .LBB79_259
; %bb.258:
	v_cmp_eq_u32_e32 vcc_lo, 1, v0
	ds_load_b32 v19, v70
	v_cndmask_b32_e32 v18, v2, v3, vcc_lo
	v_cmp_eq_u32_e32 vcc_lo, 2, v0
	s_delay_alu instid0(VALU_DEP_2) | instskip(SKIP_1) | instid1(VALU_DEP_2)
	v_cndmask_b32_e32 v18, v18, v4, vcc_lo
	v_cmp_eq_u32_e32 vcc_lo, 3, v0
	v_cndmask_b32_e32 v18, v18, v5, vcc_lo
	v_cmp_eq_u32_e32 vcc_lo, 4, v0
	s_delay_alu instid0(VALU_DEP_2) | instskip(SKIP_1) | instid1(VALU_DEP_2)
	v_cndmask_b32_e32 v18, v18, v6, vcc_lo
	v_cmp_eq_u32_e32 vcc_lo, 5, v0
	;; [unrolled: 5-line block ×7, first 2 shown]
	v_cndmask_b32_e32 v18, v18, v17, vcc_lo
	s_wait_dscnt 0x0
	s_delay_alu instid0(VALU_DEP_1)
	v_mul_f32_e32 v22, v18, v19
	s_cbranch_execz .LBB79_260
	s_branch .LBB79_261
.LBB79_259:
                                        ; implicit-def: $vgpr22
.LBB79_260:
	ds_load_b32 v22, v70
.LBB79_261:
	s_mov_b32 s4, exec_lo
	v_cmpx_ne_u32_e32 4, v0
	s_cbranch_execz .LBB79_265
; %bb.262:
	v_mov_b64_e32 v[18:19], v[0:1]
	v_lshl_add_u32 v23, v0, 2, 0x44
	s_mov_b32 s5, 0
.LBB79_263:                             ; =>This Inner Loop Header: Depth=1
	s_delay_alu instid0(VALU_DEP_2)
	v_add_nc_u64_e32 v[18:19], 1, v[18:19]
	ds_load_b32 v25, v23
	v_add_nc_u32_e32 v23, 4, v23
	v_cmp_eq_u32_e32 vcc_lo, 1, v18
	v_cndmask_b32_e32 v24, v2, v3, vcc_lo
	v_cmp_eq_u32_e32 vcc_lo, 2, v18
	s_delay_alu instid0(VALU_DEP_2) | instskip(SKIP_1) | instid1(VALU_DEP_2)
	v_cndmask_b32_e32 v24, v24, v4, vcc_lo
	v_cmp_eq_u32_e32 vcc_lo, 3, v18
	v_cndmask_b32_e32 v24, v24, v5, vcc_lo
	v_cmp_eq_u32_e32 vcc_lo, 4, v18
	s_delay_alu instid0(VALU_DEP_2) | instskip(SKIP_1) | instid1(VALU_DEP_2)
	v_cndmask_b32_e32 v24, v24, v6, vcc_lo
	;; [unrolled: 5-line block ×7, first 2 shown]
	v_cmp_eq_u32_e32 vcc_lo, 15, v18
	v_cndmask_b32_e32 v24, v24, v17, vcc_lo
	v_cmp_lt_u32_e32 vcc_lo, 3, v18
	s_wait_dscnt 0x0
	s_delay_alu instid0(VALU_DEP_2) | instskip(SKIP_1) | instid1(SALU_CYCLE_1)
	v_fmac_f32_e32 v22, v24, v25
	s_or_b32 s5, vcc_lo, s5
	s_and_not1_b32 exec_lo, exec_lo, s5
	s_cbranch_execnz .LBB79_263
; %bb.264:
	s_or_b32 exec_lo, exec_lo, s5
.LBB79_265:
	s_delay_alu instid0(SALU_CYCLE_1)
	s_or_b32 exec_lo, exec_lo, s4
	v_mov_b32_e32 v7, 0
	ds_load_b32 v7, v7 offset:20
	s_wait_dscnt 0x0
	v_mul_f32_e32 v7, v22, v7
.LBB79_266:
	s_or_b32 exec_lo, exec_lo, s3
	s_delay_alu instid0(SALU_CYCLE_1)
	s_mov_b32 s3, exec_lo
	ds_store_b32 v70, v8
	s_wait_dscnt 0x0
	s_barrier_signal -1
	s_barrier_wait -1
	v_cmpx_gt_u32_e32 6, v0
	s_cbranch_execz .LBB79_276
; %bb.267:
	v_cmp_ne_u32_e32 vcc_lo, 1, v20
	s_cbranch_vccnz .LBB79_269
; %bb.268:
	v_cmp_eq_u32_e32 vcc_lo, 1, v0
	ds_load_b32 v19, v70
	v_cndmask_b32_e32 v18, v2, v3, vcc_lo
	v_cmp_eq_u32_e32 vcc_lo, 2, v0
	s_delay_alu instid0(VALU_DEP_2) | instskip(SKIP_1) | instid1(VALU_DEP_2)
	v_cndmask_b32_e32 v18, v18, v4, vcc_lo
	v_cmp_eq_u32_e32 vcc_lo, 3, v0
	v_cndmask_b32_e32 v18, v18, v5, vcc_lo
	v_cmp_eq_u32_e32 vcc_lo, 4, v0
	s_delay_alu instid0(VALU_DEP_2) | instskip(SKIP_1) | instid1(VALU_DEP_2)
	v_cndmask_b32_e32 v18, v18, v6, vcc_lo
	v_cmp_eq_u32_e32 vcc_lo, 5, v0
	v_cndmask_b32_e32 v18, v18, v7, vcc_lo
	v_cmp_eq_u32_e32 vcc_lo, 6, v0
	s_delay_alu instid0(VALU_DEP_2) | instskip(SKIP_1) | instid1(VALU_DEP_2)
	v_cndmask_b32_e32 v18, v18, v8, vcc_lo
	v_cmp_eq_u32_e32 vcc_lo, 7, v0
	v_cndmask_b32_e32 v18, v18, v9, vcc_lo
	v_cmp_eq_u32_e32 vcc_lo, 8, v0
	s_delay_alu instid0(VALU_DEP_2) | instskip(SKIP_1) | instid1(VALU_DEP_2)
	v_cndmask_b32_e32 v18, v18, v10, vcc_lo
	v_cmp_eq_u32_e32 vcc_lo, 9, v0
	v_cndmask_b32_e32 v18, v18, v11, vcc_lo
	v_cmp_eq_u32_e32 vcc_lo, 10, v0
	s_delay_alu instid0(VALU_DEP_2) | instskip(SKIP_1) | instid1(VALU_DEP_2)
	v_cndmask_b32_e32 v18, v18, v12, vcc_lo
	v_cmp_eq_u32_e32 vcc_lo, 11, v0
	v_cndmask_b32_e32 v18, v18, v13, vcc_lo
	v_cmp_eq_u32_e32 vcc_lo, 12, v0
	s_delay_alu instid0(VALU_DEP_2) | instskip(SKIP_1) | instid1(VALU_DEP_2)
	v_cndmask_b32_e32 v18, v18, v14, vcc_lo
	v_cmp_eq_u32_e32 vcc_lo, 13, v0
	v_cndmask_b32_e32 v18, v18, v15, vcc_lo
	v_cmp_eq_u32_e32 vcc_lo, 14, v0
	s_delay_alu instid0(VALU_DEP_2) | instskip(SKIP_1) | instid1(VALU_DEP_2)
	v_cndmask_b32_e32 v18, v18, v16, vcc_lo
	v_cmp_eq_u32_e32 vcc_lo, 15, v0
	v_cndmask_b32_e32 v18, v18, v17, vcc_lo
	s_wait_dscnt 0x0
	s_delay_alu instid0(VALU_DEP_1)
	v_mul_f32_e32 v22, v18, v19
	s_cbranch_execz .LBB79_270
	s_branch .LBB79_271
.LBB79_269:
                                        ; implicit-def: $vgpr22
.LBB79_270:
	ds_load_b32 v22, v70
.LBB79_271:
	s_mov_b32 s4, exec_lo
	v_cmpx_ne_u32_e32 5, v0
	s_cbranch_execz .LBB79_275
; %bb.272:
	v_mov_b64_e32 v[18:19], v[0:1]
	v_lshl_add_u32 v23, v0, 2, 0x44
	s_mov_b32 s5, 0
.LBB79_273:                             ; =>This Inner Loop Header: Depth=1
	s_delay_alu instid0(VALU_DEP_2)
	v_add_nc_u64_e32 v[18:19], 1, v[18:19]
	ds_load_b32 v25, v23
	v_add_nc_u32_e32 v23, 4, v23
	v_cmp_eq_u32_e32 vcc_lo, 1, v18
	v_cndmask_b32_e32 v24, v2, v3, vcc_lo
	v_cmp_eq_u32_e32 vcc_lo, 2, v18
	s_delay_alu instid0(VALU_DEP_2) | instskip(SKIP_1) | instid1(VALU_DEP_2)
	v_cndmask_b32_e32 v24, v24, v4, vcc_lo
	v_cmp_eq_u32_e32 vcc_lo, 3, v18
	v_cndmask_b32_e32 v24, v24, v5, vcc_lo
	v_cmp_eq_u32_e32 vcc_lo, 4, v18
	s_delay_alu instid0(VALU_DEP_2) | instskip(SKIP_1) | instid1(VALU_DEP_2)
	v_cndmask_b32_e32 v24, v24, v6, vcc_lo
	;; [unrolled: 5-line block ×7, first 2 shown]
	v_cmp_eq_u32_e32 vcc_lo, 15, v18
	v_cndmask_b32_e32 v24, v24, v17, vcc_lo
	v_cmp_lt_u32_e32 vcc_lo, 4, v18
	s_wait_dscnt 0x0
	s_delay_alu instid0(VALU_DEP_2) | instskip(SKIP_1) | instid1(SALU_CYCLE_1)
	v_fmac_f32_e32 v22, v24, v25
	s_or_b32 s5, vcc_lo, s5
	s_and_not1_b32 exec_lo, exec_lo, s5
	s_cbranch_execnz .LBB79_273
; %bb.274:
	s_or_b32 exec_lo, exec_lo, s5
.LBB79_275:
	s_delay_alu instid0(SALU_CYCLE_1)
	s_or_b32 exec_lo, exec_lo, s4
	v_mov_b32_e32 v8, 0
	ds_load_b32 v8, v8 offset:24
	s_wait_dscnt 0x0
	v_mul_f32_e32 v8, v22, v8
.LBB79_276:
	s_or_b32 exec_lo, exec_lo, s3
	v_cmp_gt_u32_e64 s3, 7, v0
	ds_store_b32 v70, v9
	s_wait_dscnt 0x0
	s_barrier_signal -1
	s_barrier_wait -1
	s_and_saveexec_b32 s4, s3
	s_cbranch_execz .LBB79_286
; %bb.277:
	v_cmp_ne_u32_e32 vcc_lo, 1, v20
	s_cbranch_vccnz .LBB79_279
; %bb.278:
	v_cmp_eq_u32_e32 vcc_lo, 1, v0
	ds_load_b32 v19, v70
	v_cndmask_b32_e32 v18, v2, v3, vcc_lo
	v_cmp_eq_u32_e32 vcc_lo, 2, v0
	s_delay_alu instid0(VALU_DEP_2) | instskip(SKIP_1) | instid1(VALU_DEP_2)
	v_cndmask_b32_e32 v18, v18, v4, vcc_lo
	v_cmp_eq_u32_e32 vcc_lo, 3, v0
	v_cndmask_b32_e32 v18, v18, v5, vcc_lo
	v_cmp_eq_u32_e32 vcc_lo, 4, v0
	s_delay_alu instid0(VALU_DEP_2) | instskip(SKIP_1) | instid1(VALU_DEP_2)
	v_cndmask_b32_e32 v18, v18, v6, vcc_lo
	v_cmp_eq_u32_e32 vcc_lo, 5, v0
	;; [unrolled: 5-line block ×7, first 2 shown]
	v_cndmask_b32_e32 v18, v18, v17, vcc_lo
	s_wait_dscnt 0x0
	s_delay_alu instid0(VALU_DEP_1)
	v_mul_f32_e32 v22, v18, v19
	s_cbranch_execz .LBB79_280
	s_branch .LBB79_281
.LBB79_279:
                                        ; implicit-def: $vgpr22
.LBB79_280:
	ds_load_b32 v22, v70
.LBB79_281:
	s_mov_b32 s5, exec_lo
	v_cmpx_ne_u32_e32 6, v0
	s_cbranch_execz .LBB79_285
; %bb.282:
	v_mov_b64_e32 v[18:19], v[0:1]
	v_lshl_add_u32 v23, v0, 2, 0x44
	s_mov_b32 s6, 0
.LBB79_283:                             ; =>This Inner Loop Header: Depth=1
	s_delay_alu instid0(VALU_DEP_2)
	v_add_nc_u64_e32 v[18:19], 1, v[18:19]
	ds_load_b32 v25, v23
	v_add_nc_u32_e32 v23, 4, v23
	v_cmp_eq_u32_e32 vcc_lo, 1, v18
	v_cndmask_b32_e32 v24, v2, v3, vcc_lo
	v_cmp_eq_u32_e32 vcc_lo, 2, v18
	s_delay_alu instid0(VALU_DEP_2) | instskip(SKIP_1) | instid1(VALU_DEP_2)
	v_cndmask_b32_e32 v24, v24, v4, vcc_lo
	v_cmp_eq_u32_e32 vcc_lo, 3, v18
	v_cndmask_b32_e32 v24, v24, v5, vcc_lo
	v_cmp_eq_u32_e32 vcc_lo, 4, v18
	s_delay_alu instid0(VALU_DEP_2) | instskip(SKIP_1) | instid1(VALU_DEP_2)
	v_cndmask_b32_e32 v24, v24, v6, vcc_lo
	;; [unrolled: 5-line block ×7, first 2 shown]
	v_cmp_eq_u32_e32 vcc_lo, 15, v18
	v_cndmask_b32_e32 v24, v24, v17, vcc_lo
	v_cmp_lt_u32_e32 vcc_lo, 5, v18
	s_wait_dscnt 0x0
	s_delay_alu instid0(VALU_DEP_2) | instskip(SKIP_1) | instid1(SALU_CYCLE_1)
	v_fmac_f32_e32 v22, v24, v25
	s_or_b32 s6, vcc_lo, s6
	s_and_not1_b32 exec_lo, exec_lo, s6
	s_cbranch_execnz .LBB79_283
; %bb.284:
	s_or_b32 exec_lo, exec_lo, s6
.LBB79_285:
	s_delay_alu instid0(SALU_CYCLE_1)
	s_or_b32 exec_lo, exec_lo, s5
	v_mov_b32_e32 v9, 0
	ds_load_b32 v9, v9 offset:28
	s_wait_dscnt 0x0
	v_mul_f32_e32 v9, v22, v9
.LBB79_286:
	s_or_b32 exec_lo, exec_lo, s4
	s_delay_alu instid0(SALU_CYCLE_1)
	s_mov_b32 s4, exec_lo
	ds_store_b32 v70, v10
	s_wait_dscnt 0x0
	s_barrier_signal -1
	s_barrier_wait -1
	v_cmpx_gt_u32_e32 8, v0
	s_cbranch_execz .LBB79_296
; %bb.287:
	v_cmp_ne_u32_e32 vcc_lo, 1, v20
	s_cbranch_vccnz .LBB79_289
; %bb.288:
	v_cmp_eq_u32_e32 vcc_lo, 1, v0
	ds_load_b32 v19, v70
	v_cndmask_b32_e32 v18, v2, v3, vcc_lo
	v_cmp_eq_u32_e32 vcc_lo, 2, v0
	s_delay_alu instid0(VALU_DEP_2) | instskip(SKIP_1) | instid1(VALU_DEP_2)
	v_cndmask_b32_e32 v18, v18, v4, vcc_lo
	v_cmp_eq_u32_e32 vcc_lo, 3, v0
	v_cndmask_b32_e32 v18, v18, v5, vcc_lo
	v_cmp_eq_u32_e32 vcc_lo, 4, v0
	s_delay_alu instid0(VALU_DEP_2) | instskip(SKIP_1) | instid1(VALU_DEP_2)
	v_cndmask_b32_e32 v18, v18, v6, vcc_lo
	v_cmp_eq_u32_e32 vcc_lo, 5, v0
	;; [unrolled: 5-line block ×7, first 2 shown]
	v_cndmask_b32_e32 v18, v18, v17, vcc_lo
	s_wait_dscnt 0x0
	s_delay_alu instid0(VALU_DEP_1)
	v_mul_f32_e32 v22, v18, v19
	s_cbranch_execz .LBB79_290
	s_branch .LBB79_291
.LBB79_289:
                                        ; implicit-def: $vgpr22
.LBB79_290:
	ds_load_b32 v22, v70
.LBB79_291:
	s_mov_b32 s5, exec_lo
	v_cmpx_ne_u32_e32 7, v0
	s_cbranch_execz .LBB79_295
; %bb.292:
	v_mov_b64_e32 v[18:19], v[0:1]
	v_lshl_add_u32 v23, v0, 2, 0x44
	s_mov_b32 s6, 0
.LBB79_293:                             ; =>This Inner Loop Header: Depth=1
	s_delay_alu instid0(VALU_DEP_2)
	v_add_nc_u64_e32 v[18:19], 1, v[18:19]
	ds_load_b32 v25, v23
	v_add_nc_u32_e32 v23, 4, v23
	v_cmp_eq_u32_e32 vcc_lo, 1, v18
	v_cndmask_b32_e32 v24, v2, v3, vcc_lo
	v_cmp_eq_u32_e32 vcc_lo, 2, v18
	s_delay_alu instid0(VALU_DEP_2) | instskip(SKIP_1) | instid1(VALU_DEP_2)
	v_cndmask_b32_e32 v24, v24, v4, vcc_lo
	v_cmp_eq_u32_e32 vcc_lo, 3, v18
	v_cndmask_b32_e32 v24, v24, v5, vcc_lo
	v_cmp_eq_u32_e32 vcc_lo, 4, v18
	s_delay_alu instid0(VALU_DEP_2) | instskip(SKIP_1) | instid1(VALU_DEP_2)
	v_cndmask_b32_e32 v24, v24, v6, vcc_lo
	;; [unrolled: 5-line block ×7, first 2 shown]
	v_cmp_eq_u32_e32 vcc_lo, 15, v18
	v_cndmask_b32_e32 v24, v24, v17, vcc_lo
	v_cmp_lt_u32_e32 vcc_lo, 6, v18
	s_wait_dscnt 0x0
	s_delay_alu instid0(VALU_DEP_2) | instskip(SKIP_1) | instid1(SALU_CYCLE_1)
	v_fmac_f32_e32 v22, v24, v25
	s_or_b32 s6, vcc_lo, s6
	s_and_not1_b32 exec_lo, exec_lo, s6
	s_cbranch_execnz .LBB79_293
; %bb.294:
	s_or_b32 exec_lo, exec_lo, s6
.LBB79_295:
	s_delay_alu instid0(SALU_CYCLE_1)
	s_or_b32 exec_lo, exec_lo, s5
	v_mov_b32_e32 v10, 0
	ds_load_b32 v10, v10 offset:32
	s_wait_dscnt 0x0
	v_mul_f32_e32 v10, v22, v10
.LBB79_296:
	s_or_b32 exec_lo, exec_lo, s4
	s_delay_alu instid0(SALU_CYCLE_1)
	s_mov_b32 s4, exec_lo
	ds_store_b32 v70, v11
	s_wait_dscnt 0x0
	s_barrier_signal -1
	s_barrier_wait -1
	v_cmpx_gt_u32_e32 9, v0
	s_cbranch_execz .LBB79_318
; %bb.297:
	v_cmp_ne_u32_e32 vcc_lo, 1, v20
	s_cbranch_vccnz .LBB79_299
; %bb.298:
	v_cmp_eq_u32_e32 vcc_lo, 1, v0
	ds_load_b32 v19, v70
	v_cndmask_b32_e32 v18, v2, v3, vcc_lo
	v_cmp_eq_u32_e32 vcc_lo, 2, v0
	s_delay_alu instid0(VALU_DEP_2) | instskip(SKIP_1) | instid1(VALU_DEP_2)
	v_cndmask_b32_e32 v18, v18, v4, vcc_lo
	v_cmp_eq_u32_e32 vcc_lo, 3, v0
	v_cndmask_b32_e32 v18, v18, v5, vcc_lo
	v_cmp_eq_u32_e32 vcc_lo, 4, v0
	s_delay_alu instid0(VALU_DEP_2) | instskip(SKIP_1) | instid1(VALU_DEP_2)
	v_cndmask_b32_e32 v18, v18, v6, vcc_lo
	v_cmp_eq_u32_e32 vcc_lo, 5, v0
	;; [unrolled: 5-line block ×7, first 2 shown]
	v_cndmask_b32_e32 v18, v18, v17, vcc_lo
	s_wait_dscnt 0x0
	s_delay_alu instid0(VALU_DEP_1)
	v_mul_f32_e32 v18, v18, v19
	s_cbranch_execz .LBB79_300
	s_branch .LBB79_301
.LBB79_299:
                                        ; implicit-def: $vgpr18
.LBB79_300:
	ds_load_b32 v18, v70
.LBB79_301:
	s_mov_b32 s5, exec_lo
	v_cmpx_ne_u32_e32 8, v0
	s_cbranch_execz .LBB79_317
; %bb.302:
	v_cmp_eq_u32_e32 vcc_lo, 1, v21
	ds_load_b32 v22, v70 offset:4
	v_cndmask_b32_e32 v19, v2, v3, vcc_lo
	v_cmp_eq_u32_e32 vcc_lo, 2, v21
	s_delay_alu instid0(VALU_DEP_2) | instskip(SKIP_1) | instid1(VALU_DEP_2)
	v_cndmask_b32_e32 v19, v19, v4, vcc_lo
	v_cmp_eq_u32_e32 vcc_lo, 3, v21
	v_cndmask_b32_e32 v19, v19, v5, vcc_lo
	v_cmp_eq_u32_e32 vcc_lo, 4, v21
	s_delay_alu instid0(VALU_DEP_2) | instskip(SKIP_1) | instid1(VALU_DEP_2)
	v_cndmask_b32_e32 v19, v19, v6, vcc_lo
	v_cmp_eq_u32_e32 vcc_lo, 5, v21
	;; [unrolled: 5-line block ×7, first 2 shown]
	v_cndmask_b32_e32 v19, v19, v17, vcc_lo
	s_wait_dscnt 0x0
	s_delay_alu instid0(VALU_DEP_1)
	v_fmac_f32_e32 v18, v19, v22
	s_and_saveexec_b32 s6, s3
	s_cbranch_execz .LBB79_316
; %bb.303:
	v_add_nc_u32_e32 v19, 2, v0
	ds_load_b32 v22, v70 offset:8
	s_mov_b32 s3, exec_lo
	v_cmp_eq_u32_e32 vcc_lo, 1, v19
	v_cndmask_b32_e32 v21, v2, v3, vcc_lo
	v_cmp_eq_u32_e32 vcc_lo, 2, v19
	s_delay_alu instid0(VALU_DEP_2) | instskip(SKIP_1) | instid1(VALU_DEP_2)
	v_cndmask_b32_e32 v21, v21, v4, vcc_lo
	v_cmp_eq_u32_e32 vcc_lo, 3, v19
	v_cndmask_b32_e32 v21, v21, v5, vcc_lo
	v_cmp_eq_u32_e32 vcc_lo, 4, v19
	s_delay_alu instid0(VALU_DEP_2) | instskip(SKIP_1) | instid1(VALU_DEP_2)
	v_cndmask_b32_e32 v21, v21, v6, vcc_lo
	v_cmp_eq_u32_e32 vcc_lo, 5, v19
	v_cndmask_b32_e32 v21, v21, v7, vcc_lo
	v_cmp_eq_u32_e32 vcc_lo, 6, v19
	s_delay_alu instid0(VALU_DEP_2) | instskip(SKIP_1) | instid1(VALU_DEP_2)
	v_cndmask_b32_e32 v21, v21, v8, vcc_lo
	v_cmp_eq_u32_e32 vcc_lo, 7, v19
	v_cndmask_b32_e32 v21, v21, v9, vcc_lo
	v_cmp_eq_u32_e32 vcc_lo, 8, v19
	s_delay_alu instid0(VALU_DEP_2) | instskip(SKIP_1) | instid1(VALU_DEP_2)
	v_cndmask_b32_e32 v21, v21, v10, vcc_lo
	v_cmp_eq_u32_e32 vcc_lo, 9, v19
	v_cndmask_b32_e32 v21, v21, v11, vcc_lo
	v_cmp_eq_u32_e32 vcc_lo, 10, v19
	s_delay_alu instid0(VALU_DEP_2) | instskip(SKIP_1) | instid1(VALU_DEP_2)
	v_cndmask_b32_e32 v21, v21, v12, vcc_lo
	v_cmp_eq_u32_e32 vcc_lo, 11, v19
	v_cndmask_b32_e32 v21, v21, v13, vcc_lo
	v_cmp_eq_u32_e32 vcc_lo, 12, v19
	s_delay_alu instid0(VALU_DEP_2) | instskip(SKIP_1) | instid1(VALU_DEP_2)
	v_cndmask_b32_e32 v21, v21, v14, vcc_lo
	v_cmp_eq_u32_e32 vcc_lo, 13, v19
	v_cndmask_b32_e32 v21, v21, v15, vcc_lo
	v_cmp_eq_u32_e32 vcc_lo, 14, v19
	s_delay_alu instid0(VALU_DEP_2) | instskip(SKIP_1) | instid1(VALU_DEP_2)
	v_cndmask_b32_e32 v21, v21, v16, vcc_lo
	v_cmp_eq_u32_e32 vcc_lo, 15, v19
	v_cndmask_b32_e32 v19, v21, v17, vcc_lo
	s_wait_dscnt 0x0
	s_delay_alu instid0(VALU_DEP_1)
	v_fmac_f32_e32 v18, v19, v22
	v_cmpx_ne_u32_e32 6, v0
	s_cbranch_execz .LBB79_315
; %bb.304:
	v_add_nc_u32_e32 v19, 3, v0
	ds_load_b32 v22, v70 offset:12
	v_cmp_eq_u32_e32 vcc_lo, 1, v19
	v_cndmask_b32_e32 v21, v2, v3, vcc_lo
	v_cmp_eq_u32_e32 vcc_lo, 2, v19
	s_delay_alu instid0(VALU_DEP_2) | instskip(SKIP_1) | instid1(VALU_DEP_2)
	v_cndmask_b32_e32 v21, v21, v4, vcc_lo
	v_cmp_eq_u32_e32 vcc_lo, 3, v19
	v_cndmask_b32_e32 v21, v21, v5, vcc_lo
	v_cmp_eq_u32_e32 vcc_lo, 4, v19
	s_delay_alu instid0(VALU_DEP_2) | instskip(SKIP_1) | instid1(VALU_DEP_2)
	v_cndmask_b32_e32 v21, v21, v6, vcc_lo
	;; [unrolled: 5-line block ×7, first 2 shown]
	v_cmp_eq_u32_e32 vcc_lo, 15, v19
	v_cndmask_b32_e32 v19, v21, v17, vcc_lo
	s_wait_dscnt 0x0
	s_delay_alu instid0(VALU_DEP_1)
	v_fmac_f32_e32 v18, v19, v22
	s_and_saveexec_b32 s7, s2
	s_cbranch_execz .LBB79_314
; %bb.305:
	v_add_nc_u32_e32 v19, 4, v0
	ds_load_b32 v22, v70 offset:16
	s_mov_b32 s2, exec_lo
	v_cmp_eq_u32_e32 vcc_lo, 1, v19
	v_cndmask_b32_e32 v21, v2, v3, vcc_lo
	v_cmp_eq_u32_e32 vcc_lo, 2, v19
	s_delay_alu instid0(VALU_DEP_2) | instskip(SKIP_1) | instid1(VALU_DEP_2)
	v_cndmask_b32_e32 v21, v21, v4, vcc_lo
	v_cmp_eq_u32_e32 vcc_lo, 3, v19
	v_cndmask_b32_e32 v21, v21, v5, vcc_lo
	v_cmp_eq_u32_e32 vcc_lo, 4, v19
	s_delay_alu instid0(VALU_DEP_2) | instskip(SKIP_1) | instid1(VALU_DEP_2)
	v_cndmask_b32_e32 v21, v21, v6, vcc_lo
	;; [unrolled: 5-line block ×7, first 2 shown]
	v_cmp_eq_u32_e32 vcc_lo, 15, v19
	v_cndmask_b32_e32 v19, v21, v17, vcc_lo
	s_wait_dscnt 0x0
	s_delay_alu instid0(VALU_DEP_1)
	v_fmac_f32_e32 v18, v19, v22
	v_cmpx_ne_u32_e32 4, v0
	s_cbranch_execz .LBB79_313
; %bb.306:
	v_add_nc_u32_e32 v19, 5, v0
	ds_load_b32 v22, v70 offset:20
	v_cmp_eq_u32_e32 vcc_lo, 1, v19
	v_cndmask_b32_e32 v21, v2, v3, vcc_lo
	v_cmp_eq_u32_e32 vcc_lo, 2, v19
	s_delay_alu instid0(VALU_DEP_2) | instskip(SKIP_1) | instid1(VALU_DEP_2)
	v_cndmask_b32_e32 v21, v21, v4, vcc_lo
	v_cmp_eq_u32_e32 vcc_lo, 3, v19
	v_cndmask_b32_e32 v21, v21, v5, vcc_lo
	v_cmp_eq_u32_e32 vcc_lo, 4, v19
	s_delay_alu instid0(VALU_DEP_2) | instskip(SKIP_1) | instid1(VALU_DEP_2)
	v_cndmask_b32_e32 v21, v21, v6, vcc_lo
	;; [unrolled: 5-line block ×7, first 2 shown]
	v_cmp_eq_u32_e32 vcc_lo, 15, v19
	v_cndmask_b32_e32 v19, v21, v17, vcc_lo
	s_wait_dscnt 0x0
	s_delay_alu instid0(VALU_DEP_1)
	v_fmac_f32_e32 v18, v19, v22
	s_and_saveexec_b32 s8, s1
	s_cbranch_execz .LBB79_312
; %bb.307:
	v_add_nc_u32_e32 v19, 6, v0
	ds_load_b32 v22, v70 offset:24
	s_mov_b32 s1, exec_lo
	v_cmp_eq_u32_e32 vcc_lo, 1, v19
	v_cndmask_b32_e32 v21, v2, v3, vcc_lo
	v_cmp_eq_u32_e32 vcc_lo, 2, v19
	s_delay_alu instid0(VALU_DEP_2) | instskip(SKIP_1) | instid1(VALU_DEP_2)
	v_cndmask_b32_e32 v21, v21, v4, vcc_lo
	v_cmp_eq_u32_e32 vcc_lo, 3, v19
	v_cndmask_b32_e32 v21, v21, v5, vcc_lo
	v_cmp_eq_u32_e32 vcc_lo, 4, v19
	s_delay_alu instid0(VALU_DEP_2) | instskip(SKIP_1) | instid1(VALU_DEP_2)
	v_cndmask_b32_e32 v21, v21, v6, vcc_lo
	;; [unrolled: 5-line block ×7, first 2 shown]
	v_cmp_eq_u32_e32 vcc_lo, 15, v19
	v_cndmask_b32_e32 v19, v21, v17, vcc_lo
	s_wait_dscnt 0x0
	s_delay_alu instid0(VALU_DEP_1)
	v_fmac_f32_e32 v18, v19, v22
	v_cmpx_ne_u32_e32 2, v0
	s_cbranch_execz .LBB79_311
; %bb.308:
	v_add_nc_u32_e32 v19, 7, v0
	s_delay_alu instid0(VALU_DEP_1) | instskip(SKIP_2) | instid1(VALU_DEP_2)
	v_cmp_eq_u32_e32 vcc_lo, 1, v19
	v_cndmask_b32_e32 v21, v2, v3, vcc_lo
	v_cmp_eq_u32_e32 vcc_lo, 2, v19
	v_cndmask_b32_e32 v21, v21, v4, vcc_lo
	v_cmp_eq_u32_e32 vcc_lo, 3, v19
	s_delay_alu instid0(VALU_DEP_2) | instskip(SKIP_1) | instid1(VALU_DEP_2)
	v_cndmask_b32_e32 v21, v21, v5, vcc_lo
	v_cmp_eq_u32_e32 vcc_lo, 4, v19
	v_cndmask_b32_e32 v21, v21, v6, vcc_lo
	v_cmp_eq_u32_e32 vcc_lo, 5, v19
	s_delay_alu instid0(VALU_DEP_2) | instskip(SKIP_1) | instid1(VALU_DEP_2)
	;; [unrolled: 5-line block ×3, first 2 shown]
	v_cndmask_b32_e32 v21, v21, v9, vcc_lo
	v_cmp_eq_u32_e32 vcc_lo, 8, v19
	v_cndmask_b32_e32 v21, v21, v10, vcc_lo
	v_cmp_eq_u32_e32 vcc_lo, 9, v19
	s_delay_alu instid0(VALU_DEP_2) | instskip(SKIP_4) | instid1(VALU_DEP_2)
	v_cndmask_b32_e32 v11, v21, v11, vcc_lo
	v_cmp_eq_u32_e32 vcc_lo, 10, v19
	ds_load_b32 v21, v70 offset:28
	v_cndmask_b32_e32 v11, v11, v12, vcc_lo
	v_cmp_eq_u32_e32 vcc_lo, 11, v19
	v_cndmask_b32_e32 v11, v11, v13, vcc_lo
	v_cmp_eq_u32_e32 vcc_lo, 12, v19
	s_delay_alu instid0(VALU_DEP_2) | instskip(SKIP_1) | instid1(VALU_DEP_2)
	v_cndmask_b32_e32 v11, v11, v14, vcc_lo
	v_cmp_eq_u32_e32 vcc_lo, 13, v19
	v_cndmask_b32_e32 v11, v11, v15, vcc_lo
	v_cmp_eq_u32_e32 vcc_lo, 14, v19
	s_delay_alu instid0(VALU_DEP_2) | instskip(SKIP_1) | instid1(VALU_DEP_2)
	v_cndmask_b32_e32 v11, v11, v16, vcc_lo
	v_cmp_eq_u32_e32 vcc_lo, 15, v19
	v_cndmask_b32_e32 v11, v11, v17, vcc_lo
	s_wait_dscnt 0x0
	s_delay_alu instid0(VALU_DEP_1)
	v_fmac_f32_e32 v18, v11, v21
	s_and_saveexec_b32 s9, s0
	s_cbranch_execz .LBB79_310
; %bb.309:
	ds_load_b32 v11, v70 offset:32
	s_wait_dscnt 0x0
	v_fmac_f32_e32 v18, v10, v11
.LBB79_310:
	s_or_b32 exec_lo, exec_lo, s9
.LBB79_311:
	s_delay_alu instid0(SALU_CYCLE_1)
	s_or_b32 exec_lo, exec_lo, s1
.LBB79_312:
	s_delay_alu instid0(SALU_CYCLE_1)
	s_or_b32 exec_lo, exec_lo, s8
.LBB79_313:
	s_delay_alu instid0(SALU_CYCLE_1)
	s_or_b32 exec_lo, exec_lo, s2
.LBB79_314:
	s_delay_alu instid0(SALU_CYCLE_1)
	s_or_b32 exec_lo, exec_lo, s7
.LBB79_315:
	s_delay_alu instid0(SALU_CYCLE_1)
	s_or_b32 exec_lo, exec_lo, s3
.LBB79_316:
	s_delay_alu instid0(SALU_CYCLE_1)
	s_or_b32 exec_lo, exec_lo, s6
.LBB79_317:
	s_delay_alu instid0(SALU_CYCLE_1)
	s_or_b32 exec_lo, exec_lo, s5
	v_mov_b32_e32 v11, 0
	ds_load_b32 v11, v11 offset:36
	s_wait_dscnt 0x0
	v_mul_f32_e32 v11, v18, v11
.LBB79_318:
	s_or_b32 exec_lo, exec_lo, s4
	s_delay_alu instid0(SALU_CYCLE_1)
	s_mov_b32 s0, exec_lo
	ds_store_b32 v70, v12
	s_wait_dscnt 0x0
	s_barrier_signal -1
	s_barrier_wait -1
	v_cmpx_gt_u32_e32 10, v0
	s_cbranch_execz .LBB79_328
; %bb.319:
	v_cmp_ne_u32_e32 vcc_lo, 1, v20
	s_cbranch_vccnz .LBB79_321
; %bb.320:
	v_cmp_eq_u32_e32 vcc_lo, 1, v0
	ds_load_b32 v19, v70
	v_cndmask_b32_e32 v18, v2, v3, vcc_lo
	v_cmp_eq_u32_e32 vcc_lo, 2, v0
	s_delay_alu instid0(VALU_DEP_2) | instskip(SKIP_1) | instid1(VALU_DEP_2)
	v_cndmask_b32_e32 v18, v18, v4, vcc_lo
	v_cmp_eq_u32_e32 vcc_lo, 3, v0
	v_cndmask_b32_e32 v18, v18, v5, vcc_lo
	v_cmp_eq_u32_e32 vcc_lo, 4, v0
	s_delay_alu instid0(VALU_DEP_2) | instskip(SKIP_1) | instid1(VALU_DEP_2)
	v_cndmask_b32_e32 v18, v18, v6, vcc_lo
	v_cmp_eq_u32_e32 vcc_lo, 5, v0
	v_cndmask_b32_e32 v18, v18, v7, vcc_lo
	v_cmp_eq_u32_e32 vcc_lo, 6, v0
	s_delay_alu instid0(VALU_DEP_2) | instskip(SKIP_1) | instid1(VALU_DEP_2)
	v_cndmask_b32_e32 v18, v18, v8, vcc_lo
	v_cmp_eq_u32_e32 vcc_lo, 7, v0
	v_cndmask_b32_e32 v18, v18, v9, vcc_lo
	v_cmp_eq_u32_e32 vcc_lo, 8, v0
	s_delay_alu instid0(VALU_DEP_2) | instskip(SKIP_1) | instid1(VALU_DEP_2)
	v_cndmask_b32_e32 v18, v18, v10, vcc_lo
	v_cmp_eq_u32_e32 vcc_lo, 9, v0
	v_cndmask_b32_e32 v18, v18, v11, vcc_lo
	v_cmp_eq_u32_e32 vcc_lo, 10, v0
	s_delay_alu instid0(VALU_DEP_2) | instskip(SKIP_1) | instid1(VALU_DEP_2)
	v_cndmask_b32_e32 v18, v18, v12, vcc_lo
	v_cmp_eq_u32_e32 vcc_lo, 11, v0
	v_cndmask_b32_e32 v18, v18, v13, vcc_lo
	v_cmp_eq_u32_e32 vcc_lo, 12, v0
	s_delay_alu instid0(VALU_DEP_2) | instskip(SKIP_1) | instid1(VALU_DEP_2)
	v_cndmask_b32_e32 v18, v18, v14, vcc_lo
	v_cmp_eq_u32_e32 vcc_lo, 13, v0
	v_cndmask_b32_e32 v18, v18, v15, vcc_lo
	v_cmp_eq_u32_e32 vcc_lo, 14, v0
	s_delay_alu instid0(VALU_DEP_2) | instskip(SKIP_1) | instid1(VALU_DEP_2)
	v_cndmask_b32_e32 v18, v18, v16, vcc_lo
	v_cmp_eq_u32_e32 vcc_lo, 15, v0
	v_cndmask_b32_e32 v18, v18, v17, vcc_lo
	s_wait_dscnt 0x0
	s_delay_alu instid0(VALU_DEP_1)
	v_mul_f32_e32 v21, v18, v19
	s_cbranch_execz .LBB79_322
	s_branch .LBB79_323
.LBB79_321:
                                        ; implicit-def: $vgpr21
.LBB79_322:
	ds_load_b32 v21, v70
.LBB79_323:
	s_mov_b32 s1, exec_lo
	v_cmpx_ne_u32_e32 9, v0
	s_cbranch_execz .LBB79_327
; %bb.324:
	v_mov_b64_e32 v[18:19], v[0:1]
	v_lshl_add_u32 v22, v0, 2, 0x44
	s_mov_b32 s2, 0
.LBB79_325:                             ; =>This Inner Loop Header: Depth=1
	s_delay_alu instid0(VALU_DEP_2)
	v_add_nc_u64_e32 v[18:19], 1, v[18:19]
	ds_load_b32 v24, v22
	v_add_nc_u32_e32 v22, 4, v22
	v_cmp_eq_u32_e32 vcc_lo, 1, v18
	v_cndmask_b32_e32 v23, v2, v3, vcc_lo
	v_cmp_eq_u32_e32 vcc_lo, 2, v18
	s_delay_alu instid0(VALU_DEP_2) | instskip(SKIP_1) | instid1(VALU_DEP_2)
	v_cndmask_b32_e32 v23, v23, v4, vcc_lo
	v_cmp_eq_u32_e32 vcc_lo, 3, v18
	v_cndmask_b32_e32 v23, v23, v5, vcc_lo
	v_cmp_eq_u32_e32 vcc_lo, 4, v18
	s_delay_alu instid0(VALU_DEP_2) | instskip(SKIP_1) | instid1(VALU_DEP_2)
	v_cndmask_b32_e32 v23, v23, v6, vcc_lo
	;; [unrolled: 5-line block ×7, first 2 shown]
	v_cmp_eq_u32_e32 vcc_lo, 15, v18
	v_cndmask_b32_e32 v23, v23, v17, vcc_lo
	v_cmp_lt_u32_e32 vcc_lo, 8, v18
	s_wait_dscnt 0x0
	s_delay_alu instid0(VALU_DEP_2) | instskip(SKIP_1) | instid1(SALU_CYCLE_1)
	v_fmac_f32_e32 v21, v23, v24
	s_or_b32 s2, vcc_lo, s2
	s_and_not1_b32 exec_lo, exec_lo, s2
	s_cbranch_execnz .LBB79_325
; %bb.326:
	s_or_b32 exec_lo, exec_lo, s2
.LBB79_327:
	s_delay_alu instid0(SALU_CYCLE_1)
	s_or_b32 exec_lo, exec_lo, s1
	v_mov_b32_e32 v12, 0
	ds_load_b32 v12, v12 offset:40
	s_wait_dscnt 0x0
	v_mul_f32_e32 v12, v21, v12
.LBB79_328:
	s_or_b32 exec_lo, exec_lo, s0
	s_delay_alu instid0(SALU_CYCLE_1)
	s_mov_b32 s0, exec_lo
	ds_store_b32 v70, v13
	s_wait_dscnt 0x0
	s_barrier_signal -1
	s_barrier_wait -1
	v_cmpx_gt_u32_e32 11, v0
	s_cbranch_execz .LBB79_338
; %bb.329:
	v_cmp_ne_u32_e32 vcc_lo, 1, v20
	s_cbranch_vccnz .LBB79_331
; %bb.330:
	v_cmp_eq_u32_e32 vcc_lo, 1, v0
	ds_load_b32 v19, v70
	v_cndmask_b32_e32 v18, v2, v3, vcc_lo
	v_cmp_eq_u32_e32 vcc_lo, 2, v0
	s_delay_alu instid0(VALU_DEP_2) | instskip(SKIP_1) | instid1(VALU_DEP_2)
	v_cndmask_b32_e32 v18, v18, v4, vcc_lo
	v_cmp_eq_u32_e32 vcc_lo, 3, v0
	v_cndmask_b32_e32 v18, v18, v5, vcc_lo
	v_cmp_eq_u32_e32 vcc_lo, 4, v0
	s_delay_alu instid0(VALU_DEP_2) | instskip(SKIP_1) | instid1(VALU_DEP_2)
	v_cndmask_b32_e32 v18, v18, v6, vcc_lo
	v_cmp_eq_u32_e32 vcc_lo, 5, v0
	;; [unrolled: 5-line block ×7, first 2 shown]
	v_cndmask_b32_e32 v18, v18, v17, vcc_lo
	s_wait_dscnt 0x0
	s_delay_alu instid0(VALU_DEP_1)
	v_mul_f32_e32 v21, v18, v19
	s_cbranch_execz .LBB79_332
	s_branch .LBB79_333
.LBB79_331:
                                        ; implicit-def: $vgpr21
.LBB79_332:
	ds_load_b32 v21, v70
.LBB79_333:
	s_mov_b32 s1, exec_lo
	v_cmpx_ne_u32_e32 10, v0
	s_cbranch_execz .LBB79_337
; %bb.334:
	v_mov_b64_e32 v[18:19], v[0:1]
	v_lshl_add_u32 v22, v0, 2, 0x44
	s_mov_b32 s2, 0
.LBB79_335:                             ; =>This Inner Loop Header: Depth=1
	s_delay_alu instid0(VALU_DEP_2)
	v_add_nc_u64_e32 v[18:19], 1, v[18:19]
	ds_load_b32 v24, v22
	v_add_nc_u32_e32 v22, 4, v22
	v_cmp_eq_u32_e32 vcc_lo, 1, v18
	v_cndmask_b32_e32 v23, v2, v3, vcc_lo
	v_cmp_eq_u32_e32 vcc_lo, 2, v18
	s_delay_alu instid0(VALU_DEP_2) | instskip(SKIP_1) | instid1(VALU_DEP_2)
	v_cndmask_b32_e32 v23, v23, v4, vcc_lo
	v_cmp_eq_u32_e32 vcc_lo, 3, v18
	v_cndmask_b32_e32 v23, v23, v5, vcc_lo
	v_cmp_eq_u32_e32 vcc_lo, 4, v18
	s_delay_alu instid0(VALU_DEP_2) | instskip(SKIP_1) | instid1(VALU_DEP_2)
	v_cndmask_b32_e32 v23, v23, v6, vcc_lo
	;; [unrolled: 5-line block ×7, first 2 shown]
	v_cmp_eq_u32_e32 vcc_lo, 15, v18
	v_cndmask_b32_e32 v23, v23, v17, vcc_lo
	v_cmp_lt_u32_e32 vcc_lo, 9, v18
	s_wait_dscnt 0x0
	s_delay_alu instid0(VALU_DEP_2) | instskip(SKIP_1) | instid1(SALU_CYCLE_1)
	v_fmac_f32_e32 v21, v23, v24
	s_or_b32 s2, vcc_lo, s2
	s_and_not1_b32 exec_lo, exec_lo, s2
	s_cbranch_execnz .LBB79_335
; %bb.336:
	s_or_b32 exec_lo, exec_lo, s2
.LBB79_337:
	s_delay_alu instid0(SALU_CYCLE_1)
	s_or_b32 exec_lo, exec_lo, s1
	v_mov_b32_e32 v13, 0
	ds_load_b32 v13, v13 offset:44
	s_wait_dscnt 0x0
	v_mul_f32_e32 v13, v21, v13
.LBB79_338:
	s_or_b32 exec_lo, exec_lo, s0
	s_delay_alu instid0(SALU_CYCLE_1)
	s_mov_b32 s0, exec_lo
	ds_store_b32 v70, v14
	s_wait_dscnt 0x0
	s_barrier_signal -1
	s_barrier_wait -1
	v_cmpx_gt_u32_e32 12, v0
	s_cbranch_execz .LBB79_348
; %bb.339:
	v_cmp_ne_u32_e32 vcc_lo, 1, v20
	s_cbranch_vccnz .LBB79_341
; %bb.340:
	v_cmp_eq_u32_e32 vcc_lo, 1, v0
	ds_load_b32 v19, v70
	v_cndmask_b32_e32 v18, v2, v3, vcc_lo
	v_cmp_eq_u32_e32 vcc_lo, 2, v0
	s_delay_alu instid0(VALU_DEP_2) | instskip(SKIP_1) | instid1(VALU_DEP_2)
	v_cndmask_b32_e32 v18, v18, v4, vcc_lo
	v_cmp_eq_u32_e32 vcc_lo, 3, v0
	v_cndmask_b32_e32 v18, v18, v5, vcc_lo
	v_cmp_eq_u32_e32 vcc_lo, 4, v0
	s_delay_alu instid0(VALU_DEP_2) | instskip(SKIP_1) | instid1(VALU_DEP_2)
	v_cndmask_b32_e32 v18, v18, v6, vcc_lo
	v_cmp_eq_u32_e32 vcc_lo, 5, v0
	;; [unrolled: 5-line block ×7, first 2 shown]
	v_cndmask_b32_e32 v18, v18, v17, vcc_lo
	s_wait_dscnt 0x0
	s_delay_alu instid0(VALU_DEP_1)
	v_mul_f32_e32 v21, v18, v19
	s_cbranch_execz .LBB79_342
	s_branch .LBB79_343
.LBB79_341:
                                        ; implicit-def: $vgpr21
.LBB79_342:
	ds_load_b32 v21, v70
.LBB79_343:
	s_mov_b32 s1, exec_lo
	v_cmpx_ne_u32_e32 11, v0
	s_cbranch_execz .LBB79_347
; %bb.344:
	v_mov_b64_e32 v[18:19], v[0:1]
	v_lshl_add_u32 v22, v0, 2, 0x44
	s_mov_b32 s2, 0
.LBB79_345:                             ; =>This Inner Loop Header: Depth=1
	s_delay_alu instid0(VALU_DEP_2)
	v_add_nc_u64_e32 v[18:19], 1, v[18:19]
	ds_load_b32 v24, v22
	v_add_nc_u32_e32 v22, 4, v22
	v_cmp_eq_u32_e32 vcc_lo, 1, v18
	v_cndmask_b32_e32 v23, v2, v3, vcc_lo
	v_cmp_eq_u32_e32 vcc_lo, 2, v18
	s_delay_alu instid0(VALU_DEP_2) | instskip(SKIP_1) | instid1(VALU_DEP_2)
	v_cndmask_b32_e32 v23, v23, v4, vcc_lo
	v_cmp_eq_u32_e32 vcc_lo, 3, v18
	v_cndmask_b32_e32 v23, v23, v5, vcc_lo
	v_cmp_eq_u32_e32 vcc_lo, 4, v18
	s_delay_alu instid0(VALU_DEP_2) | instskip(SKIP_1) | instid1(VALU_DEP_2)
	v_cndmask_b32_e32 v23, v23, v6, vcc_lo
	;; [unrolled: 5-line block ×7, first 2 shown]
	v_cmp_eq_u32_e32 vcc_lo, 15, v18
	v_cndmask_b32_e32 v23, v23, v17, vcc_lo
	v_cmp_lt_u32_e32 vcc_lo, 10, v18
	s_wait_dscnt 0x0
	s_delay_alu instid0(VALU_DEP_2) | instskip(SKIP_1) | instid1(SALU_CYCLE_1)
	v_fmac_f32_e32 v21, v23, v24
	s_or_b32 s2, vcc_lo, s2
	s_and_not1_b32 exec_lo, exec_lo, s2
	s_cbranch_execnz .LBB79_345
; %bb.346:
	s_or_b32 exec_lo, exec_lo, s2
.LBB79_347:
	s_delay_alu instid0(SALU_CYCLE_1)
	s_or_b32 exec_lo, exec_lo, s1
	v_mov_b32_e32 v14, 0
	ds_load_b32 v14, v14 offset:48
	s_wait_dscnt 0x0
	v_mul_f32_e32 v14, v21, v14
.LBB79_348:
	s_or_b32 exec_lo, exec_lo, s0
	s_delay_alu instid0(SALU_CYCLE_1)
	s_mov_b32 s0, exec_lo
	ds_store_b32 v70, v15
	s_wait_dscnt 0x0
	s_barrier_signal -1
	s_barrier_wait -1
	v_cmpx_gt_u32_e32 13, v0
	s_cbranch_execz .LBB79_358
; %bb.349:
	v_cmp_ne_u32_e32 vcc_lo, 1, v20
	s_cbranch_vccnz .LBB79_351
; %bb.350:
	v_cmp_eq_u32_e32 vcc_lo, 1, v0
	ds_load_b32 v19, v70
	v_cndmask_b32_e32 v18, v2, v3, vcc_lo
	v_cmp_eq_u32_e32 vcc_lo, 2, v0
	s_delay_alu instid0(VALU_DEP_2) | instskip(SKIP_1) | instid1(VALU_DEP_2)
	v_cndmask_b32_e32 v18, v18, v4, vcc_lo
	v_cmp_eq_u32_e32 vcc_lo, 3, v0
	v_cndmask_b32_e32 v18, v18, v5, vcc_lo
	v_cmp_eq_u32_e32 vcc_lo, 4, v0
	s_delay_alu instid0(VALU_DEP_2) | instskip(SKIP_1) | instid1(VALU_DEP_2)
	v_cndmask_b32_e32 v18, v18, v6, vcc_lo
	v_cmp_eq_u32_e32 vcc_lo, 5, v0
	;; [unrolled: 5-line block ×7, first 2 shown]
	v_cndmask_b32_e32 v18, v18, v17, vcc_lo
	s_wait_dscnt 0x0
	s_delay_alu instid0(VALU_DEP_1)
	v_mul_f32_e32 v21, v18, v19
	s_cbranch_execz .LBB79_352
	s_branch .LBB79_353
.LBB79_351:
                                        ; implicit-def: $vgpr21
.LBB79_352:
	ds_load_b32 v21, v70
.LBB79_353:
	s_mov_b32 s1, exec_lo
	v_cmpx_ne_u32_e32 12, v0
	s_cbranch_execz .LBB79_357
; %bb.354:
	v_mov_b64_e32 v[18:19], v[0:1]
	v_lshl_add_u32 v22, v0, 2, 0x44
	s_mov_b32 s2, 0
.LBB79_355:                             ; =>This Inner Loop Header: Depth=1
	s_delay_alu instid0(VALU_DEP_2)
	v_add_nc_u64_e32 v[18:19], 1, v[18:19]
	ds_load_b32 v24, v22
	v_add_nc_u32_e32 v22, 4, v22
	v_cmp_eq_u32_e32 vcc_lo, 1, v18
	v_cndmask_b32_e32 v23, v2, v3, vcc_lo
	v_cmp_eq_u32_e32 vcc_lo, 2, v18
	s_delay_alu instid0(VALU_DEP_2) | instskip(SKIP_1) | instid1(VALU_DEP_2)
	v_cndmask_b32_e32 v23, v23, v4, vcc_lo
	v_cmp_eq_u32_e32 vcc_lo, 3, v18
	v_cndmask_b32_e32 v23, v23, v5, vcc_lo
	v_cmp_eq_u32_e32 vcc_lo, 4, v18
	s_delay_alu instid0(VALU_DEP_2) | instskip(SKIP_1) | instid1(VALU_DEP_2)
	v_cndmask_b32_e32 v23, v23, v6, vcc_lo
	;; [unrolled: 5-line block ×7, first 2 shown]
	v_cmp_eq_u32_e32 vcc_lo, 15, v18
	v_cndmask_b32_e32 v23, v23, v17, vcc_lo
	v_cmp_lt_u32_e32 vcc_lo, 11, v18
	s_wait_dscnt 0x0
	s_delay_alu instid0(VALU_DEP_2) | instskip(SKIP_1) | instid1(SALU_CYCLE_1)
	v_fmac_f32_e32 v21, v23, v24
	s_or_b32 s2, vcc_lo, s2
	s_and_not1_b32 exec_lo, exec_lo, s2
	s_cbranch_execnz .LBB79_355
; %bb.356:
	s_or_b32 exec_lo, exec_lo, s2
.LBB79_357:
	s_delay_alu instid0(SALU_CYCLE_1)
	s_or_b32 exec_lo, exec_lo, s1
	v_mov_b32_e32 v15, 0
	ds_load_b32 v15, v15 offset:52
	s_wait_dscnt 0x0
	v_mul_f32_e32 v15, v21, v15
.LBB79_358:
	s_or_b32 exec_lo, exec_lo, s0
	v_cmp_gt_u32_e64 s0, 14, v0
	ds_store_b32 v70, v16
	s_wait_dscnt 0x0
	s_barrier_signal -1
	s_barrier_wait -1
	s_and_saveexec_b32 s1, s0
	s_cbranch_execz .LBB79_368
; %bb.359:
	v_cmp_ne_u32_e32 vcc_lo, 1, v20
	s_cbranch_vccnz .LBB79_361
; %bb.360:
	v_cmp_eq_u32_e32 vcc_lo, 1, v0
	ds_load_b32 v19, v70
	v_cndmask_b32_e32 v18, v2, v3, vcc_lo
	v_cmp_eq_u32_e32 vcc_lo, 2, v0
	s_delay_alu instid0(VALU_DEP_2) | instskip(SKIP_1) | instid1(VALU_DEP_2)
	v_cndmask_b32_e32 v18, v18, v4, vcc_lo
	v_cmp_eq_u32_e32 vcc_lo, 3, v0
	v_cndmask_b32_e32 v18, v18, v5, vcc_lo
	v_cmp_eq_u32_e32 vcc_lo, 4, v0
	s_delay_alu instid0(VALU_DEP_2) | instskip(SKIP_1) | instid1(VALU_DEP_2)
	v_cndmask_b32_e32 v18, v18, v6, vcc_lo
	v_cmp_eq_u32_e32 vcc_lo, 5, v0
	;; [unrolled: 5-line block ×7, first 2 shown]
	v_cndmask_b32_e32 v18, v18, v17, vcc_lo
	s_wait_dscnt 0x0
	s_delay_alu instid0(VALU_DEP_1)
	v_mul_f32_e32 v21, v18, v19
	s_cbranch_execz .LBB79_362
	s_branch .LBB79_363
.LBB79_361:
                                        ; implicit-def: $vgpr21
.LBB79_362:
	ds_load_b32 v21, v70
.LBB79_363:
	s_mov_b32 s2, exec_lo
	v_cmpx_ne_u32_e32 13, v0
	s_cbranch_execz .LBB79_367
; %bb.364:
	v_mov_b64_e32 v[18:19], v[0:1]
	v_lshl_add_u32 v22, v0, 2, 0x44
	s_mov_b32 s3, 0
.LBB79_365:                             ; =>This Inner Loop Header: Depth=1
	s_delay_alu instid0(VALU_DEP_2)
	v_add_nc_u64_e32 v[18:19], 1, v[18:19]
	ds_load_b32 v24, v22
	v_add_nc_u32_e32 v22, 4, v22
	v_cmp_eq_u32_e32 vcc_lo, 1, v18
	v_cndmask_b32_e32 v23, v2, v3, vcc_lo
	v_cmp_eq_u32_e32 vcc_lo, 2, v18
	s_delay_alu instid0(VALU_DEP_2) | instskip(SKIP_1) | instid1(VALU_DEP_2)
	v_cndmask_b32_e32 v23, v23, v4, vcc_lo
	v_cmp_eq_u32_e32 vcc_lo, 3, v18
	v_cndmask_b32_e32 v23, v23, v5, vcc_lo
	v_cmp_eq_u32_e32 vcc_lo, 4, v18
	s_delay_alu instid0(VALU_DEP_2) | instskip(SKIP_1) | instid1(VALU_DEP_2)
	v_cndmask_b32_e32 v23, v23, v6, vcc_lo
	;; [unrolled: 5-line block ×7, first 2 shown]
	v_cmp_eq_u32_e32 vcc_lo, 15, v18
	v_cndmask_b32_e32 v23, v23, v17, vcc_lo
	v_cmp_lt_u32_e32 vcc_lo, 12, v18
	s_wait_dscnt 0x0
	s_delay_alu instid0(VALU_DEP_2) | instskip(SKIP_1) | instid1(SALU_CYCLE_1)
	v_fmac_f32_e32 v21, v23, v24
	s_or_b32 s3, vcc_lo, s3
	s_and_not1_b32 exec_lo, exec_lo, s3
	s_cbranch_execnz .LBB79_365
; %bb.366:
	s_or_b32 exec_lo, exec_lo, s3
.LBB79_367:
	s_delay_alu instid0(SALU_CYCLE_1)
	s_or_b32 exec_lo, exec_lo, s2
	v_mov_b32_e32 v16, 0
	ds_load_b32 v16, v16 offset:56
	s_wait_dscnt 0x0
	v_mul_f32_e32 v16, v21, v16
.LBB79_368:
	s_or_b32 exec_lo, exec_lo, s1
	s_delay_alu instid0(SALU_CYCLE_1)
	s_mov_b32 s1, exec_lo
	ds_store_b32 v70, v17
	s_wait_dscnt 0x0
	s_barrier_signal -1
	s_barrier_wait -1
	v_cmpx_ne_u32_e32 15, v0
	s_cbranch_execz .LBB79_378
; %bb.369:
	v_cmp_ne_u32_e32 vcc_lo, 1, v20
	s_cbranch_vccnz .LBB79_371
; %bb.370:
	v_cmp_eq_u32_e32 vcc_lo, 1, v0
	ds_load_b32 v19, v70
	v_cndmask_b32_e32 v18, v2, v3, vcc_lo
	v_cmp_eq_u32_e32 vcc_lo, 2, v0
	s_delay_alu instid0(VALU_DEP_2) | instskip(SKIP_1) | instid1(VALU_DEP_2)
	v_cndmask_b32_e32 v18, v18, v4, vcc_lo
	v_cmp_eq_u32_e32 vcc_lo, 3, v0
	v_cndmask_b32_e32 v18, v18, v5, vcc_lo
	v_cmp_eq_u32_e32 vcc_lo, 4, v0
	s_delay_alu instid0(VALU_DEP_2) | instskip(SKIP_1) | instid1(VALU_DEP_2)
	v_cndmask_b32_e32 v18, v18, v6, vcc_lo
	v_cmp_eq_u32_e32 vcc_lo, 5, v0
	;; [unrolled: 5-line block ×7, first 2 shown]
	v_cndmask_b32_e32 v18, v18, v17, vcc_lo
	s_wait_dscnt 0x0
	s_delay_alu instid0(VALU_DEP_1)
	v_mul_f32_e32 v18, v18, v19
	s_cbranch_execz .LBB79_372
	s_branch .LBB79_373
.LBB79_371:
                                        ; implicit-def: $vgpr18
.LBB79_372:
	ds_load_b32 v18, v70
.LBB79_373:
	s_and_saveexec_b32 s2, s0
	s_cbranch_execz .LBB79_377
; %bb.374:
	v_lshl_add_u32 v19, v0, 2, 0x44
	s_mov_b32 s0, 0
.LBB79_375:                             ; =>This Inner Loop Header: Depth=1
	v_add_nc_u64_e32 v[0:1], 1, v[0:1]
	ds_load_b32 v21, v19
	v_add_nc_u32_e32 v19, 4, v19
	v_cmp_eq_u32_e32 vcc_lo, 1, v0
	v_cndmask_b32_e32 v20, v2, v3, vcc_lo
	v_cmp_eq_u32_e32 vcc_lo, 2, v0
	s_delay_alu instid0(VALU_DEP_2) | instskip(SKIP_1) | instid1(VALU_DEP_2)
	v_cndmask_b32_e32 v20, v20, v4, vcc_lo
	v_cmp_eq_u32_e32 vcc_lo, 3, v0
	v_cndmask_b32_e32 v20, v20, v5, vcc_lo
	v_cmp_eq_u32_e32 vcc_lo, 4, v0
	s_delay_alu instid0(VALU_DEP_2) | instskip(SKIP_1) | instid1(VALU_DEP_2)
	v_cndmask_b32_e32 v20, v20, v6, vcc_lo
	;; [unrolled: 5-line block ×7, first 2 shown]
	v_cmp_eq_u32_e32 vcc_lo, 15, v0
	v_cndmask_b32_e32 v20, v20, v17, vcc_lo
	v_cmp_lt_u32_e32 vcc_lo, 13, v0
	s_wait_dscnt 0x0
	s_delay_alu instid0(VALU_DEP_2) | instskip(SKIP_1) | instid1(SALU_CYCLE_1)
	v_fmac_f32_e32 v18, v20, v21
	s_or_b32 s0, vcc_lo, s0
	s_and_not1_b32 exec_lo, exec_lo, s0
	s_cbranch_execnz .LBB79_375
; %bb.376:
	s_or_b32 exec_lo, exec_lo, s0
.LBB79_377:
	s_delay_alu instid0(SALU_CYCLE_1)
	s_or_b32 exec_lo, exec_lo, s2
	v_mov_b32_e32 v0, 0
	ds_load_b32 v0, v0 offset:60
	s_wait_dscnt 0x0
	v_mul_f32_e32 v17, v18, v0
.LBB79_378:
	s_or_b32 exec_lo, exec_lo, s1
	s_delay_alu instid0(VALU_DEP_1)
	v_mov_b64_e32 v[32:33], v[16:17]
	v_mov_b64_e32 v[30:31], v[14:15]
	;; [unrolled: 1-line block ×8, first 2 shown]
.LBB79_379:
	s_wait_xcnt 0x7
	v_lshl_add_u64 v[0:1], v[34:35], 2, s[18:19]
	s_wait_loadcnt_dscnt 0x708
	v_lshl_add_u64 v[2:3], v[36:37], 2, s[18:19]
	v_lshl_add_u64 v[4:5], v[38:39], 2, s[18:19]
	;; [unrolled: 1-line block ×4, first 2 shown]
	s_wait_loadcnt_dscnt 0x607
	v_lshl_add_u64 v[10:11], v[44:45], 2, s[18:19]
	s_wait_loadcnt_dscnt 0x405
	v_lshl_add_u64 v[12:13], v[46:47], 2, s[18:19]
	;; [unrolled: 2-line block ×4, first 2 shown]
	v_lshl_add_u64 v[34:35], v[54:55], 2, s[18:19]
	v_lshl_add_u64 v[36:37], v[58:59], 2, s[18:19]
	;; [unrolled: 1-line block ×5, first 2 shown]
	s_clause 0xf
	flat_store_b32 v[50:51], v18
	flat_store_b32 v[56:57], v19
	;; [unrolled: 1-line block ×16, first 2 shown]
.LBB79_380:
	s_sendmsg sendmsg(MSG_DEALLOC_VGPRS)
	s_endpgm
	.section	.rodata,"a",@progbits
	.p2align	6, 0x0
	.amdhsa_kernel _ZN9rocsolver6v33100L18trti2_kernel_smallILi16EfPKPfEEv13rocblas_fill_17rocblas_diagonal_T1_iil
		.amdhsa_group_segment_fixed_size 128
		.amdhsa_private_segment_fixed_size 0
		.amdhsa_kernarg_size 32
		.amdhsa_user_sgpr_count 2
		.amdhsa_user_sgpr_dispatch_ptr 0
		.amdhsa_user_sgpr_queue_ptr 0
		.amdhsa_user_sgpr_kernarg_segment_ptr 1
		.amdhsa_user_sgpr_dispatch_id 0
		.amdhsa_user_sgpr_kernarg_preload_length 0
		.amdhsa_user_sgpr_kernarg_preload_offset 0
		.amdhsa_user_sgpr_private_segment_size 0
		.amdhsa_wavefront_size32 1
		.amdhsa_uses_dynamic_stack 0
		.amdhsa_enable_private_segment 0
		.amdhsa_system_sgpr_workgroup_id_x 1
		.amdhsa_system_sgpr_workgroup_id_y 0
		.amdhsa_system_sgpr_workgroup_id_z 0
		.amdhsa_system_sgpr_workgroup_info 0
		.amdhsa_system_vgpr_workitem_id 0
		.amdhsa_next_free_vgpr 81
		.amdhsa_next_free_sgpr 21
		.amdhsa_named_barrier_count 0
		.amdhsa_reserve_vcc 1
		.amdhsa_float_round_mode_32 0
		.amdhsa_float_round_mode_16_64 0
		.amdhsa_float_denorm_mode_32 3
		.amdhsa_float_denorm_mode_16_64 3
		.amdhsa_fp16_overflow 0
		.amdhsa_memory_ordered 1
		.amdhsa_forward_progress 1
		.amdhsa_inst_pref_size 158
		.amdhsa_round_robin_scheduling 0
		.amdhsa_exception_fp_ieee_invalid_op 0
		.amdhsa_exception_fp_denorm_src 0
		.amdhsa_exception_fp_ieee_div_zero 0
		.amdhsa_exception_fp_ieee_overflow 0
		.amdhsa_exception_fp_ieee_underflow 0
		.amdhsa_exception_fp_ieee_inexact 0
		.amdhsa_exception_int_div_zero 0
	.end_amdhsa_kernel
	.section	.text._ZN9rocsolver6v33100L18trti2_kernel_smallILi16EfPKPfEEv13rocblas_fill_17rocblas_diagonal_T1_iil,"axG",@progbits,_ZN9rocsolver6v33100L18trti2_kernel_smallILi16EfPKPfEEv13rocblas_fill_17rocblas_diagonal_T1_iil,comdat
.Lfunc_end79:
	.size	_ZN9rocsolver6v33100L18trti2_kernel_smallILi16EfPKPfEEv13rocblas_fill_17rocblas_diagonal_T1_iil, .Lfunc_end79-_ZN9rocsolver6v33100L18trti2_kernel_smallILi16EfPKPfEEv13rocblas_fill_17rocblas_diagonal_T1_iil
                                        ; -- End function
	.set _ZN9rocsolver6v33100L18trti2_kernel_smallILi16EfPKPfEEv13rocblas_fill_17rocblas_diagonal_T1_iil.num_vgpr, 81
	.set _ZN9rocsolver6v33100L18trti2_kernel_smallILi16EfPKPfEEv13rocblas_fill_17rocblas_diagonal_T1_iil.num_agpr, 0
	.set _ZN9rocsolver6v33100L18trti2_kernel_smallILi16EfPKPfEEv13rocblas_fill_17rocblas_diagonal_T1_iil.numbered_sgpr, 21
	.set _ZN9rocsolver6v33100L18trti2_kernel_smallILi16EfPKPfEEv13rocblas_fill_17rocblas_diagonal_T1_iil.num_named_barrier, 0
	.set _ZN9rocsolver6v33100L18trti2_kernel_smallILi16EfPKPfEEv13rocblas_fill_17rocblas_diagonal_T1_iil.private_seg_size, 0
	.set _ZN9rocsolver6v33100L18trti2_kernel_smallILi16EfPKPfEEv13rocblas_fill_17rocblas_diagonal_T1_iil.uses_vcc, 1
	.set _ZN9rocsolver6v33100L18trti2_kernel_smallILi16EfPKPfEEv13rocblas_fill_17rocblas_diagonal_T1_iil.uses_flat_scratch, 1
	.set _ZN9rocsolver6v33100L18trti2_kernel_smallILi16EfPKPfEEv13rocblas_fill_17rocblas_diagonal_T1_iil.has_dyn_sized_stack, 0
	.set _ZN9rocsolver6v33100L18trti2_kernel_smallILi16EfPKPfEEv13rocblas_fill_17rocblas_diagonal_T1_iil.has_recursion, 0
	.set _ZN9rocsolver6v33100L18trti2_kernel_smallILi16EfPKPfEEv13rocblas_fill_17rocblas_diagonal_T1_iil.has_indirect_call, 0
	.section	.AMDGPU.csdata,"",@progbits
; Kernel info:
; codeLenInByte = 20144
; TotalNumSgprs: 23
; NumVgprs: 81
; ScratchSize: 0
; MemoryBound: 0
; FloatMode: 240
; IeeeMode: 1
; LDSByteSize: 128 bytes/workgroup (compile time only)
; SGPRBlocks: 0
; VGPRBlocks: 5
; NumSGPRsForWavesPerEU: 23
; NumVGPRsForWavesPerEU: 81
; NamedBarCnt: 0
; Occupancy: 10
; WaveLimiterHint : 1
; COMPUTE_PGM_RSRC2:SCRATCH_EN: 0
; COMPUTE_PGM_RSRC2:USER_SGPR: 2
; COMPUTE_PGM_RSRC2:TRAP_HANDLER: 0
; COMPUTE_PGM_RSRC2:TGID_X_EN: 1
; COMPUTE_PGM_RSRC2:TGID_Y_EN: 0
; COMPUTE_PGM_RSRC2:TGID_Z_EN: 0
; COMPUTE_PGM_RSRC2:TIDIG_COMP_CNT: 0
	.section	.text._ZN9rocsolver6v33100L18trti2_kernel_smallILi17EfPKPfEEv13rocblas_fill_17rocblas_diagonal_T1_iil,"axG",@progbits,_ZN9rocsolver6v33100L18trti2_kernel_smallILi17EfPKPfEEv13rocblas_fill_17rocblas_diagonal_T1_iil,comdat
	.globl	_ZN9rocsolver6v33100L18trti2_kernel_smallILi17EfPKPfEEv13rocblas_fill_17rocblas_diagonal_T1_iil ; -- Begin function _ZN9rocsolver6v33100L18trti2_kernel_smallILi17EfPKPfEEv13rocblas_fill_17rocblas_diagonal_T1_iil
	.p2align	8
	.type	_ZN9rocsolver6v33100L18trti2_kernel_smallILi17EfPKPfEEv13rocblas_fill_17rocblas_diagonal_T1_iil,@function
_ZN9rocsolver6v33100L18trti2_kernel_smallILi17EfPKPfEEv13rocblas_fill_17rocblas_diagonal_T1_iil: ; @_ZN9rocsolver6v33100L18trti2_kernel_smallILi17EfPKPfEEv13rocblas_fill_17rocblas_diagonal_T1_iil
; %bb.0:
	s_mov_b32 s2, exec_lo
	v_cmpx_gt_u32_e32 17, v0
	s_cbranch_execz .LBB80_406
; %bb.1:
	s_clause 0x1
	s_load_b64 s[2:3], s[0:1], 0x10
	s_load_b128 s[20:23], s[0:1], 0x0
	s_wait_xcnt 0x0
	s_bfe_u32 s0, ttmp6, 0x4000c
	s_and_b32 s1, ttmp6, 15
	s_add_co_i32 s0, s0, 1
	s_getreg_b32 s4, hwreg(HW_REG_IB_STS2, 6, 4)
	s_mul_i32 s0, ttmp9, s0
	v_mov_b32_e32 v1, 0
	s_add_co_i32 s0, s1, s0
	s_delay_alu instid0(VALU_DEP_1)
	v_dual_mov_b32 v35, v1 :: v_dual_lshlrev_b32 v34, 2, v0
	s_wait_kmcnt 0x0
	v_add3_u32 v66, s3, s3, v0
	s_ashr_i32 s1, s2, 31
	s_cmp_eq_u32 s4, 0
	s_cselect_b32 s4, ttmp9, s0
	s_delay_alu instid0(VALU_DEP_1)
	v_add_nc_u32_e32 v68, s3, v66
	s_ashr_i32 s5, s4, 31
	s_mov_b32 s0, s2
	s_lshl_b64 s[4:5], s[4:5], 3
	s_lshl_b64 s[0:1], s[0:1], 2
	v_add_nc_u32_e32 v70, s3, v68
	s_add_nc_u64 s[4:5], s[22:23], s[4:5]
	s_load_b64 s[4:5], s[4:5], 0x0
	s_delay_alu instid0(VALU_DEP_1) | instskip(NEXT) | instid1(VALU_DEP_1)
	v_add_nc_u32_e32 v72, s3, v70
	v_add_nc_u32_e32 v74, s3, v72
	s_delay_alu instid0(VALU_DEP_1) | instskip(NEXT) | instid1(VALU_DEP_1)
	v_add_nc_u32_e32 v76, s3, v74
	v_add_nc_u32_e32 v78, s3, v76
	s_wait_kmcnt 0x0
	s_add_nc_u64 s[18:19], s[4:5], s[0:1]
	s_mov_b32 s0, s3
	s_delay_alu instid0(VALU_DEP_1)
	v_add_nc_u32_e32 v80, s3, v78
	s_ashr_i32 s1, s3, 31
	flat_load_b32 v2, v0, s[18:19] scale_offset
	s_cmp_lg_u32 s21, 0x84
	v_add_nc_u64_e32 v[86:87], s[18:19], v[34:35]
	v_add_nc_u32_e32 v82, s3, v80
	s_cselect_b32 s17, -1, 0
	s_cmp_eq_u32 s21, 0x84
	s_delay_alu instid0(VALU_DEP_1) | instskip(NEXT) | instid1(VALU_DEP_3)
	v_dual_mov_b32 v35, -1.0 :: v_dual_add_nc_u32 v84, s3, v82
	v_lshl_add_u64 v[90:91], s[0:1], 2, v[86:87]
	v_cmp_eq_u32_e64 s0, 0, v0
	s_clause 0x7
	flat_load_b32 v3, v[90:91]
	flat_load_b32 v4, v66, s[18:19] scale_offset
	flat_load_b32 v5, v68, s[18:19] scale_offset
	;; [unrolled: 1-line block ×7, first 2 shown]
	v_add_nc_u32_e32 v88, s3, v84
	s_delay_alu instid0(VALU_DEP_1) | instskip(NEXT) | instid1(VALU_DEP_1)
	v_add_nc_u32_e32 v92, s3, v88
	v_add_nc_u32_e32 v94, s3, v92
	s_delay_alu instid0(VALU_DEP_1) | instskip(NEXT) | instid1(VALU_DEP_1)
	v_add_nc_u32_e32 v96, s3, v94
	v_add_nc_u32_e32 v98, s3, v96
	s_clause 0x7
	flat_load_b32 v11, v80, s[18:19] scale_offset
	flat_load_b32 v12, v82, s[18:19] scale_offset
	;; [unrolled: 1-line block ×8, first 2 shown]
	s_cbranch_scc1 .LBB80_3
; %bb.2:
	v_cmp_eq_u32_e64 s1, 1, v0
	v_cmp_eq_u32_e64 s2, 2, v0
	;; [unrolled: 1-line block ×5, first 2 shown]
	s_wait_loadcnt_dscnt 0xf0f
	v_cndmask_b32_e64 v19, v2, v3, s1
	v_cmp_eq_u32_e64 s6, 6, v0
	v_cmp_eq_u32_e64 s7, 7, v0
	;; [unrolled: 1-line block ×4, first 2 shown]
	s_wait_loadcnt_dscnt 0xe0e
	v_cndmask_b32_e64 v19, v19, v4, s2
	v_cmp_eq_u32_e64 s10, 10, v0
	v_cmp_eq_u32_e64 s11, 11, v0
	;; [unrolled: 1-line block ×4, first 2 shown]
	s_wait_loadcnt_dscnt 0xd0d
	v_cndmask_b32_e64 v19, v19, v5, s3
	v_cmp_eq_u32_e64 s14, 14, v0
	v_cmp_eq_u32_e64 s15, 15, v0
	;; [unrolled: 1-line block ×3, first 2 shown]
	s_wait_loadcnt_dscnt 0xc0c
	v_cndmask_b32_e64 v19, v19, v6, s4
	s_wait_loadcnt_dscnt 0xb0b
	s_delay_alu instid0(VALU_DEP_1) | instskip(SKIP_1) | instid1(VALU_DEP_1)
	v_cndmask_b32_e64 v19, v19, v7, s5
	s_wait_loadcnt_dscnt 0xa0a
	v_cndmask_b32_e64 v19, v19, v8, s6
	s_wait_loadcnt_dscnt 0x909
	s_delay_alu instid0(VALU_DEP_1) | instskip(SKIP_1) | instid1(VALU_DEP_1)
	v_cndmask_b32_e64 v19, v19, v9, s7
	;; [unrolled: 5-line block ×6, first 2 shown]
	s_wait_loadcnt_dscnt 0x0
	v_cndmask_b32_e64 v19, v19, v18, s16
	s_delay_alu instid0(VALU_DEP_1) | instskip(SKIP_1) | instid1(VALU_DEP_2)
	v_div_scale_f32 v20, null, v19, v19, 1.0
	v_div_scale_f32 v23, vcc_lo, 1.0, v19, 1.0
	v_rcp_f32_e32 v21, v20
	v_nop
	s_delay_alu instid0(TRANS32_DEP_1) | instskip(NEXT) | instid1(VALU_DEP_1)
	v_fma_f32 v22, -v20, v21, 1.0
	v_fmac_f32_e32 v21, v22, v21
	s_delay_alu instid0(VALU_DEP_1) | instskip(NEXT) | instid1(VALU_DEP_1)
	v_mul_f32_e32 v22, v23, v21
	v_fma_f32 v24, -v20, v22, v23
	s_delay_alu instid0(VALU_DEP_1) | instskip(NEXT) | instid1(VALU_DEP_1)
	v_fmac_f32_e32 v22, v24, v21
	v_fma_f32 v20, -v20, v22, v23
	s_delay_alu instid0(VALU_DEP_1) | instskip(NEXT) | instid1(VALU_DEP_1)
	v_div_fmas_f32 v20, v20, v21, v22
	v_div_fixup_f32 v19, v20, v19, 1.0
	s_delay_alu instid0(VALU_DEP_1)
	v_dual_cndmask_b32 v18, v18, v19, s16 :: v_dual_cndmask_b32 v17, v17, v19, s15
	v_dual_cndmask_b32 v16, v16, v19, s14 :: v_dual_cndmask_b32 v15, v15, v19, s13
	;; [unrolled: 1-line block ×8, first 2 shown]
	v_cndmask_b32_e64 v2, v2, v19, s0
	v_xor_b32_e32 v35, 0x80000000, v19
.LBB80_3:
	v_dual_ashrrev_i32 v67, 31, v66 :: v_dual_ashrrev_i32 v69, 31, v68
	v_dual_ashrrev_i32 v71, 31, v70 :: v_dual_ashrrev_i32 v73, 31, v72
	;; [unrolled: 1-line block ×7, first 2 shown]
	v_ashrrev_i32_e32 v97, 31, v96
	v_add_nc_u32_e32 v103, 0x50, v34
	s_cmp_eq_u32 s20, 0x79
	ds_store_b32 v34, v35
	s_cbranch_scc1 .LBB80_7
; %bb.4:
	s_wait_loadcnt_dscnt 0x1
	v_mov_b64_e32 v[64:65], v[32:33]
	v_mov_b64_e32 v[62:63], v[30:31]
	;; [unrolled: 1-line block ×16, first 2 shown]
	v_cmp_eq_u32_e64 s1, 16, v0
	ds_store_b32 v103, v17
	s_wait_dscnt 0x0
	s_barrier_signal -1
	s_barrier_wait -1
	s_and_saveexec_b32 s0, s1
	s_cbranch_execz .LBB80_11
; %bb.5:
	s_and_b32 vcc_lo, exec_lo, s17
	s_cbranch_vccz .LBB80_8
; %bb.6:
	v_cmp_eq_u32_e32 vcc_lo, 1, v0
	ds_load_b32 v35, v103
	v_cndmask_b32_e32 v34, v2, v3, vcc_lo
	v_cmp_eq_u32_e32 vcc_lo, 2, v0
	s_delay_alu instid0(VALU_DEP_2) | instskip(SKIP_1) | instid1(VALU_DEP_2)
	v_cndmask_b32_e32 v34, v34, v4, vcc_lo
	v_cmp_eq_u32_e32 vcc_lo, 3, v0
	v_cndmask_b32_e32 v34, v34, v5, vcc_lo
	v_cmp_eq_u32_e32 vcc_lo, 4, v0
	s_delay_alu instid0(VALU_DEP_2) | instskip(SKIP_1) | instid1(VALU_DEP_2)
	v_cndmask_b32_e32 v34, v34, v6, vcc_lo
	v_cmp_eq_u32_e32 vcc_lo, 5, v0
	;; [unrolled: 5-line block ×7, first 2 shown]
	v_cndmask_b32_e32 v34, v34, v17, vcc_lo
	v_cmp_eq_u32_e32 vcc_lo, 16, v0
	s_delay_alu instid0(VALU_DEP_2) | instskip(SKIP_1) | instid1(VALU_DEP_1)
	v_cndmask_b32_e32 v34, v34, v18, vcc_lo
	s_wait_dscnt 0x0
	v_mul_f32_e32 v49, v34, v35
	s_cbranch_execz .LBB80_9
	s_branch .LBB80_10
.LBB80_7:
                                        ; implicit-def: $vgpr34_vgpr35_vgpr36_vgpr37_vgpr38_vgpr39_vgpr40_vgpr41_vgpr42_vgpr43_vgpr44_vgpr45_vgpr46_vgpr47_vgpr48_vgpr49_vgpr50_vgpr51_vgpr52_vgpr53_vgpr54_vgpr55_vgpr56_vgpr57_vgpr58_vgpr59_vgpr60_vgpr61_vgpr62_vgpr63_vgpr64_vgpr65
	s_cbranch_execnz .LBB80_242
	s_branch .LBB80_405
.LBB80_8:
                                        ; implicit-def: $vgpr49
.LBB80_9:
	ds_load_b32 v49, v103
.LBB80_10:
	v_dual_mov_b32 v34, 0 :: v_dual_mov_b32 v35, v3
	v_dual_mov_b32 v37, v5 :: v_dual_mov_b32 v38, v6
	;; [unrolled: 1-line block ×3, first 2 shown]
	ds_load_b32 v50, v34 offset:60
	v_dual_mov_b32 v34, v2 :: v_dual_mov_b32 v36, v4
	v_dual_mov_b32 v41, v9 :: v_dual_mov_b32 v42, v10
	;; [unrolled: 1-line block ×5, first 2 shown]
	s_wait_dscnt 0x0
	v_dual_mul_f32 v49, v49, v50 :: v_dual_mov_b32 v50, v18
.LBB80_11:
	s_or_b32 exec_lo, exec_lo, s0
	v_cmp_lt_u32_e64 s0, 14, v0
	ds_store_b32 v103, v48
	s_wait_dscnt 0x0
	s_barrier_signal -1
	s_barrier_wait -1
	s_and_saveexec_b32 s2, s0
	s_cbranch_execz .LBB80_17
; %bb.12:
	s_and_not1_b32 vcc_lo, exec_lo, s17
	s_cbranch_vccnz .LBB80_14
; %bb.13:
	v_cmp_eq_u32_e32 vcc_lo, 1, v0
	ds_load_b32 v52, v103
	v_cndmask_b32_e32 v51, v34, v35, vcc_lo
	v_cmp_eq_u32_e32 vcc_lo, 2, v0
	s_delay_alu instid0(VALU_DEP_2) | instskip(SKIP_1) | instid1(VALU_DEP_2)
	v_cndmask_b32_e32 v51, v51, v36, vcc_lo
	v_cmp_eq_u32_e32 vcc_lo, 3, v0
	v_cndmask_b32_e32 v51, v51, v37, vcc_lo
	v_cmp_eq_u32_e32 vcc_lo, 4, v0
	s_delay_alu instid0(VALU_DEP_2) | instskip(SKIP_1) | instid1(VALU_DEP_2)
	v_cndmask_b32_e32 v51, v51, v38, vcc_lo
	v_cmp_eq_u32_e32 vcc_lo, 5, v0
	;; [unrolled: 5-line block ×7, first 2 shown]
	v_cndmask_b32_e32 v48, v48, v49, vcc_lo
	v_cmp_eq_u32_e32 vcc_lo, 16, v0
	s_delay_alu instid0(VALU_DEP_2) | instskip(SKIP_1) | instid1(VALU_DEP_1)
	v_cndmask_b32_e32 v48, v48, v50, vcc_lo
	s_wait_dscnt 0x0
	v_mul_f32_e32 v48, v48, v52
	s_cbranch_execz .LBB80_15
	s_branch .LBB80_16
.LBB80_14:
                                        ; implicit-def: $vgpr48
.LBB80_15:
	ds_load_b32 v48, v103
.LBB80_16:
	v_mov_b32_e32 v51, 0
	ds_load_2addr_b32 v[52:53], v51 offset0:14 offset1:35
	s_wait_dscnt 0x0
	v_fma_f32 v51, v49, v53, v48
	s_delay_alu instid0(VALU_DEP_1) | instskip(NEXT) | instid1(VALU_DEP_1)
	v_cndmask_b32_e64 v48, v48, v51, s1
	v_mul_f32_e32 v48, v48, v52
.LBB80_17:
	s_or_b32 exec_lo, exec_lo, s2
	v_cmp_lt_u32_e64 s1, 13, v0
	ds_store_b32 v103, v47
	s_wait_dscnt 0x0
	s_barrier_signal -1
	s_barrier_wait -1
	s_and_saveexec_b32 s4, s1
	s_cbranch_execz .LBB80_33
; %bb.18:
	s_and_not1_b32 vcc_lo, exec_lo, s17
	s_cbranch_vccnz .LBB80_20
; %bb.19:
	v_cmp_eq_u32_e32 vcc_lo, 1, v0
	ds_load_b32 v101, v103
	v_cndmask_b32_e32 v100, v34, v35, vcc_lo
	v_cmp_eq_u32_e32 vcc_lo, 2, v0
	s_delay_alu instid0(VALU_DEP_2) | instskip(SKIP_1) | instid1(VALU_DEP_2)
	v_cndmask_b32_e32 v100, v100, v36, vcc_lo
	v_cmp_eq_u32_e32 vcc_lo, 3, v0
	v_cndmask_b32_e32 v100, v100, v37, vcc_lo
	v_cmp_eq_u32_e32 vcc_lo, 4, v0
	s_delay_alu instid0(VALU_DEP_2) | instskip(SKIP_1) | instid1(VALU_DEP_2)
	v_cndmask_b32_e32 v100, v100, v38, vcc_lo
	v_cmp_eq_u32_e32 vcc_lo, 5, v0
	;; [unrolled: 5-line block ×7, first 2 shown]
	v_cndmask_b32_e32 v100, v100, v49, vcc_lo
	v_cmp_eq_u32_e32 vcc_lo, 16, v0
	s_delay_alu instid0(VALU_DEP_2) | instskip(SKIP_1) | instid1(VALU_DEP_1)
	v_cndmask_b32_e32 v100, v100, v50, vcc_lo
	s_wait_dscnt 0x0
	v_mul_f32_e32 v104, v100, v101
	s_cbranch_execz .LBB80_21
	s_branch .LBB80_22
.LBB80_20:
                                        ; implicit-def: $vgpr104
.LBB80_21:
	ds_load_b32 v104, v103
.LBB80_22:
	s_and_saveexec_b32 s5, s0
	s_cbranch_execz .LBB80_32
; %bb.23:
	v_dual_add_nc_u32 v100, -15, v0 :: v_dual_add_nc_u32 v101, -14, v0
	s_delay_alu instid0(VALU_DEP_1)
	v_cmp_lt_u32_e32 vcc_lo, 6, v100
	v_mov_b32_e32 v100, 14
	s_and_saveexec_b32 s0, vcc_lo
	s_cbranch_execz .LBB80_27
; %bb.24:
	v_and_b32_e32 v100, -8, v101
	s_mov_b32 s6, 0
	s_mov_b64 s[2:3], 21
	s_movk_i32 s7, 0x88
	s_delay_alu instid0(VALU_DEP_1)
	v_sub_nc_u32_e32 v102, 0, v100
.LBB80_25:                              ; =>This Inner Loop Header: Depth=1
	s_add_co_i32 m0, s2, -7
	v_movrels_b32_e32 v105, v34
	v_mov_b32_e32 v100, s7
	s_add_co_i32 m0, s2, -6
	s_add_co_i32 s7, s7, 32
	v_movrels_b32_e32 v114, v34
	s_add_co_i32 m0, s2, -5
	ds_load_2addr_b64 v[106:109], v100 offset1:1
	ds_load_2addr_b64 v[110:113], v100 offset0:2 offset1:3
	v_movrels_b32_e32 v100, v34
	s_add_co_i32 m0, s2, -4
	s_wait_dscnt 0x1
	v_fmac_f32_e32 v104, v105, v106
	v_movrels_b32_e32 v105, v34
	s_add_co_i32 m0, s2, -3
	s_delay_alu instid0(VALU_DEP_2) | instskip(NEXT) | instid1(VALU_DEP_1)
	v_fmac_f32_e32 v104, v114, v107
	v_fmac_f32_e32 v104, v100, v108
	v_movrels_b32_e32 v100, v34
	s_add_co_i32 m0, s2, -2
	s_delay_alu instid0(VALU_DEP_2) | instskip(SKIP_3) | instid1(VALU_DEP_2)
	v_fmac_f32_e32 v104, v105, v109
	v_movrels_b32_e32 v105, v34
	s_add_co_i32 m0, s2, -1
	s_wait_dscnt 0x0
	v_fmac_f32_e32 v104, v100, v110
	v_movrels_b32_e32 v100, v34
	s_mov_b32 m0, s2
	s_add_nc_u64 s[2:3], s[2:3], 8
	v_movrels_b32_e32 v106, v34
	v_dual_fmac_f32 v104, v105, v111 :: v_dual_add_nc_u32 v105, s2, v102
	s_add_co_i32 s8, s2, -7
	s_delay_alu instid0(VALU_DEP_1) | instskip(NEXT) | instid1(VALU_DEP_2)
	v_fmac_f32_e32 v104, v100, v112
	v_cmp_eq_u32_e32 vcc_lo, 21, v105
	s_delay_alu instid0(VALU_DEP_2) | instskip(SKIP_1) | instid1(SALU_CYCLE_1)
	v_dual_mov_b32 v100, s8 :: v_dual_fmac_f32 v104, v106, v113
	s_or_b32 s6, vcc_lo, s6
	s_and_not1_b32 exec_lo, exec_lo, s6
	s_cbranch_execnz .LBB80_25
; %bb.26:
	s_or_b32 exec_lo, exec_lo, s6
.LBB80_27:
	s_delay_alu instid0(SALU_CYCLE_1) | instskip(SKIP_3) | instid1(VALU_DEP_1)
	s_or_b32 exec_lo, exec_lo, s0
	v_and_b32_e32 v51, 7, v101
	s_mov_b32 s2, 0
	s_mov_b32 s0, exec_lo
	v_cmpx_ne_u32_e32 0, v51
	s_cbranch_execz .LBB80_31
; %bb.28:
	v_lshl_add_u32 v52, v100, 2, 0x50
	v_mov_b32_e32 v101, 0
.LBB80_29:                              ; =>This Inner Loop Header: Depth=1
	v_cmp_eq_u32_e32 vcc_lo, 1, v100
	ds_load_b32 v54, v52
	v_dual_add_nc_u32 v52, 4, v52 :: v_dual_add_nc_u32 v51, -1, v51
	v_cndmask_b32_e32 v53, v34, v35, vcc_lo
	v_cmp_eq_u32_e32 vcc_lo, 2, v100
	s_delay_alu instid0(VALU_DEP_2) | instskip(SKIP_1) | instid1(VALU_DEP_2)
	v_cndmask_b32_e32 v53, v53, v36, vcc_lo
	v_cmp_eq_u32_e32 vcc_lo, 3, v100
	v_cndmask_b32_e32 v53, v53, v37, vcc_lo
	v_cmp_eq_u32_e32 vcc_lo, 4, v100
	s_delay_alu instid0(VALU_DEP_2) | instskip(SKIP_1) | instid1(VALU_DEP_2)
	v_cndmask_b32_e32 v53, v53, v38, vcc_lo
	v_cmp_eq_u32_e32 vcc_lo, 5, v100
	;; [unrolled: 5-line block ×7, first 2 shown]
	v_cndmask_b32_e32 v53, v53, v49, vcc_lo
	v_cmp_eq_u32_e32 vcc_lo, 16, v100
	v_add_nc_u64_e32 v[100:101], 1, v[100:101]
	s_delay_alu instid0(VALU_DEP_3) | instskip(SKIP_2) | instid1(VALU_DEP_2)
	v_cndmask_b32_e32 v53, v53, v50, vcc_lo
	v_cmp_eq_u32_e32 vcc_lo, 0, v51
	s_wait_dscnt 0x0
	v_fmac_f32_e32 v104, v53, v54
	s_or_b32 s2, vcc_lo, s2
	s_delay_alu instid0(SALU_CYCLE_1)
	s_and_not1_b32 exec_lo, exec_lo, s2
	s_cbranch_execnz .LBB80_29
; %bb.30:
	s_or_b32 exec_lo, exec_lo, s2
.LBB80_31:
	s_delay_alu instid0(SALU_CYCLE_1)
	s_or_b32 exec_lo, exec_lo, s0
.LBB80_32:
	s_delay_alu instid0(SALU_CYCLE_1)
	s_or_b32 exec_lo, exec_lo, s5
	v_mov_b32_e32 v47, 0
	ds_load_b32 v47, v47 offset:52
	s_wait_dscnt 0x0
	v_mul_f32_e32 v47, v104, v47
.LBB80_33:
	s_or_b32 exec_lo, exec_lo, s4
	v_cmp_lt_u32_e64 s0, 12, v0
	ds_store_b32 v103, v46
	s_wait_dscnt 0x0
	s_barrier_signal -1
	s_barrier_wait -1
	s_and_saveexec_b32 s4, s0
	s_cbranch_execz .LBB80_49
; %bb.34:
	s_and_not1_b32 vcc_lo, exec_lo, s17
	s_cbranch_vccnz .LBB80_36
; %bb.35:
	v_cmp_eq_u32_e32 vcc_lo, 1, v0
	ds_load_b32 v101, v103
	v_cndmask_b32_e32 v100, v34, v35, vcc_lo
	v_cmp_eq_u32_e32 vcc_lo, 2, v0
	s_delay_alu instid0(VALU_DEP_2) | instskip(SKIP_1) | instid1(VALU_DEP_2)
	v_cndmask_b32_e32 v100, v100, v36, vcc_lo
	v_cmp_eq_u32_e32 vcc_lo, 3, v0
	v_cndmask_b32_e32 v100, v100, v37, vcc_lo
	v_cmp_eq_u32_e32 vcc_lo, 4, v0
	s_delay_alu instid0(VALU_DEP_2) | instskip(SKIP_1) | instid1(VALU_DEP_2)
	v_cndmask_b32_e32 v100, v100, v38, vcc_lo
	v_cmp_eq_u32_e32 vcc_lo, 5, v0
	v_cndmask_b32_e32 v100, v100, v39, vcc_lo
	v_cmp_eq_u32_e32 vcc_lo, 6, v0
	s_delay_alu instid0(VALU_DEP_2) | instskip(SKIP_1) | instid1(VALU_DEP_2)
	v_cndmask_b32_e32 v100, v100, v40, vcc_lo
	v_cmp_eq_u32_e32 vcc_lo, 7, v0
	v_cndmask_b32_e32 v100, v100, v41, vcc_lo
	v_cmp_eq_u32_e32 vcc_lo, 8, v0
	s_delay_alu instid0(VALU_DEP_2) | instskip(SKIP_1) | instid1(VALU_DEP_2)
	v_cndmask_b32_e32 v100, v100, v42, vcc_lo
	v_cmp_eq_u32_e32 vcc_lo, 9, v0
	v_cndmask_b32_e32 v100, v100, v43, vcc_lo
	v_cmp_eq_u32_e32 vcc_lo, 10, v0
	s_delay_alu instid0(VALU_DEP_2) | instskip(SKIP_1) | instid1(VALU_DEP_2)
	v_cndmask_b32_e32 v100, v100, v44, vcc_lo
	v_cmp_eq_u32_e32 vcc_lo, 11, v0
	v_cndmask_b32_e32 v100, v100, v45, vcc_lo
	v_cmp_eq_u32_e32 vcc_lo, 12, v0
	s_delay_alu instid0(VALU_DEP_2) | instskip(SKIP_1) | instid1(VALU_DEP_2)
	v_cndmask_b32_e32 v100, v100, v46, vcc_lo
	v_cmp_eq_u32_e32 vcc_lo, 13, v0
	v_cndmask_b32_e32 v100, v100, v47, vcc_lo
	v_cmp_eq_u32_e32 vcc_lo, 14, v0
	s_delay_alu instid0(VALU_DEP_2) | instskip(SKIP_1) | instid1(VALU_DEP_2)
	v_cndmask_b32_e32 v100, v100, v48, vcc_lo
	v_cmp_eq_u32_e32 vcc_lo, 15, v0
	v_cndmask_b32_e32 v100, v100, v49, vcc_lo
	v_cmp_eq_u32_e32 vcc_lo, 16, v0
	s_delay_alu instid0(VALU_DEP_2) | instskip(SKIP_1) | instid1(VALU_DEP_1)
	v_cndmask_b32_e32 v100, v100, v50, vcc_lo
	s_wait_dscnt 0x0
	v_mul_f32_e32 v104, v100, v101
	s_cbranch_execz .LBB80_37
	s_branch .LBB80_38
.LBB80_36:
                                        ; implicit-def: $vgpr104
.LBB80_37:
	ds_load_b32 v104, v103
.LBB80_38:
	s_and_saveexec_b32 s5, s1
	s_cbranch_execz .LBB80_48
; %bb.39:
	v_dual_add_nc_u32 v100, -14, v0 :: v_dual_add_nc_u32 v101, -13, v0
	s_delay_alu instid0(VALU_DEP_1)
	v_cmp_lt_u32_e32 vcc_lo, 6, v100
	v_mov_b32_e32 v100, 13
	s_and_saveexec_b32 s1, vcc_lo
	s_cbranch_execz .LBB80_43
; %bb.40:
	v_and_b32_e32 v100, -8, v101
	s_mov_b32 s6, 0
	s_mov_b64 s[2:3], 20
	s_movk_i32 s7, 0x84
	s_delay_alu instid0(VALU_DEP_1)
	v_sub_nc_u32_e32 v102, 0, v100
.LBB80_41:                              ; =>This Inner Loop Header: Depth=1
	s_add_co_i32 m0, s2, -7
	v_movrels_b32_e32 v105, v34
	v_mov_b32_e32 v100, s7
	s_add_co_i32 m0, s2, -6
	s_add_co_i32 s7, s7, 32
	v_movrels_b32_e32 v114, v34
	ds_load_2addr_b32 v[106:107], v100 offset1:1
	ds_load_2addr_b32 v[108:109], v100 offset0:2 offset1:3
	s_add_co_i32 m0, s2, -5
	s_wait_dscnt 0x1
	v_fmac_f32_e32 v104, v105, v106
	ds_load_2addr_b32 v[110:111], v100 offset0:4 offset1:5
	ds_load_2addr_b32 v[112:113], v100 offset0:6 offset1:7
	v_movrels_b32_e32 v100, v34
	s_add_co_i32 m0, s2, -4
	v_fmac_f32_e32 v104, v114, v107
	v_movrels_b32_e32 v105, v34
	s_add_co_i32 m0, s2, -3
	s_wait_dscnt 0x2
	s_delay_alu instid0(VALU_DEP_2) | instskip(SKIP_2) | instid1(VALU_DEP_2)
	v_fmac_f32_e32 v104, v100, v108
	v_movrels_b32_e32 v100, v34
	s_add_co_i32 m0, s2, -2
	v_fmac_f32_e32 v104, v105, v109
	v_movrels_b32_e32 v105, v34
	s_add_co_i32 m0, s2, -1
	s_wait_dscnt 0x1
	s_delay_alu instid0(VALU_DEP_2)
	v_fmac_f32_e32 v104, v100, v110
	v_movrels_b32_e32 v100, v34
	s_mov_b32 m0, s2
	s_add_nc_u64 s[2:3], s[2:3], 8
	v_movrels_b32_e32 v106, v34
	v_dual_fmac_f32 v104, v105, v111 :: v_dual_add_nc_u32 v105, s2, v102
	s_add_co_i32 s8, s2, -7
	s_wait_dscnt 0x0
	s_delay_alu instid0(VALU_DEP_1) | instskip(NEXT) | instid1(VALU_DEP_2)
	v_fmac_f32_e32 v104, v100, v112
	v_cmp_eq_u32_e32 vcc_lo, 20, v105
	s_delay_alu instid0(VALU_DEP_2) | instskip(SKIP_1) | instid1(SALU_CYCLE_1)
	v_dual_mov_b32 v100, s8 :: v_dual_fmac_f32 v104, v106, v113
	s_or_b32 s6, vcc_lo, s6
	s_and_not1_b32 exec_lo, exec_lo, s6
	s_cbranch_execnz .LBB80_41
; %bb.42:
	s_or_b32 exec_lo, exec_lo, s6
.LBB80_43:
	s_delay_alu instid0(SALU_CYCLE_1) | instskip(SKIP_3) | instid1(VALU_DEP_1)
	s_or_b32 exec_lo, exec_lo, s1
	v_and_b32_e32 v51, 7, v101
	s_mov_b32 s2, 0
	s_mov_b32 s1, exec_lo
	v_cmpx_ne_u32_e32 0, v51
	s_cbranch_execz .LBB80_47
; %bb.44:
	v_lshl_add_u32 v52, v100, 2, 0x50
	v_mov_b32_e32 v101, 0
.LBB80_45:                              ; =>This Inner Loop Header: Depth=1
	v_cmp_eq_u32_e32 vcc_lo, 1, v100
	ds_load_b32 v54, v52
	v_dual_add_nc_u32 v52, 4, v52 :: v_dual_add_nc_u32 v51, -1, v51
	v_cndmask_b32_e32 v53, v34, v35, vcc_lo
	v_cmp_eq_u32_e32 vcc_lo, 2, v100
	s_delay_alu instid0(VALU_DEP_2) | instskip(SKIP_1) | instid1(VALU_DEP_2)
	v_cndmask_b32_e32 v53, v53, v36, vcc_lo
	v_cmp_eq_u32_e32 vcc_lo, 3, v100
	v_cndmask_b32_e32 v53, v53, v37, vcc_lo
	v_cmp_eq_u32_e32 vcc_lo, 4, v100
	s_delay_alu instid0(VALU_DEP_2) | instskip(SKIP_1) | instid1(VALU_DEP_2)
	v_cndmask_b32_e32 v53, v53, v38, vcc_lo
	v_cmp_eq_u32_e32 vcc_lo, 5, v100
	;; [unrolled: 5-line block ×7, first 2 shown]
	v_cndmask_b32_e32 v53, v53, v49, vcc_lo
	v_cmp_eq_u32_e32 vcc_lo, 16, v100
	v_add_nc_u64_e32 v[100:101], 1, v[100:101]
	s_delay_alu instid0(VALU_DEP_3) | instskip(SKIP_2) | instid1(VALU_DEP_2)
	v_cndmask_b32_e32 v53, v53, v50, vcc_lo
	v_cmp_eq_u32_e32 vcc_lo, 0, v51
	s_wait_dscnt 0x0
	v_fmac_f32_e32 v104, v53, v54
	s_or_b32 s2, vcc_lo, s2
	s_delay_alu instid0(SALU_CYCLE_1)
	s_and_not1_b32 exec_lo, exec_lo, s2
	s_cbranch_execnz .LBB80_45
; %bb.46:
	s_or_b32 exec_lo, exec_lo, s2
.LBB80_47:
	s_delay_alu instid0(SALU_CYCLE_1)
	s_or_b32 exec_lo, exec_lo, s1
.LBB80_48:
	s_delay_alu instid0(SALU_CYCLE_1)
	s_or_b32 exec_lo, exec_lo, s5
	v_mov_b32_e32 v46, 0
	ds_load_b32 v46, v46 offset:48
	s_wait_dscnt 0x0
	v_mul_f32_e32 v46, v104, v46
.LBB80_49:
	s_or_b32 exec_lo, exec_lo, s4
	v_cmp_lt_u32_e64 s1, 11, v0
	ds_store_b32 v103, v45
	s_wait_dscnt 0x0
	s_barrier_signal -1
	s_barrier_wait -1
	s_and_saveexec_b32 s4, s1
	s_cbranch_execz .LBB80_65
; %bb.50:
	s_and_not1_b32 vcc_lo, exec_lo, s17
	s_cbranch_vccnz .LBB80_52
; %bb.51:
	v_cmp_eq_u32_e32 vcc_lo, 1, v0
	ds_load_b32 v101, v103
	v_cndmask_b32_e32 v100, v34, v35, vcc_lo
	v_cmp_eq_u32_e32 vcc_lo, 2, v0
	s_delay_alu instid0(VALU_DEP_2) | instskip(SKIP_1) | instid1(VALU_DEP_2)
	v_cndmask_b32_e32 v100, v100, v36, vcc_lo
	v_cmp_eq_u32_e32 vcc_lo, 3, v0
	v_cndmask_b32_e32 v100, v100, v37, vcc_lo
	v_cmp_eq_u32_e32 vcc_lo, 4, v0
	s_delay_alu instid0(VALU_DEP_2) | instskip(SKIP_1) | instid1(VALU_DEP_2)
	v_cndmask_b32_e32 v100, v100, v38, vcc_lo
	v_cmp_eq_u32_e32 vcc_lo, 5, v0
	;; [unrolled: 5-line block ×7, first 2 shown]
	v_cndmask_b32_e32 v100, v100, v49, vcc_lo
	v_cmp_eq_u32_e32 vcc_lo, 16, v0
	s_delay_alu instid0(VALU_DEP_2) | instskip(SKIP_1) | instid1(VALU_DEP_1)
	v_cndmask_b32_e32 v100, v100, v50, vcc_lo
	s_wait_dscnt 0x0
	v_mul_f32_e32 v104, v100, v101
	s_cbranch_execz .LBB80_53
	s_branch .LBB80_54
.LBB80_52:
                                        ; implicit-def: $vgpr104
.LBB80_53:
	ds_load_b32 v104, v103
.LBB80_54:
	s_and_saveexec_b32 s5, s0
	s_cbranch_execz .LBB80_64
; %bb.55:
	v_dual_add_nc_u32 v100, -13, v0 :: v_dual_add_nc_u32 v101, -12, v0
	s_delay_alu instid0(VALU_DEP_1)
	v_cmp_lt_u32_e32 vcc_lo, 6, v100
	v_mov_b32_e32 v100, 12
	s_and_saveexec_b32 s0, vcc_lo
	s_cbranch_execz .LBB80_59
; %bb.56:
	v_and_b32_e32 v100, -8, v101
	s_mov_b32 s6, 0
	s_mov_b64 s[2:3], 19
	s_movk_i32 s7, 0x80
	s_delay_alu instid0(VALU_DEP_1)
	v_sub_nc_u32_e32 v102, 0, v100
.LBB80_57:                              ; =>This Inner Loop Header: Depth=1
	s_add_co_i32 m0, s2, -7
	v_movrels_b32_e32 v105, v34
	v_mov_b32_e32 v100, s7
	s_add_co_i32 m0, s2, -6
	s_add_co_i32 s7, s7, 32
	v_movrels_b32_e32 v114, v34
	s_add_co_i32 m0, s2, -5
	ds_load_b128 v[106:109], v100
	ds_load_b128 v[110:113], v100 offset:16
	v_movrels_b32_e32 v100, v34
	s_add_co_i32 m0, s2, -4
	s_wait_dscnt 0x1
	v_fmac_f32_e32 v104, v105, v106
	v_movrels_b32_e32 v105, v34
	s_add_co_i32 m0, s2, -3
	s_delay_alu instid0(VALU_DEP_2) | instskip(NEXT) | instid1(VALU_DEP_1)
	v_fmac_f32_e32 v104, v114, v107
	v_fmac_f32_e32 v104, v100, v108
	v_movrels_b32_e32 v100, v34
	s_add_co_i32 m0, s2, -2
	s_delay_alu instid0(VALU_DEP_2) | instskip(SKIP_3) | instid1(VALU_DEP_2)
	v_fmac_f32_e32 v104, v105, v109
	v_movrels_b32_e32 v105, v34
	s_add_co_i32 m0, s2, -1
	s_wait_dscnt 0x0
	v_fmac_f32_e32 v104, v100, v110
	v_movrels_b32_e32 v100, v34
	s_mov_b32 m0, s2
	s_add_nc_u64 s[2:3], s[2:3], 8
	v_movrels_b32_e32 v106, v34
	v_dual_fmac_f32 v104, v105, v111 :: v_dual_add_nc_u32 v105, s2, v102
	s_add_co_i32 s8, s2, -7
	s_delay_alu instid0(VALU_DEP_1) | instskip(NEXT) | instid1(VALU_DEP_2)
	v_fmac_f32_e32 v104, v100, v112
	v_cmp_eq_u32_e32 vcc_lo, 19, v105
	s_delay_alu instid0(VALU_DEP_2) | instskip(SKIP_1) | instid1(SALU_CYCLE_1)
	v_dual_mov_b32 v100, s8 :: v_dual_fmac_f32 v104, v106, v113
	s_or_b32 s6, vcc_lo, s6
	s_and_not1_b32 exec_lo, exec_lo, s6
	s_cbranch_execnz .LBB80_57
; %bb.58:
	s_or_b32 exec_lo, exec_lo, s6
.LBB80_59:
	s_delay_alu instid0(SALU_CYCLE_1) | instskip(SKIP_3) | instid1(VALU_DEP_1)
	s_or_b32 exec_lo, exec_lo, s0
	v_and_b32_e32 v51, 7, v101
	s_mov_b32 s2, 0
	s_mov_b32 s0, exec_lo
	v_cmpx_ne_u32_e32 0, v51
	s_cbranch_execz .LBB80_63
; %bb.60:
	v_lshl_add_u32 v52, v100, 2, 0x50
	v_mov_b32_e32 v101, 0
.LBB80_61:                              ; =>This Inner Loop Header: Depth=1
	v_cmp_eq_u32_e32 vcc_lo, 1, v100
	ds_load_b32 v54, v52
	v_dual_add_nc_u32 v52, 4, v52 :: v_dual_add_nc_u32 v51, -1, v51
	v_cndmask_b32_e32 v53, v34, v35, vcc_lo
	v_cmp_eq_u32_e32 vcc_lo, 2, v100
	s_delay_alu instid0(VALU_DEP_2) | instskip(SKIP_1) | instid1(VALU_DEP_2)
	v_cndmask_b32_e32 v53, v53, v36, vcc_lo
	v_cmp_eq_u32_e32 vcc_lo, 3, v100
	v_cndmask_b32_e32 v53, v53, v37, vcc_lo
	v_cmp_eq_u32_e32 vcc_lo, 4, v100
	s_delay_alu instid0(VALU_DEP_2) | instskip(SKIP_1) | instid1(VALU_DEP_2)
	v_cndmask_b32_e32 v53, v53, v38, vcc_lo
	v_cmp_eq_u32_e32 vcc_lo, 5, v100
	;; [unrolled: 5-line block ×7, first 2 shown]
	v_cndmask_b32_e32 v53, v53, v49, vcc_lo
	v_cmp_eq_u32_e32 vcc_lo, 16, v100
	v_add_nc_u64_e32 v[100:101], 1, v[100:101]
	s_delay_alu instid0(VALU_DEP_3) | instskip(SKIP_2) | instid1(VALU_DEP_2)
	v_cndmask_b32_e32 v53, v53, v50, vcc_lo
	v_cmp_eq_u32_e32 vcc_lo, 0, v51
	s_wait_dscnt 0x0
	v_fmac_f32_e32 v104, v53, v54
	s_or_b32 s2, vcc_lo, s2
	s_delay_alu instid0(SALU_CYCLE_1)
	s_and_not1_b32 exec_lo, exec_lo, s2
	s_cbranch_execnz .LBB80_61
; %bb.62:
	s_or_b32 exec_lo, exec_lo, s2
.LBB80_63:
	s_delay_alu instid0(SALU_CYCLE_1)
	s_or_b32 exec_lo, exec_lo, s0
.LBB80_64:
	s_delay_alu instid0(SALU_CYCLE_1)
	s_or_b32 exec_lo, exec_lo, s5
	v_mov_b32_e32 v45, 0
	ds_load_b32 v45, v45 offset:44
	s_wait_dscnt 0x0
	v_mul_f32_e32 v45, v104, v45
.LBB80_65:
	s_or_b32 exec_lo, exec_lo, s4
	v_cmp_lt_u32_e64 s0, 10, v0
	ds_store_b32 v103, v44
	s_wait_dscnt 0x0
	s_barrier_signal -1
	s_barrier_wait -1
	s_and_saveexec_b32 s4, s0
	s_cbranch_execz .LBB80_81
; %bb.66:
	s_and_not1_b32 vcc_lo, exec_lo, s17
	s_cbranch_vccnz .LBB80_68
; %bb.67:
	v_cmp_eq_u32_e32 vcc_lo, 1, v0
	ds_load_b32 v101, v103
	v_cndmask_b32_e32 v100, v34, v35, vcc_lo
	v_cmp_eq_u32_e32 vcc_lo, 2, v0
	s_delay_alu instid0(VALU_DEP_2) | instskip(SKIP_1) | instid1(VALU_DEP_2)
	v_cndmask_b32_e32 v100, v100, v36, vcc_lo
	v_cmp_eq_u32_e32 vcc_lo, 3, v0
	v_cndmask_b32_e32 v100, v100, v37, vcc_lo
	v_cmp_eq_u32_e32 vcc_lo, 4, v0
	s_delay_alu instid0(VALU_DEP_2) | instskip(SKIP_1) | instid1(VALU_DEP_2)
	v_cndmask_b32_e32 v100, v100, v38, vcc_lo
	v_cmp_eq_u32_e32 vcc_lo, 5, v0
	;; [unrolled: 5-line block ×7, first 2 shown]
	v_cndmask_b32_e32 v100, v100, v49, vcc_lo
	v_cmp_eq_u32_e32 vcc_lo, 16, v0
	s_delay_alu instid0(VALU_DEP_2) | instskip(SKIP_1) | instid1(VALU_DEP_1)
	v_cndmask_b32_e32 v100, v100, v50, vcc_lo
	s_wait_dscnt 0x0
	v_mul_f32_e32 v104, v100, v101
	s_cbranch_execz .LBB80_69
	s_branch .LBB80_70
.LBB80_68:
                                        ; implicit-def: $vgpr104
.LBB80_69:
	ds_load_b32 v104, v103
.LBB80_70:
	s_and_saveexec_b32 s5, s1
	s_cbranch_execz .LBB80_80
; %bb.71:
	v_dual_add_nc_u32 v100, -12, v0 :: v_dual_add_nc_u32 v101, -11, v0
	s_delay_alu instid0(VALU_DEP_1)
	v_cmp_lt_u32_e32 vcc_lo, 6, v100
	v_mov_b32_e32 v100, 11
	s_and_saveexec_b32 s1, vcc_lo
	s_cbranch_execz .LBB80_75
; %bb.72:
	v_and_b32_e32 v100, -8, v101
	s_mov_b32 s6, 0
	s_mov_b64 s[2:3], 18
	s_movk_i32 s7, 0x7c
	s_delay_alu instid0(VALU_DEP_1)
	v_sub_nc_u32_e32 v102, 0, v100
.LBB80_73:                              ; =>This Inner Loop Header: Depth=1
	s_add_co_i32 m0, s2, -7
	v_movrels_b32_e32 v105, v34
	v_mov_b32_e32 v100, s7
	s_add_co_i32 m0, s2, -6
	s_add_co_i32 s7, s7, 32
	v_movrels_b32_e32 v114, v34
	ds_load_2addr_b32 v[106:107], v100 offset1:1
	ds_load_2addr_b32 v[108:109], v100 offset0:2 offset1:3
	s_add_co_i32 m0, s2, -5
	s_wait_dscnt 0x1
	v_fmac_f32_e32 v104, v105, v106
	ds_load_2addr_b32 v[110:111], v100 offset0:4 offset1:5
	ds_load_2addr_b32 v[112:113], v100 offset0:6 offset1:7
	v_movrels_b32_e32 v100, v34
	s_add_co_i32 m0, s2, -4
	v_fmac_f32_e32 v104, v114, v107
	v_movrels_b32_e32 v105, v34
	s_add_co_i32 m0, s2, -3
	s_wait_dscnt 0x2
	s_delay_alu instid0(VALU_DEP_2) | instskip(SKIP_2) | instid1(VALU_DEP_2)
	v_fmac_f32_e32 v104, v100, v108
	v_movrels_b32_e32 v100, v34
	s_add_co_i32 m0, s2, -2
	v_fmac_f32_e32 v104, v105, v109
	v_movrels_b32_e32 v105, v34
	s_add_co_i32 m0, s2, -1
	s_wait_dscnt 0x1
	s_delay_alu instid0(VALU_DEP_2)
	v_fmac_f32_e32 v104, v100, v110
	v_movrels_b32_e32 v100, v34
	s_mov_b32 m0, s2
	s_add_nc_u64 s[2:3], s[2:3], 8
	v_movrels_b32_e32 v106, v34
	v_dual_fmac_f32 v104, v105, v111 :: v_dual_add_nc_u32 v105, s2, v102
	s_add_co_i32 s8, s2, -7
	s_wait_dscnt 0x0
	s_delay_alu instid0(VALU_DEP_1) | instskip(NEXT) | instid1(VALU_DEP_2)
	v_fmac_f32_e32 v104, v100, v112
	v_cmp_eq_u32_e32 vcc_lo, 18, v105
	s_delay_alu instid0(VALU_DEP_2) | instskip(SKIP_1) | instid1(SALU_CYCLE_1)
	v_dual_mov_b32 v100, s8 :: v_dual_fmac_f32 v104, v106, v113
	s_or_b32 s6, vcc_lo, s6
	s_and_not1_b32 exec_lo, exec_lo, s6
	s_cbranch_execnz .LBB80_73
; %bb.74:
	s_or_b32 exec_lo, exec_lo, s6
.LBB80_75:
	s_delay_alu instid0(SALU_CYCLE_1) | instskip(SKIP_3) | instid1(VALU_DEP_1)
	s_or_b32 exec_lo, exec_lo, s1
	v_and_b32_e32 v51, 7, v101
	s_mov_b32 s2, 0
	s_mov_b32 s1, exec_lo
	v_cmpx_ne_u32_e32 0, v51
	s_cbranch_execz .LBB80_79
; %bb.76:
	v_lshl_add_u32 v52, v100, 2, 0x50
	v_mov_b32_e32 v101, 0
.LBB80_77:                              ; =>This Inner Loop Header: Depth=1
	v_cmp_eq_u32_e32 vcc_lo, 1, v100
	ds_load_b32 v54, v52
	v_dual_add_nc_u32 v52, 4, v52 :: v_dual_add_nc_u32 v51, -1, v51
	v_cndmask_b32_e32 v53, v34, v35, vcc_lo
	v_cmp_eq_u32_e32 vcc_lo, 2, v100
	s_delay_alu instid0(VALU_DEP_2) | instskip(SKIP_1) | instid1(VALU_DEP_2)
	v_cndmask_b32_e32 v53, v53, v36, vcc_lo
	v_cmp_eq_u32_e32 vcc_lo, 3, v100
	v_cndmask_b32_e32 v53, v53, v37, vcc_lo
	v_cmp_eq_u32_e32 vcc_lo, 4, v100
	s_delay_alu instid0(VALU_DEP_2) | instskip(SKIP_1) | instid1(VALU_DEP_2)
	v_cndmask_b32_e32 v53, v53, v38, vcc_lo
	v_cmp_eq_u32_e32 vcc_lo, 5, v100
	;; [unrolled: 5-line block ×7, first 2 shown]
	v_cndmask_b32_e32 v53, v53, v49, vcc_lo
	v_cmp_eq_u32_e32 vcc_lo, 16, v100
	v_add_nc_u64_e32 v[100:101], 1, v[100:101]
	s_delay_alu instid0(VALU_DEP_3) | instskip(SKIP_2) | instid1(VALU_DEP_2)
	v_cndmask_b32_e32 v53, v53, v50, vcc_lo
	v_cmp_eq_u32_e32 vcc_lo, 0, v51
	s_wait_dscnt 0x0
	v_fmac_f32_e32 v104, v53, v54
	s_or_b32 s2, vcc_lo, s2
	s_delay_alu instid0(SALU_CYCLE_1)
	s_and_not1_b32 exec_lo, exec_lo, s2
	s_cbranch_execnz .LBB80_77
; %bb.78:
	s_or_b32 exec_lo, exec_lo, s2
.LBB80_79:
	s_delay_alu instid0(SALU_CYCLE_1)
	s_or_b32 exec_lo, exec_lo, s1
.LBB80_80:
	s_delay_alu instid0(SALU_CYCLE_1)
	s_or_b32 exec_lo, exec_lo, s5
	v_mov_b32_e32 v44, 0
	ds_load_b32 v44, v44 offset:40
	s_wait_dscnt 0x0
	v_mul_f32_e32 v44, v104, v44
.LBB80_81:
	s_or_b32 exec_lo, exec_lo, s4
	v_cmp_lt_u32_e64 s1, 9, v0
	ds_store_b32 v103, v43
	s_wait_dscnt 0x0
	s_barrier_signal -1
	s_barrier_wait -1
	s_and_saveexec_b32 s4, s1
	s_cbranch_execz .LBB80_97
; %bb.82:
	s_and_not1_b32 vcc_lo, exec_lo, s17
	s_cbranch_vccnz .LBB80_84
; %bb.83:
	v_cmp_eq_u32_e32 vcc_lo, 1, v0
	ds_load_b32 v101, v103
	v_cndmask_b32_e32 v100, v34, v35, vcc_lo
	v_cmp_eq_u32_e32 vcc_lo, 2, v0
	s_delay_alu instid0(VALU_DEP_2) | instskip(SKIP_1) | instid1(VALU_DEP_2)
	v_cndmask_b32_e32 v100, v100, v36, vcc_lo
	v_cmp_eq_u32_e32 vcc_lo, 3, v0
	v_cndmask_b32_e32 v100, v100, v37, vcc_lo
	v_cmp_eq_u32_e32 vcc_lo, 4, v0
	s_delay_alu instid0(VALU_DEP_2) | instskip(SKIP_1) | instid1(VALU_DEP_2)
	v_cndmask_b32_e32 v100, v100, v38, vcc_lo
	v_cmp_eq_u32_e32 vcc_lo, 5, v0
	;; [unrolled: 5-line block ×7, first 2 shown]
	v_cndmask_b32_e32 v100, v100, v49, vcc_lo
	v_cmp_eq_u32_e32 vcc_lo, 16, v0
	s_delay_alu instid0(VALU_DEP_2) | instskip(SKIP_1) | instid1(VALU_DEP_1)
	v_cndmask_b32_e32 v100, v100, v50, vcc_lo
	s_wait_dscnt 0x0
	v_mul_f32_e32 v104, v100, v101
	s_cbranch_execz .LBB80_85
	s_branch .LBB80_86
.LBB80_84:
                                        ; implicit-def: $vgpr104
.LBB80_85:
	ds_load_b32 v104, v103
.LBB80_86:
	s_and_saveexec_b32 s5, s0
	s_cbranch_execz .LBB80_96
; %bb.87:
	v_dual_add_nc_u32 v100, -11, v0 :: v_dual_add_nc_u32 v101, -10, v0
	s_delay_alu instid0(VALU_DEP_1)
	v_cmp_lt_u32_e32 vcc_lo, 6, v100
	v_mov_b32_e32 v100, 10
	s_and_saveexec_b32 s0, vcc_lo
	s_cbranch_execz .LBB80_91
; %bb.88:
	v_and_b32_e32 v100, -8, v101
	s_mov_b32 s6, 0
	s_mov_b64 s[2:3], 17
	s_movk_i32 s7, 0x78
	s_delay_alu instid0(VALU_DEP_1)
	v_sub_nc_u32_e32 v102, 0, v100
.LBB80_89:                              ; =>This Inner Loop Header: Depth=1
	s_add_co_i32 m0, s2, -7
	v_movrels_b32_e32 v105, v34
	v_mov_b32_e32 v100, s7
	s_add_co_i32 m0, s2, -6
	s_add_co_i32 s7, s7, 32
	v_movrels_b32_e32 v114, v34
	s_add_co_i32 m0, s2, -5
	ds_load_2addr_b64 v[106:109], v100 offset1:1
	ds_load_2addr_b64 v[110:113], v100 offset0:2 offset1:3
	v_movrels_b32_e32 v100, v34
	s_add_co_i32 m0, s2, -4
	s_wait_dscnt 0x1
	v_fmac_f32_e32 v104, v105, v106
	v_movrels_b32_e32 v105, v34
	s_add_co_i32 m0, s2, -3
	s_delay_alu instid0(VALU_DEP_2) | instskip(NEXT) | instid1(VALU_DEP_1)
	v_fmac_f32_e32 v104, v114, v107
	v_fmac_f32_e32 v104, v100, v108
	v_movrels_b32_e32 v100, v34
	s_add_co_i32 m0, s2, -2
	s_delay_alu instid0(VALU_DEP_2) | instskip(SKIP_3) | instid1(VALU_DEP_2)
	v_fmac_f32_e32 v104, v105, v109
	v_movrels_b32_e32 v105, v34
	s_add_co_i32 m0, s2, -1
	s_wait_dscnt 0x0
	v_fmac_f32_e32 v104, v100, v110
	v_movrels_b32_e32 v100, v34
	s_mov_b32 m0, s2
	s_add_nc_u64 s[2:3], s[2:3], 8
	v_movrels_b32_e32 v106, v34
	v_dual_fmac_f32 v104, v105, v111 :: v_dual_add_nc_u32 v105, s2, v102
	s_add_co_i32 s8, s2, -7
	s_delay_alu instid0(VALU_DEP_1) | instskip(NEXT) | instid1(VALU_DEP_2)
	v_fmac_f32_e32 v104, v100, v112
	v_cmp_eq_u32_e32 vcc_lo, 17, v105
	s_delay_alu instid0(VALU_DEP_2) | instskip(SKIP_1) | instid1(SALU_CYCLE_1)
	v_dual_mov_b32 v100, s8 :: v_dual_fmac_f32 v104, v106, v113
	s_or_b32 s6, vcc_lo, s6
	s_and_not1_b32 exec_lo, exec_lo, s6
	s_cbranch_execnz .LBB80_89
; %bb.90:
	s_or_b32 exec_lo, exec_lo, s6
.LBB80_91:
	s_delay_alu instid0(SALU_CYCLE_1) | instskip(SKIP_3) | instid1(VALU_DEP_1)
	s_or_b32 exec_lo, exec_lo, s0
	v_and_b32_e32 v51, 7, v101
	s_mov_b32 s2, 0
	s_mov_b32 s0, exec_lo
	v_cmpx_ne_u32_e32 0, v51
	s_cbranch_execz .LBB80_95
; %bb.92:
	v_lshl_add_u32 v52, v100, 2, 0x50
	v_mov_b32_e32 v101, 0
.LBB80_93:                              ; =>This Inner Loop Header: Depth=1
	v_cmp_eq_u32_e32 vcc_lo, 1, v100
	ds_load_b32 v54, v52
	v_dual_add_nc_u32 v52, 4, v52 :: v_dual_add_nc_u32 v51, -1, v51
	v_cndmask_b32_e32 v53, v34, v35, vcc_lo
	v_cmp_eq_u32_e32 vcc_lo, 2, v100
	s_delay_alu instid0(VALU_DEP_2) | instskip(SKIP_1) | instid1(VALU_DEP_2)
	v_cndmask_b32_e32 v53, v53, v36, vcc_lo
	v_cmp_eq_u32_e32 vcc_lo, 3, v100
	v_cndmask_b32_e32 v53, v53, v37, vcc_lo
	v_cmp_eq_u32_e32 vcc_lo, 4, v100
	s_delay_alu instid0(VALU_DEP_2) | instskip(SKIP_1) | instid1(VALU_DEP_2)
	v_cndmask_b32_e32 v53, v53, v38, vcc_lo
	v_cmp_eq_u32_e32 vcc_lo, 5, v100
	;; [unrolled: 5-line block ×7, first 2 shown]
	v_cndmask_b32_e32 v53, v53, v49, vcc_lo
	v_cmp_eq_u32_e32 vcc_lo, 16, v100
	v_add_nc_u64_e32 v[100:101], 1, v[100:101]
	s_delay_alu instid0(VALU_DEP_3) | instskip(SKIP_2) | instid1(VALU_DEP_2)
	v_cndmask_b32_e32 v53, v53, v50, vcc_lo
	v_cmp_eq_u32_e32 vcc_lo, 0, v51
	s_wait_dscnt 0x0
	v_fmac_f32_e32 v104, v53, v54
	s_or_b32 s2, vcc_lo, s2
	s_delay_alu instid0(SALU_CYCLE_1)
	s_and_not1_b32 exec_lo, exec_lo, s2
	s_cbranch_execnz .LBB80_93
; %bb.94:
	s_or_b32 exec_lo, exec_lo, s2
.LBB80_95:
	s_delay_alu instid0(SALU_CYCLE_1)
	s_or_b32 exec_lo, exec_lo, s0
.LBB80_96:
	s_delay_alu instid0(SALU_CYCLE_1)
	s_or_b32 exec_lo, exec_lo, s5
	v_mov_b32_e32 v43, 0
	ds_load_b32 v43, v43 offset:36
	s_wait_dscnt 0x0
	v_mul_f32_e32 v43, v104, v43
.LBB80_97:
	s_or_b32 exec_lo, exec_lo, s4
	v_cmp_lt_u32_e64 s0, 8, v0
	ds_store_b32 v103, v42
	s_wait_dscnt 0x0
	s_barrier_signal -1
	s_barrier_wait -1
	s_and_saveexec_b32 s4, s0
	s_cbranch_execz .LBB80_113
; %bb.98:
	s_and_not1_b32 vcc_lo, exec_lo, s17
	s_cbranch_vccnz .LBB80_100
; %bb.99:
	v_cmp_eq_u32_e32 vcc_lo, 1, v0
	ds_load_b32 v101, v103
	v_cndmask_b32_e32 v100, v34, v35, vcc_lo
	v_cmp_eq_u32_e32 vcc_lo, 2, v0
	s_delay_alu instid0(VALU_DEP_2) | instskip(SKIP_1) | instid1(VALU_DEP_2)
	v_cndmask_b32_e32 v100, v100, v36, vcc_lo
	v_cmp_eq_u32_e32 vcc_lo, 3, v0
	v_cndmask_b32_e32 v100, v100, v37, vcc_lo
	v_cmp_eq_u32_e32 vcc_lo, 4, v0
	s_delay_alu instid0(VALU_DEP_2) | instskip(SKIP_1) | instid1(VALU_DEP_2)
	v_cndmask_b32_e32 v100, v100, v38, vcc_lo
	v_cmp_eq_u32_e32 vcc_lo, 5, v0
	;; [unrolled: 5-line block ×7, first 2 shown]
	v_cndmask_b32_e32 v100, v100, v49, vcc_lo
	v_cmp_eq_u32_e32 vcc_lo, 16, v0
	s_delay_alu instid0(VALU_DEP_2) | instskip(SKIP_1) | instid1(VALU_DEP_1)
	v_cndmask_b32_e32 v100, v100, v50, vcc_lo
	s_wait_dscnt 0x0
	v_mul_f32_e32 v104, v100, v101
	s_cbranch_execz .LBB80_101
	s_branch .LBB80_102
.LBB80_100:
                                        ; implicit-def: $vgpr104
.LBB80_101:
	ds_load_b32 v104, v103
.LBB80_102:
	s_and_saveexec_b32 s5, s1
	s_cbranch_execz .LBB80_112
; %bb.103:
	v_dual_add_nc_u32 v100, -10, v0 :: v_dual_add_nc_u32 v101, -9, v0
	s_delay_alu instid0(VALU_DEP_1)
	v_cmp_lt_u32_e32 vcc_lo, 6, v100
	v_mov_b32_e32 v100, 9
	s_and_saveexec_b32 s1, vcc_lo
	s_cbranch_execz .LBB80_107
; %bb.104:
	v_and_b32_e32 v100, -8, v101
	s_mov_b32 s6, 0
	s_mov_b64 s[2:3], 16
	s_movk_i32 s7, 0x74
	s_delay_alu instid0(VALU_DEP_1)
	v_sub_nc_u32_e32 v102, 0, v100
.LBB80_105:                             ; =>This Inner Loop Header: Depth=1
	s_add_co_i32 m0, s2, -7
	v_movrels_b32_e32 v105, v34
	v_mov_b32_e32 v100, s7
	s_add_co_i32 m0, s2, -6
	s_add_co_i32 s7, s7, 32
	v_movrels_b32_e32 v114, v34
	ds_load_2addr_b32 v[106:107], v100 offset1:1
	ds_load_2addr_b32 v[108:109], v100 offset0:2 offset1:3
	s_add_co_i32 m0, s2, -5
	s_wait_dscnt 0x1
	v_fmac_f32_e32 v104, v105, v106
	ds_load_2addr_b32 v[110:111], v100 offset0:4 offset1:5
	ds_load_2addr_b32 v[112:113], v100 offset0:6 offset1:7
	v_movrels_b32_e32 v100, v34
	s_add_co_i32 m0, s2, -4
	v_fmac_f32_e32 v104, v114, v107
	v_movrels_b32_e32 v105, v34
	s_add_co_i32 m0, s2, -3
	s_wait_dscnt 0x2
	s_delay_alu instid0(VALU_DEP_2) | instskip(SKIP_2) | instid1(VALU_DEP_2)
	v_fmac_f32_e32 v104, v100, v108
	v_movrels_b32_e32 v100, v34
	s_add_co_i32 m0, s2, -2
	v_fmac_f32_e32 v104, v105, v109
	v_movrels_b32_e32 v105, v34
	s_add_co_i32 m0, s2, -1
	s_wait_dscnt 0x1
	s_delay_alu instid0(VALU_DEP_2)
	v_fmac_f32_e32 v104, v100, v110
	v_movrels_b32_e32 v100, v34
	s_mov_b32 m0, s2
	s_add_nc_u64 s[2:3], s[2:3], 8
	v_movrels_b32_e32 v106, v34
	v_dual_fmac_f32 v104, v105, v111 :: v_dual_add_nc_u32 v105, s2, v102
	s_add_co_i32 s8, s2, -7
	s_wait_dscnt 0x0
	s_delay_alu instid0(VALU_DEP_1) | instskip(NEXT) | instid1(VALU_DEP_2)
	v_fmac_f32_e32 v104, v100, v112
	v_cmp_eq_u32_e32 vcc_lo, 16, v105
	s_delay_alu instid0(VALU_DEP_2) | instskip(SKIP_1) | instid1(SALU_CYCLE_1)
	v_dual_mov_b32 v100, s8 :: v_dual_fmac_f32 v104, v106, v113
	s_or_b32 s6, vcc_lo, s6
	s_and_not1_b32 exec_lo, exec_lo, s6
	s_cbranch_execnz .LBB80_105
; %bb.106:
	s_or_b32 exec_lo, exec_lo, s6
.LBB80_107:
	s_delay_alu instid0(SALU_CYCLE_1) | instskip(SKIP_3) | instid1(VALU_DEP_1)
	s_or_b32 exec_lo, exec_lo, s1
	v_and_b32_e32 v51, 7, v101
	s_mov_b32 s2, 0
	s_mov_b32 s1, exec_lo
	v_cmpx_ne_u32_e32 0, v51
	s_cbranch_execz .LBB80_111
; %bb.108:
	v_lshl_add_u32 v52, v100, 2, 0x50
	v_mov_b32_e32 v101, 0
.LBB80_109:                             ; =>This Inner Loop Header: Depth=1
	v_cmp_eq_u32_e32 vcc_lo, 1, v100
	ds_load_b32 v54, v52
	v_dual_add_nc_u32 v52, 4, v52 :: v_dual_add_nc_u32 v51, -1, v51
	v_cndmask_b32_e32 v53, v34, v35, vcc_lo
	v_cmp_eq_u32_e32 vcc_lo, 2, v100
	s_delay_alu instid0(VALU_DEP_2) | instskip(SKIP_1) | instid1(VALU_DEP_2)
	v_cndmask_b32_e32 v53, v53, v36, vcc_lo
	v_cmp_eq_u32_e32 vcc_lo, 3, v100
	v_cndmask_b32_e32 v53, v53, v37, vcc_lo
	v_cmp_eq_u32_e32 vcc_lo, 4, v100
	s_delay_alu instid0(VALU_DEP_2) | instskip(SKIP_1) | instid1(VALU_DEP_2)
	v_cndmask_b32_e32 v53, v53, v38, vcc_lo
	v_cmp_eq_u32_e32 vcc_lo, 5, v100
	;; [unrolled: 5-line block ×7, first 2 shown]
	v_cndmask_b32_e32 v53, v53, v49, vcc_lo
	v_cmp_eq_u32_e32 vcc_lo, 16, v100
	v_add_nc_u64_e32 v[100:101], 1, v[100:101]
	s_delay_alu instid0(VALU_DEP_3) | instskip(SKIP_2) | instid1(VALU_DEP_2)
	v_cndmask_b32_e32 v53, v53, v50, vcc_lo
	v_cmp_eq_u32_e32 vcc_lo, 0, v51
	s_wait_dscnt 0x0
	v_fmac_f32_e32 v104, v53, v54
	s_or_b32 s2, vcc_lo, s2
	s_delay_alu instid0(SALU_CYCLE_1)
	s_and_not1_b32 exec_lo, exec_lo, s2
	s_cbranch_execnz .LBB80_109
; %bb.110:
	s_or_b32 exec_lo, exec_lo, s2
.LBB80_111:
	s_delay_alu instid0(SALU_CYCLE_1)
	s_or_b32 exec_lo, exec_lo, s1
.LBB80_112:
	s_delay_alu instid0(SALU_CYCLE_1)
	s_or_b32 exec_lo, exec_lo, s5
	v_mov_b32_e32 v42, 0
	ds_load_b32 v42, v42 offset:32
	s_wait_dscnt 0x0
	v_mul_f32_e32 v42, v104, v42
.LBB80_113:
	s_or_b32 exec_lo, exec_lo, s4
	v_cmp_lt_u32_e64 s1, 7, v0
	ds_store_b32 v103, v41
	s_wait_dscnt 0x0
	s_barrier_signal -1
	s_barrier_wait -1
	s_and_saveexec_b32 s4, s1
	s_cbranch_execz .LBB80_129
; %bb.114:
	s_and_not1_b32 vcc_lo, exec_lo, s17
	s_cbranch_vccnz .LBB80_116
; %bb.115:
	v_cmp_eq_u32_e32 vcc_lo, 1, v0
	ds_load_b32 v101, v103
	v_cndmask_b32_e32 v100, v34, v35, vcc_lo
	v_cmp_eq_u32_e32 vcc_lo, 2, v0
	s_delay_alu instid0(VALU_DEP_2) | instskip(SKIP_1) | instid1(VALU_DEP_2)
	v_cndmask_b32_e32 v100, v100, v36, vcc_lo
	v_cmp_eq_u32_e32 vcc_lo, 3, v0
	v_cndmask_b32_e32 v100, v100, v37, vcc_lo
	v_cmp_eq_u32_e32 vcc_lo, 4, v0
	s_delay_alu instid0(VALU_DEP_2) | instskip(SKIP_1) | instid1(VALU_DEP_2)
	v_cndmask_b32_e32 v100, v100, v38, vcc_lo
	v_cmp_eq_u32_e32 vcc_lo, 5, v0
	v_cndmask_b32_e32 v100, v100, v39, vcc_lo
	v_cmp_eq_u32_e32 vcc_lo, 6, v0
	s_delay_alu instid0(VALU_DEP_2) | instskip(SKIP_1) | instid1(VALU_DEP_2)
	v_cndmask_b32_e32 v100, v100, v40, vcc_lo
	v_cmp_eq_u32_e32 vcc_lo, 7, v0
	v_cndmask_b32_e32 v100, v100, v41, vcc_lo
	v_cmp_eq_u32_e32 vcc_lo, 8, v0
	s_delay_alu instid0(VALU_DEP_2) | instskip(SKIP_1) | instid1(VALU_DEP_2)
	v_cndmask_b32_e32 v100, v100, v42, vcc_lo
	v_cmp_eq_u32_e32 vcc_lo, 9, v0
	v_cndmask_b32_e32 v100, v100, v43, vcc_lo
	v_cmp_eq_u32_e32 vcc_lo, 10, v0
	s_delay_alu instid0(VALU_DEP_2) | instskip(SKIP_1) | instid1(VALU_DEP_2)
	v_cndmask_b32_e32 v100, v100, v44, vcc_lo
	v_cmp_eq_u32_e32 vcc_lo, 11, v0
	v_cndmask_b32_e32 v100, v100, v45, vcc_lo
	v_cmp_eq_u32_e32 vcc_lo, 12, v0
	s_delay_alu instid0(VALU_DEP_2) | instskip(SKIP_1) | instid1(VALU_DEP_2)
	v_cndmask_b32_e32 v100, v100, v46, vcc_lo
	v_cmp_eq_u32_e32 vcc_lo, 13, v0
	v_cndmask_b32_e32 v100, v100, v47, vcc_lo
	v_cmp_eq_u32_e32 vcc_lo, 14, v0
	s_delay_alu instid0(VALU_DEP_2) | instskip(SKIP_1) | instid1(VALU_DEP_2)
	v_cndmask_b32_e32 v100, v100, v48, vcc_lo
	v_cmp_eq_u32_e32 vcc_lo, 15, v0
	v_cndmask_b32_e32 v100, v100, v49, vcc_lo
	v_cmp_eq_u32_e32 vcc_lo, 16, v0
	s_delay_alu instid0(VALU_DEP_2) | instskip(SKIP_1) | instid1(VALU_DEP_1)
	v_cndmask_b32_e32 v100, v100, v50, vcc_lo
	s_wait_dscnt 0x0
	v_mul_f32_e32 v104, v100, v101
	s_cbranch_execz .LBB80_117
	s_branch .LBB80_118
.LBB80_116:
                                        ; implicit-def: $vgpr104
.LBB80_117:
	ds_load_b32 v104, v103
.LBB80_118:
	s_and_saveexec_b32 s5, s0
	s_cbranch_execz .LBB80_128
; %bb.119:
	v_add_nc_u32_e32 v100, -9, v0
	s_delay_alu instid0(VALU_DEP_1)
	v_cmp_lt_u32_e32 vcc_lo, 6, v100
	v_mov_b32_e32 v100, 8
	s_and_saveexec_b32 s0, vcc_lo
	s_cbranch_execz .LBB80_123
; %bb.120:
	v_and_b32_e32 v100, 24, v0
	s_mov_b32 s6, 0
	s_mov_b64 s[2:3], 15
	s_movk_i32 s7, 0x70
	s_delay_alu instid0(VALU_DEP_1)
	v_sub_nc_u32_e32 v102, 0, v100
.LBB80_121:                             ; =>This Inner Loop Header: Depth=1
	s_add_co_i32 m0, s2, -7
	v_movrels_b32_e32 v101, v34
	v_mov_b32_e32 v100, s7
	s_add_co_i32 m0, s2, -6
	s_add_co_i32 s7, s7, 32
	v_movrels_b32_e32 v105, v34
	s_add_co_i32 m0, s2, -5
	ds_load_b128 v[106:109], v100
	ds_load_b128 v[110:113], v100 offset:16
	v_movrels_b32_e32 v100, v34
	s_add_co_i32 m0, s2, -4
	s_wait_dscnt 0x1
	v_fmac_f32_e32 v104, v101, v106
	v_movrels_b32_e32 v101, v34
	s_add_co_i32 m0, s2, -3
	s_delay_alu instid0(VALU_DEP_2) | instskip(NEXT) | instid1(VALU_DEP_1)
	v_fmac_f32_e32 v104, v105, v107
	v_fmac_f32_e32 v104, v100, v108
	v_movrels_b32_e32 v100, v34
	s_add_co_i32 m0, s2, -2
	s_delay_alu instid0(VALU_DEP_2) | instskip(SKIP_3) | instid1(VALU_DEP_2)
	v_fmac_f32_e32 v104, v101, v109
	v_movrels_b32_e32 v101, v34
	s_add_co_i32 m0, s2, -1
	s_wait_dscnt 0x0
	v_fmac_f32_e32 v104, v100, v110
	v_movrels_b32_e32 v100, v34
	s_mov_b32 m0, s2
	s_add_nc_u64 s[2:3], s[2:3], 8
	v_movrels_b32_e32 v105, v34
	v_dual_fmac_f32 v104, v101, v111 :: v_dual_add_nc_u32 v101, s2, v102
	s_add_co_i32 s8, s2, -7
	s_delay_alu instid0(VALU_DEP_1) | instskip(NEXT) | instid1(VALU_DEP_2)
	v_fmac_f32_e32 v104, v100, v112
	v_cmp_eq_u32_e32 vcc_lo, 7, v101
	s_delay_alu instid0(VALU_DEP_2) | instskip(SKIP_1) | instid1(SALU_CYCLE_1)
	v_dual_mov_b32 v100, s8 :: v_dual_fmac_f32 v104, v105, v113
	s_or_b32 s6, vcc_lo, s6
	s_and_not1_b32 exec_lo, exec_lo, s6
	s_cbranch_execnz .LBB80_121
; %bb.122:
	s_or_b32 exec_lo, exec_lo, s6
.LBB80_123:
	s_delay_alu instid0(SALU_CYCLE_1) | instskip(SKIP_3) | instid1(VALU_DEP_1)
	s_or_b32 exec_lo, exec_lo, s0
	v_and_b32_e32 v51, 7, v0
	s_mov_b32 s2, 0
	s_mov_b32 s0, exec_lo
	v_cmpx_ne_u32_e32 0, v51
	s_cbranch_execz .LBB80_127
; %bb.124:
	v_lshl_add_u32 v52, v100, 2, 0x50
	v_mov_b32_e32 v101, 0
.LBB80_125:                             ; =>This Inner Loop Header: Depth=1
	v_cmp_eq_u32_e32 vcc_lo, 1, v100
	ds_load_b32 v54, v52
	v_dual_add_nc_u32 v52, 4, v52 :: v_dual_add_nc_u32 v51, -1, v51
	v_cndmask_b32_e32 v53, v34, v35, vcc_lo
	v_cmp_eq_u32_e32 vcc_lo, 2, v100
	s_delay_alu instid0(VALU_DEP_2) | instskip(SKIP_1) | instid1(VALU_DEP_2)
	v_cndmask_b32_e32 v53, v53, v36, vcc_lo
	v_cmp_eq_u32_e32 vcc_lo, 3, v100
	v_cndmask_b32_e32 v53, v53, v37, vcc_lo
	v_cmp_eq_u32_e32 vcc_lo, 4, v100
	s_delay_alu instid0(VALU_DEP_2) | instskip(SKIP_1) | instid1(VALU_DEP_2)
	v_cndmask_b32_e32 v53, v53, v38, vcc_lo
	v_cmp_eq_u32_e32 vcc_lo, 5, v100
	;; [unrolled: 5-line block ×7, first 2 shown]
	v_cndmask_b32_e32 v53, v53, v49, vcc_lo
	v_cmp_eq_u32_e32 vcc_lo, 16, v100
	v_add_nc_u64_e32 v[100:101], 1, v[100:101]
	s_delay_alu instid0(VALU_DEP_3) | instskip(SKIP_2) | instid1(VALU_DEP_2)
	v_cndmask_b32_e32 v53, v53, v50, vcc_lo
	v_cmp_eq_u32_e32 vcc_lo, 0, v51
	s_wait_dscnt 0x0
	v_fmac_f32_e32 v104, v53, v54
	s_or_b32 s2, vcc_lo, s2
	s_delay_alu instid0(SALU_CYCLE_1)
	s_and_not1_b32 exec_lo, exec_lo, s2
	s_cbranch_execnz .LBB80_125
; %bb.126:
	s_or_b32 exec_lo, exec_lo, s2
.LBB80_127:
	s_delay_alu instid0(SALU_CYCLE_1)
	s_or_b32 exec_lo, exec_lo, s0
.LBB80_128:
	s_delay_alu instid0(SALU_CYCLE_1)
	s_or_b32 exec_lo, exec_lo, s5
	v_mov_b32_e32 v41, 0
	ds_load_b32 v41, v41 offset:28
	s_wait_dscnt 0x0
	v_mul_f32_e32 v41, v104, v41
.LBB80_129:
	s_or_b32 exec_lo, exec_lo, s4
	v_cmp_lt_u32_e64 s0, 6, v0
	ds_store_b32 v103, v40
	s_wait_dscnt 0x0
	s_barrier_signal -1
	s_barrier_wait -1
	s_and_saveexec_b32 s4, s0
	s_cbranch_execz .LBB80_145
; %bb.130:
	s_and_not1_b32 vcc_lo, exec_lo, s17
	s_cbranch_vccnz .LBB80_132
; %bb.131:
	v_cmp_eq_u32_e32 vcc_lo, 1, v0
	ds_load_b32 v101, v103
	v_cndmask_b32_e32 v100, v34, v35, vcc_lo
	v_cmp_eq_u32_e32 vcc_lo, 2, v0
	s_delay_alu instid0(VALU_DEP_2) | instskip(SKIP_1) | instid1(VALU_DEP_2)
	v_cndmask_b32_e32 v100, v100, v36, vcc_lo
	v_cmp_eq_u32_e32 vcc_lo, 3, v0
	v_cndmask_b32_e32 v100, v100, v37, vcc_lo
	v_cmp_eq_u32_e32 vcc_lo, 4, v0
	s_delay_alu instid0(VALU_DEP_2) | instskip(SKIP_1) | instid1(VALU_DEP_2)
	v_cndmask_b32_e32 v100, v100, v38, vcc_lo
	v_cmp_eq_u32_e32 vcc_lo, 5, v0
	;; [unrolled: 5-line block ×7, first 2 shown]
	v_cndmask_b32_e32 v100, v100, v49, vcc_lo
	v_cmp_eq_u32_e32 vcc_lo, 16, v0
	s_delay_alu instid0(VALU_DEP_2) | instskip(SKIP_1) | instid1(VALU_DEP_1)
	v_cndmask_b32_e32 v100, v100, v50, vcc_lo
	s_wait_dscnt 0x0
	v_mul_f32_e32 v104, v100, v101
	s_cbranch_execz .LBB80_133
	s_branch .LBB80_134
.LBB80_132:
                                        ; implicit-def: $vgpr104
.LBB80_133:
	ds_load_b32 v104, v103
.LBB80_134:
	s_and_saveexec_b32 s5, s1
	s_cbranch_execz .LBB80_144
; %bb.135:
	v_dual_add_nc_u32 v100, -8, v0 :: v_dual_add_nc_u32 v101, -7, v0
	s_delay_alu instid0(VALU_DEP_1)
	v_cmp_lt_u32_e32 vcc_lo, 6, v100
	v_mov_b32_e32 v100, 7
	s_and_saveexec_b32 s1, vcc_lo
	s_cbranch_execz .LBB80_139
; %bb.136:
	v_and_b32_e32 v100, -8, v101
	s_mov_b32 s6, 0
	s_mov_b64 s[2:3], 14
	s_movk_i32 s7, 0x6c
	s_delay_alu instid0(VALU_DEP_1)
	v_sub_nc_u32_e32 v102, 0, v100
.LBB80_137:                             ; =>This Inner Loop Header: Depth=1
	s_add_co_i32 m0, s2, -7
	v_movrels_b32_e32 v105, v34
	v_mov_b32_e32 v100, s7
	s_add_co_i32 m0, s2, -6
	s_add_co_i32 s7, s7, 32
	v_movrels_b32_e32 v114, v34
	ds_load_2addr_b32 v[106:107], v100 offset1:1
	ds_load_2addr_b32 v[108:109], v100 offset0:2 offset1:3
	s_add_co_i32 m0, s2, -5
	s_wait_dscnt 0x1
	v_fmac_f32_e32 v104, v105, v106
	ds_load_2addr_b32 v[110:111], v100 offset0:4 offset1:5
	ds_load_2addr_b32 v[112:113], v100 offset0:6 offset1:7
	v_movrels_b32_e32 v100, v34
	s_add_co_i32 m0, s2, -4
	v_fmac_f32_e32 v104, v114, v107
	v_movrels_b32_e32 v105, v34
	s_add_co_i32 m0, s2, -3
	s_wait_dscnt 0x2
	s_delay_alu instid0(VALU_DEP_2) | instskip(SKIP_2) | instid1(VALU_DEP_2)
	v_fmac_f32_e32 v104, v100, v108
	v_movrels_b32_e32 v100, v34
	s_add_co_i32 m0, s2, -2
	v_fmac_f32_e32 v104, v105, v109
	v_movrels_b32_e32 v105, v34
	s_add_co_i32 m0, s2, -1
	s_wait_dscnt 0x1
	s_delay_alu instid0(VALU_DEP_2)
	v_fmac_f32_e32 v104, v100, v110
	v_movrels_b32_e32 v100, v34
	s_mov_b32 m0, s2
	s_add_nc_u64 s[2:3], s[2:3], 8
	v_movrels_b32_e32 v106, v34
	v_dual_fmac_f32 v104, v105, v111 :: v_dual_add_nc_u32 v105, s2, v102
	s_add_co_i32 s8, s2, -7
	s_wait_dscnt 0x0
	s_delay_alu instid0(VALU_DEP_1) | instskip(NEXT) | instid1(VALU_DEP_2)
	v_fmac_f32_e32 v104, v100, v112
	v_cmp_eq_u32_e32 vcc_lo, 14, v105
	s_delay_alu instid0(VALU_DEP_2) | instskip(SKIP_1) | instid1(SALU_CYCLE_1)
	v_dual_mov_b32 v100, s8 :: v_dual_fmac_f32 v104, v106, v113
	s_or_b32 s6, vcc_lo, s6
	s_and_not1_b32 exec_lo, exec_lo, s6
	s_cbranch_execnz .LBB80_137
; %bb.138:
	s_or_b32 exec_lo, exec_lo, s6
.LBB80_139:
	s_delay_alu instid0(SALU_CYCLE_1) | instskip(SKIP_3) | instid1(VALU_DEP_1)
	s_or_b32 exec_lo, exec_lo, s1
	v_and_b32_e32 v51, 7, v101
	s_mov_b32 s2, 0
	s_mov_b32 s1, exec_lo
	v_cmpx_ne_u32_e32 0, v51
	s_cbranch_execz .LBB80_143
; %bb.140:
	v_lshl_add_u32 v52, v100, 2, 0x50
	v_mov_b32_e32 v101, 0
.LBB80_141:                             ; =>This Inner Loop Header: Depth=1
	v_cmp_eq_u32_e32 vcc_lo, 1, v100
	ds_load_b32 v54, v52
	v_dual_add_nc_u32 v52, 4, v52 :: v_dual_add_nc_u32 v51, -1, v51
	v_cndmask_b32_e32 v53, v34, v35, vcc_lo
	v_cmp_eq_u32_e32 vcc_lo, 2, v100
	s_delay_alu instid0(VALU_DEP_2) | instskip(SKIP_1) | instid1(VALU_DEP_2)
	v_cndmask_b32_e32 v53, v53, v36, vcc_lo
	v_cmp_eq_u32_e32 vcc_lo, 3, v100
	v_cndmask_b32_e32 v53, v53, v37, vcc_lo
	v_cmp_eq_u32_e32 vcc_lo, 4, v100
	s_delay_alu instid0(VALU_DEP_2) | instskip(SKIP_1) | instid1(VALU_DEP_2)
	v_cndmask_b32_e32 v53, v53, v38, vcc_lo
	v_cmp_eq_u32_e32 vcc_lo, 5, v100
	;; [unrolled: 5-line block ×7, first 2 shown]
	v_cndmask_b32_e32 v53, v53, v49, vcc_lo
	v_cmp_eq_u32_e32 vcc_lo, 16, v100
	v_add_nc_u64_e32 v[100:101], 1, v[100:101]
	s_delay_alu instid0(VALU_DEP_3) | instskip(SKIP_2) | instid1(VALU_DEP_2)
	v_cndmask_b32_e32 v53, v53, v50, vcc_lo
	v_cmp_eq_u32_e32 vcc_lo, 0, v51
	s_wait_dscnt 0x0
	v_fmac_f32_e32 v104, v53, v54
	s_or_b32 s2, vcc_lo, s2
	s_delay_alu instid0(SALU_CYCLE_1)
	s_and_not1_b32 exec_lo, exec_lo, s2
	s_cbranch_execnz .LBB80_141
; %bb.142:
	s_or_b32 exec_lo, exec_lo, s2
.LBB80_143:
	s_delay_alu instid0(SALU_CYCLE_1)
	s_or_b32 exec_lo, exec_lo, s1
.LBB80_144:
	s_delay_alu instid0(SALU_CYCLE_1)
	s_or_b32 exec_lo, exec_lo, s5
	v_mov_b32_e32 v40, 0
	ds_load_b32 v40, v40 offset:24
	s_wait_dscnt 0x0
	v_mul_f32_e32 v40, v104, v40
.LBB80_145:
	s_or_b32 exec_lo, exec_lo, s4
	v_cmp_lt_u32_e64 s1, 5, v0
	ds_store_b32 v103, v39
	s_wait_dscnt 0x0
	s_barrier_signal -1
	s_barrier_wait -1
	s_and_saveexec_b32 s4, s1
	s_cbranch_execz .LBB80_161
; %bb.146:
	s_and_not1_b32 vcc_lo, exec_lo, s17
	s_cbranch_vccnz .LBB80_148
; %bb.147:
	v_cmp_eq_u32_e32 vcc_lo, 1, v0
	ds_load_b32 v101, v103
	v_cndmask_b32_e32 v100, v34, v35, vcc_lo
	v_cmp_eq_u32_e32 vcc_lo, 2, v0
	s_delay_alu instid0(VALU_DEP_2) | instskip(SKIP_1) | instid1(VALU_DEP_2)
	v_cndmask_b32_e32 v100, v100, v36, vcc_lo
	v_cmp_eq_u32_e32 vcc_lo, 3, v0
	v_cndmask_b32_e32 v100, v100, v37, vcc_lo
	v_cmp_eq_u32_e32 vcc_lo, 4, v0
	s_delay_alu instid0(VALU_DEP_2) | instskip(SKIP_1) | instid1(VALU_DEP_2)
	v_cndmask_b32_e32 v100, v100, v38, vcc_lo
	v_cmp_eq_u32_e32 vcc_lo, 5, v0
	;; [unrolled: 5-line block ×7, first 2 shown]
	v_cndmask_b32_e32 v100, v100, v49, vcc_lo
	v_cmp_eq_u32_e32 vcc_lo, 16, v0
	s_delay_alu instid0(VALU_DEP_2) | instskip(SKIP_1) | instid1(VALU_DEP_1)
	v_cndmask_b32_e32 v100, v100, v50, vcc_lo
	s_wait_dscnt 0x0
	v_mul_f32_e32 v104, v100, v101
	s_cbranch_execz .LBB80_149
	s_branch .LBB80_150
.LBB80_148:
                                        ; implicit-def: $vgpr104
.LBB80_149:
	ds_load_b32 v104, v103
.LBB80_150:
	s_and_saveexec_b32 s5, s0
	s_cbranch_execz .LBB80_160
; %bb.151:
	v_dual_add_nc_u32 v102, -7, v0 :: v_dual_add_nc_u32 v101, -6, v0
	v_mov_b32_e32 v100, 6
	s_mov_b32 s0, exec_lo
	s_delay_alu instid0(VALU_DEP_2)
	v_cmpx_lt_u32_e32 6, v102
	s_cbranch_execz .LBB80_155
; %bb.152:
	v_and_b32_e32 v100, -8, v101
	s_mov_b32 s6, 0
	s_mov_b64 s[2:3], 13
	s_movk_i32 s7, 0x68
	s_delay_alu instid0(VALU_DEP_1)
	v_sub_nc_u32_e32 v102, 0, v100
.LBB80_153:                             ; =>This Inner Loop Header: Depth=1
	s_add_co_i32 m0, s2, -7
	v_movrels_b32_e32 v105, v34
	v_mov_b32_e32 v100, s7
	s_add_co_i32 m0, s2, -6
	s_add_co_i32 s7, s7, 32
	v_movrels_b32_e32 v114, v34
	s_add_co_i32 m0, s2, -5
	ds_load_2addr_b64 v[106:109], v100 offset1:1
	ds_load_2addr_b64 v[110:113], v100 offset0:2 offset1:3
	v_movrels_b32_e32 v100, v34
	s_add_co_i32 m0, s2, -4
	s_wait_dscnt 0x1
	v_fmac_f32_e32 v104, v105, v106
	v_movrels_b32_e32 v105, v34
	s_add_co_i32 m0, s2, -3
	s_delay_alu instid0(VALU_DEP_2) | instskip(NEXT) | instid1(VALU_DEP_1)
	v_fmac_f32_e32 v104, v114, v107
	v_fmac_f32_e32 v104, v100, v108
	v_movrels_b32_e32 v100, v34
	s_add_co_i32 m0, s2, -2
	s_delay_alu instid0(VALU_DEP_2) | instskip(SKIP_3) | instid1(VALU_DEP_2)
	v_fmac_f32_e32 v104, v105, v109
	v_movrels_b32_e32 v105, v34
	s_add_co_i32 m0, s2, -1
	s_wait_dscnt 0x0
	v_fmac_f32_e32 v104, v100, v110
	v_movrels_b32_e32 v100, v34
	s_mov_b32 m0, s2
	s_add_nc_u64 s[2:3], s[2:3], 8
	v_movrels_b32_e32 v106, v34
	v_dual_fmac_f32 v104, v105, v111 :: v_dual_add_nc_u32 v105, s2, v102
	s_add_co_i32 s8, s2, -7
	s_delay_alu instid0(VALU_DEP_1) | instskip(NEXT) | instid1(VALU_DEP_2)
	v_fmac_f32_e32 v104, v100, v112
	v_cmp_eq_u32_e32 vcc_lo, 13, v105
	s_delay_alu instid0(VALU_DEP_2) | instskip(SKIP_1) | instid1(SALU_CYCLE_1)
	v_dual_mov_b32 v100, s8 :: v_dual_fmac_f32 v104, v106, v113
	s_or_b32 s6, vcc_lo, s6
	s_and_not1_b32 exec_lo, exec_lo, s6
	s_cbranch_execnz .LBB80_153
; %bb.154:
	s_or_b32 exec_lo, exec_lo, s6
.LBB80_155:
	s_delay_alu instid0(SALU_CYCLE_1) | instskip(SKIP_3) | instid1(VALU_DEP_1)
	s_or_b32 exec_lo, exec_lo, s0
	v_and_b32_e32 v51, 7, v101
	s_mov_b32 s2, 0
	s_mov_b32 s0, exec_lo
	v_cmpx_ne_u32_e32 0, v51
	s_cbranch_execz .LBB80_159
; %bb.156:
	v_lshl_add_u32 v52, v100, 2, 0x50
	v_mov_b32_e32 v101, 0
.LBB80_157:                             ; =>This Inner Loop Header: Depth=1
	v_cmp_eq_u32_e32 vcc_lo, 1, v100
	ds_load_b32 v54, v52
	v_dual_add_nc_u32 v52, 4, v52 :: v_dual_add_nc_u32 v51, -1, v51
	v_cndmask_b32_e32 v53, v34, v35, vcc_lo
	v_cmp_eq_u32_e32 vcc_lo, 2, v100
	s_delay_alu instid0(VALU_DEP_2) | instskip(SKIP_1) | instid1(VALU_DEP_2)
	v_cndmask_b32_e32 v53, v53, v36, vcc_lo
	v_cmp_eq_u32_e32 vcc_lo, 3, v100
	v_cndmask_b32_e32 v53, v53, v37, vcc_lo
	v_cmp_eq_u32_e32 vcc_lo, 4, v100
	s_delay_alu instid0(VALU_DEP_2) | instskip(SKIP_1) | instid1(VALU_DEP_2)
	v_cndmask_b32_e32 v53, v53, v38, vcc_lo
	v_cmp_eq_u32_e32 vcc_lo, 5, v100
	;; [unrolled: 5-line block ×7, first 2 shown]
	v_cndmask_b32_e32 v53, v53, v49, vcc_lo
	v_cmp_eq_u32_e32 vcc_lo, 16, v100
	v_add_nc_u64_e32 v[100:101], 1, v[100:101]
	s_delay_alu instid0(VALU_DEP_3) | instskip(SKIP_2) | instid1(VALU_DEP_2)
	v_cndmask_b32_e32 v53, v53, v50, vcc_lo
	v_cmp_eq_u32_e32 vcc_lo, 0, v51
	s_wait_dscnt 0x0
	v_fmac_f32_e32 v104, v53, v54
	s_or_b32 s2, vcc_lo, s2
	s_delay_alu instid0(SALU_CYCLE_1)
	s_and_not1_b32 exec_lo, exec_lo, s2
	s_cbranch_execnz .LBB80_157
; %bb.158:
	s_or_b32 exec_lo, exec_lo, s2
.LBB80_159:
	s_delay_alu instid0(SALU_CYCLE_1)
	s_or_b32 exec_lo, exec_lo, s0
.LBB80_160:
	s_delay_alu instid0(SALU_CYCLE_1)
	s_or_b32 exec_lo, exec_lo, s5
	v_mov_b32_e32 v39, 0
	ds_load_b32 v39, v39 offset:20
	s_wait_dscnt 0x0
	v_mul_f32_e32 v39, v104, v39
.LBB80_161:
	s_or_b32 exec_lo, exec_lo, s4
	v_cmp_lt_u32_e64 s0, 4, v0
	ds_store_b32 v103, v38
	s_wait_dscnt 0x0
	s_barrier_signal -1
	s_barrier_wait -1
	s_and_saveexec_b32 s4, s0
	s_cbranch_execz .LBB80_177
; %bb.162:
	s_and_not1_b32 vcc_lo, exec_lo, s17
	s_cbranch_vccnz .LBB80_164
; %bb.163:
	v_cmp_eq_u32_e32 vcc_lo, 1, v0
	ds_load_b32 v101, v103
	v_cndmask_b32_e32 v100, v34, v35, vcc_lo
	v_cmp_eq_u32_e32 vcc_lo, 2, v0
	s_delay_alu instid0(VALU_DEP_2) | instskip(SKIP_1) | instid1(VALU_DEP_2)
	v_cndmask_b32_e32 v100, v100, v36, vcc_lo
	v_cmp_eq_u32_e32 vcc_lo, 3, v0
	v_cndmask_b32_e32 v100, v100, v37, vcc_lo
	v_cmp_eq_u32_e32 vcc_lo, 4, v0
	s_delay_alu instid0(VALU_DEP_2) | instskip(SKIP_1) | instid1(VALU_DEP_2)
	v_cndmask_b32_e32 v100, v100, v38, vcc_lo
	v_cmp_eq_u32_e32 vcc_lo, 5, v0
	;; [unrolled: 5-line block ×7, first 2 shown]
	v_cndmask_b32_e32 v100, v100, v49, vcc_lo
	v_cmp_eq_u32_e32 vcc_lo, 16, v0
	s_delay_alu instid0(VALU_DEP_2) | instskip(SKIP_1) | instid1(VALU_DEP_1)
	v_cndmask_b32_e32 v100, v100, v50, vcc_lo
	s_wait_dscnt 0x0
	v_mul_f32_e32 v104, v100, v101
	s_cbranch_execz .LBB80_165
	s_branch .LBB80_166
.LBB80_164:
                                        ; implicit-def: $vgpr104
.LBB80_165:
	ds_load_b32 v104, v103
.LBB80_166:
	s_and_saveexec_b32 s5, s1
	s_cbranch_execz .LBB80_176
; %bb.167:
	v_dual_add_nc_u32 v100, -6, v0 :: v_dual_add_nc_u32 v101, -5, v0
	s_delay_alu instid0(VALU_DEP_1)
	v_cmp_lt_u32_e32 vcc_lo, 6, v100
	v_mov_b32_e32 v100, 5
	s_and_saveexec_b32 s1, vcc_lo
	s_cbranch_execz .LBB80_171
; %bb.168:
	v_and_b32_e32 v100, -8, v101
	s_mov_b32 s6, 0
	s_mov_b64 s[2:3], 12
	s_movk_i32 s7, 0x64
	s_delay_alu instid0(VALU_DEP_1)
	v_sub_nc_u32_e32 v102, 0, v100
.LBB80_169:                             ; =>This Inner Loop Header: Depth=1
	s_add_co_i32 m0, s2, -7
	v_movrels_b32_e32 v105, v34
	v_mov_b32_e32 v100, s7
	s_add_co_i32 m0, s2, -6
	s_add_co_i32 s7, s7, 32
	v_movrels_b32_e32 v114, v34
	ds_load_2addr_b32 v[106:107], v100 offset1:1
	ds_load_2addr_b32 v[108:109], v100 offset0:2 offset1:3
	s_add_co_i32 m0, s2, -5
	s_wait_dscnt 0x1
	v_fmac_f32_e32 v104, v105, v106
	ds_load_2addr_b32 v[110:111], v100 offset0:4 offset1:5
	ds_load_2addr_b32 v[112:113], v100 offset0:6 offset1:7
	v_movrels_b32_e32 v100, v34
	s_add_co_i32 m0, s2, -4
	v_fmac_f32_e32 v104, v114, v107
	v_movrels_b32_e32 v105, v34
	s_add_co_i32 m0, s2, -3
	s_wait_dscnt 0x2
	s_delay_alu instid0(VALU_DEP_2) | instskip(SKIP_2) | instid1(VALU_DEP_2)
	v_fmac_f32_e32 v104, v100, v108
	v_movrels_b32_e32 v100, v34
	s_add_co_i32 m0, s2, -2
	v_fmac_f32_e32 v104, v105, v109
	v_movrels_b32_e32 v105, v34
	s_add_co_i32 m0, s2, -1
	s_wait_dscnt 0x1
	s_delay_alu instid0(VALU_DEP_2)
	v_fmac_f32_e32 v104, v100, v110
	v_movrels_b32_e32 v100, v34
	s_mov_b32 m0, s2
	s_add_nc_u64 s[2:3], s[2:3], 8
	v_movrels_b32_e32 v106, v34
	v_dual_fmac_f32 v104, v105, v111 :: v_dual_add_nc_u32 v105, s2, v102
	s_add_co_i32 s8, s2, -7
	s_wait_dscnt 0x0
	s_delay_alu instid0(VALU_DEP_1) | instskip(NEXT) | instid1(VALU_DEP_2)
	v_fmac_f32_e32 v104, v100, v112
	v_cmp_eq_u32_e32 vcc_lo, 12, v105
	s_delay_alu instid0(VALU_DEP_2) | instskip(SKIP_1) | instid1(SALU_CYCLE_1)
	v_dual_mov_b32 v100, s8 :: v_dual_fmac_f32 v104, v106, v113
	s_or_b32 s6, vcc_lo, s6
	s_and_not1_b32 exec_lo, exec_lo, s6
	s_cbranch_execnz .LBB80_169
; %bb.170:
	s_or_b32 exec_lo, exec_lo, s6
.LBB80_171:
	s_delay_alu instid0(SALU_CYCLE_1) | instskip(SKIP_3) | instid1(VALU_DEP_1)
	s_or_b32 exec_lo, exec_lo, s1
	v_and_b32_e32 v51, 7, v101
	s_mov_b32 s2, 0
	s_mov_b32 s1, exec_lo
	v_cmpx_ne_u32_e32 0, v51
	s_cbranch_execz .LBB80_175
; %bb.172:
	v_lshl_add_u32 v52, v100, 2, 0x50
	v_mov_b32_e32 v101, 0
.LBB80_173:                             ; =>This Inner Loop Header: Depth=1
	v_cmp_eq_u32_e32 vcc_lo, 1, v100
	ds_load_b32 v54, v52
	v_dual_add_nc_u32 v52, 4, v52 :: v_dual_add_nc_u32 v51, -1, v51
	v_cndmask_b32_e32 v53, v34, v35, vcc_lo
	v_cmp_eq_u32_e32 vcc_lo, 2, v100
	s_delay_alu instid0(VALU_DEP_2) | instskip(SKIP_1) | instid1(VALU_DEP_2)
	v_cndmask_b32_e32 v53, v53, v36, vcc_lo
	v_cmp_eq_u32_e32 vcc_lo, 3, v100
	v_cndmask_b32_e32 v53, v53, v37, vcc_lo
	v_cmp_eq_u32_e32 vcc_lo, 4, v100
	s_delay_alu instid0(VALU_DEP_2) | instskip(SKIP_1) | instid1(VALU_DEP_2)
	v_cndmask_b32_e32 v53, v53, v38, vcc_lo
	v_cmp_eq_u32_e32 vcc_lo, 5, v100
	;; [unrolled: 5-line block ×7, first 2 shown]
	v_cndmask_b32_e32 v53, v53, v49, vcc_lo
	v_cmp_eq_u32_e32 vcc_lo, 16, v100
	v_add_nc_u64_e32 v[100:101], 1, v[100:101]
	s_delay_alu instid0(VALU_DEP_3) | instskip(SKIP_2) | instid1(VALU_DEP_2)
	v_cndmask_b32_e32 v53, v53, v50, vcc_lo
	v_cmp_eq_u32_e32 vcc_lo, 0, v51
	s_wait_dscnt 0x0
	v_fmac_f32_e32 v104, v53, v54
	s_or_b32 s2, vcc_lo, s2
	s_delay_alu instid0(SALU_CYCLE_1)
	s_and_not1_b32 exec_lo, exec_lo, s2
	s_cbranch_execnz .LBB80_173
; %bb.174:
	s_or_b32 exec_lo, exec_lo, s2
.LBB80_175:
	s_delay_alu instid0(SALU_CYCLE_1)
	s_or_b32 exec_lo, exec_lo, s1
.LBB80_176:
	s_delay_alu instid0(SALU_CYCLE_1)
	s_or_b32 exec_lo, exec_lo, s5
	v_mov_b32_e32 v38, 0
	ds_load_b32 v38, v38 offset:16
	s_wait_dscnt 0x0
	v_mul_f32_e32 v38, v104, v38
.LBB80_177:
	s_or_b32 exec_lo, exec_lo, s4
	v_cmp_lt_u32_e64 s1, 3, v0
	ds_store_b32 v103, v37
	s_wait_dscnt 0x0
	s_barrier_signal -1
	s_barrier_wait -1
	s_and_saveexec_b32 s4, s1
	s_cbranch_execz .LBB80_193
; %bb.178:
	s_and_not1_b32 vcc_lo, exec_lo, s17
	s_cbranch_vccnz .LBB80_180
; %bb.179:
	v_cmp_eq_u32_e32 vcc_lo, 1, v0
	ds_load_b32 v101, v103
	v_cndmask_b32_e32 v100, v34, v35, vcc_lo
	v_cmp_eq_u32_e32 vcc_lo, 2, v0
	s_delay_alu instid0(VALU_DEP_2) | instskip(SKIP_1) | instid1(VALU_DEP_2)
	v_cndmask_b32_e32 v100, v100, v36, vcc_lo
	v_cmp_eq_u32_e32 vcc_lo, 3, v0
	v_cndmask_b32_e32 v100, v100, v37, vcc_lo
	v_cmp_eq_u32_e32 vcc_lo, 4, v0
	s_delay_alu instid0(VALU_DEP_2) | instskip(SKIP_1) | instid1(VALU_DEP_2)
	v_cndmask_b32_e32 v100, v100, v38, vcc_lo
	v_cmp_eq_u32_e32 vcc_lo, 5, v0
	;; [unrolled: 5-line block ×7, first 2 shown]
	v_cndmask_b32_e32 v100, v100, v49, vcc_lo
	v_cmp_eq_u32_e32 vcc_lo, 16, v0
	s_delay_alu instid0(VALU_DEP_2) | instskip(SKIP_1) | instid1(VALU_DEP_1)
	v_cndmask_b32_e32 v100, v100, v50, vcc_lo
	s_wait_dscnt 0x0
	v_mul_f32_e32 v104, v100, v101
	s_cbranch_execz .LBB80_181
	s_branch .LBB80_182
.LBB80_180:
                                        ; implicit-def: $vgpr104
.LBB80_181:
	ds_load_b32 v104, v103
.LBB80_182:
	s_and_saveexec_b32 s5, s0
	s_cbranch_execz .LBB80_192
; %bb.183:
	v_dual_add_nc_u32 v100, -5, v0 :: v_dual_add_nc_u32 v101, -4, v0
	s_delay_alu instid0(VALU_DEP_1)
	v_cmp_lt_u32_e32 vcc_lo, 6, v100
	v_mov_b32_e32 v100, 4
	s_and_saveexec_b32 s0, vcc_lo
	s_cbranch_execz .LBB80_187
; %bb.184:
	v_and_b32_e32 v100, -8, v101
	s_mov_b32 s6, 0
	s_mov_b64 s[2:3], 5
	s_movk_i32 s7, 0x60
	s_delay_alu instid0(VALU_DEP_1)
	v_sub_nc_u32_e32 v102, 0, v100
.LBB80_185:                             ; =>This Inner Loop Header: Depth=1
	s_add_co_i32 m0, s2, -1
	v_movrels_b32_e32 v105, v34
	v_mov_b32_e32 v100, s7
	s_mov_b32 m0, s2
	s_add_co_i32 s7, s7, 32
	v_movrels_b32_e32 v114, v34
	s_add_co_i32 m0, s2, 1
	ds_load_b128 v[106:109], v100
	ds_load_b128 v[110:113], v100 offset:16
	v_movrels_b32_e32 v100, v34
	s_add_co_i32 m0, s2, 2
	s_wait_dscnt 0x1
	v_fmac_f32_e32 v104, v105, v106
	v_movrels_b32_e32 v105, v34
	s_add_co_i32 m0, s2, 3
	s_delay_alu instid0(VALU_DEP_2) | instskip(NEXT) | instid1(VALU_DEP_1)
	v_fmac_f32_e32 v104, v114, v107
	v_fmac_f32_e32 v104, v100, v108
	v_movrels_b32_e32 v100, v34
	s_add_co_i32 m0, s2, 4
	s_delay_alu instid0(VALU_DEP_2) | instskip(SKIP_3) | instid1(VALU_DEP_2)
	v_fmac_f32_e32 v104, v105, v109
	v_movrels_b32_e32 v105, v34
	s_add_co_i32 m0, s2, 5
	s_wait_dscnt 0x0
	v_fmac_f32_e32 v104, v100, v110
	v_movrels_b32_e32 v100, v34
	s_add_co_i32 m0, s2, 6
	s_add_nc_u64 s[2:3], s[2:3], 8
	v_movrels_b32_e32 v106, v34
	v_dual_fmac_f32 v104, v105, v111 :: v_dual_add_nc_u32 v105, s2, v102
	s_add_co_i32 s8, s2, -1
	s_delay_alu instid0(VALU_DEP_1) | instskip(NEXT) | instid1(VALU_DEP_2)
	v_fmac_f32_e32 v104, v100, v112
	v_cmp_eq_u32_e32 vcc_lo, 5, v105
	s_delay_alu instid0(VALU_DEP_2) | instskip(SKIP_1) | instid1(SALU_CYCLE_1)
	v_dual_mov_b32 v100, s8 :: v_dual_fmac_f32 v104, v106, v113
	s_or_b32 s6, vcc_lo, s6
	s_and_not1_b32 exec_lo, exec_lo, s6
	s_cbranch_execnz .LBB80_185
; %bb.186:
	s_or_b32 exec_lo, exec_lo, s6
.LBB80_187:
	s_delay_alu instid0(SALU_CYCLE_1) | instskip(SKIP_3) | instid1(VALU_DEP_1)
	s_or_b32 exec_lo, exec_lo, s0
	v_and_b32_e32 v51, 7, v101
	s_mov_b32 s2, 0
	s_mov_b32 s0, exec_lo
	v_cmpx_ne_u32_e32 0, v51
	s_cbranch_execz .LBB80_191
; %bb.188:
	v_lshl_add_u32 v52, v100, 2, 0x50
	v_mov_b32_e32 v101, 0
.LBB80_189:                             ; =>This Inner Loop Header: Depth=1
	v_cmp_eq_u32_e32 vcc_lo, 1, v100
	ds_load_b32 v54, v52
	v_dual_add_nc_u32 v52, 4, v52 :: v_dual_add_nc_u32 v51, -1, v51
	v_cndmask_b32_e32 v53, v34, v35, vcc_lo
	v_cmp_eq_u32_e32 vcc_lo, 2, v100
	s_delay_alu instid0(VALU_DEP_2) | instskip(SKIP_1) | instid1(VALU_DEP_2)
	v_cndmask_b32_e32 v53, v53, v36, vcc_lo
	v_cmp_eq_u32_e32 vcc_lo, 3, v100
	v_cndmask_b32_e32 v53, v53, v37, vcc_lo
	v_cmp_eq_u32_e32 vcc_lo, 4, v100
	s_delay_alu instid0(VALU_DEP_2) | instskip(SKIP_1) | instid1(VALU_DEP_2)
	v_cndmask_b32_e32 v53, v53, v38, vcc_lo
	v_cmp_eq_u32_e32 vcc_lo, 5, v100
	;; [unrolled: 5-line block ×7, first 2 shown]
	v_cndmask_b32_e32 v53, v53, v49, vcc_lo
	v_cmp_eq_u32_e32 vcc_lo, 16, v100
	v_add_nc_u64_e32 v[100:101], 1, v[100:101]
	s_delay_alu instid0(VALU_DEP_3) | instskip(SKIP_2) | instid1(VALU_DEP_2)
	v_cndmask_b32_e32 v53, v53, v50, vcc_lo
	v_cmp_eq_u32_e32 vcc_lo, 0, v51
	s_wait_dscnt 0x0
	v_fmac_f32_e32 v104, v53, v54
	s_or_b32 s2, vcc_lo, s2
	s_delay_alu instid0(SALU_CYCLE_1)
	s_and_not1_b32 exec_lo, exec_lo, s2
	s_cbranch_execnz .LBB80_189
; %bb.190:
	s_or_b32 exec_lo, exec_lo, s2
.LBB80_191:
	s_delay_alu instid0(SALU_CYCLE_1)
	s_or_b32 exec_lo, exec_lo, s0
.LBB80_192:
	s_delay_alu instid0(SALU_CYCLE_1)
	s_or_b32 exec_lo, exec_lo, s5
	v_mov_b32_e32 v37, 0
	ds_load_b32 v37, v37 offset:12
	s_wait_dscnt 0x0
	v_mul_f32_e32 v37, v104, v37
.LBB80_193:
	s_or_b32 exec_lo, exec_lo, s4
	v_cmp_lt_u32_e64 s0, 2, v0
	ds_store_b32 v103, v36
	s_wait_dscnt 0x0
	s_barrier_signal -1
	s_barrier_wait -1
	s_and_saveexec_b32 s4, s0
	s_cbranch_execz .LBB80_209
; %bb.194:
	s_and_not1_b32 vcc_lo, exec_lo, s17
	s_cbranch_vccnz .LBB80_196
; %bb.195:
	v_cmp_eq_u32_e32 vcc_lo, 1, v0
	ds_load_b32 v101, v103
	v_cndmask_b32_e32 v100, v34, v35, vcc_lo
	v_cmp_eq_u32_e32 vcc_lo, 2, v0
	s_delay_alu instid0(VALU_DEP_2) | instskip(SKIP_1) | instid1(VALU_DEP_2)
	v_cndmask_b32_e32 v100, v100, v36, vcc_lo
	v_cmp_eq_u32_e32 vcc_lo, 3, v0
	v_cndmask_b32_e32 v100, v100, v37, vcc_lo
	v_cmp_eq_u32_e32 vcc_lo, 4, v0
	s_delay_alu instid0(VALU_DEP_2) | instskip(SKIP_1) | instid1(VALU_DEP_2)
	v_cndmask_b32_e32 v100, v100, v38, vcc_lo
	v_cmp_eq_u32_e32 vcc_lo, 5, v0
	;; [unrolled: 5-line block ×7, first 2 shown]
	v_cndmask_b32_e32 v100, v100, v49, vcc_lo
	v_cmp_eq_u32_e32 vcc_lo, 16, v0
	s_delay_alu instid0(VALU_DEP_2) | instskip(SKIP_1) | instid1(VALU_DEP_1)
	v_cndmask_b32_e32 v100, v100, v50, vcc_lo
	s_wait_dscnt 0x0
	v_mul_f32_e32 v104, v100, v101
	s_cbranch_execz .LBB80_197
	s_branch .LBB80_198
.LBB80_196:
                                        ; implicit-def: $vgpr104
.LBB80_197:
	ds_load_b32 v104, v103
.LBB80_198:
	s_and_saveexec_b32 s5, s1
	s_cbranch_execz .LBB80_208
; %bb.199:
	v_dual_add_nc_u32 v100, -4, v0 :: v_dual_add_nc_u32 v101, -3, v0
	s_delay_alu instid0(VALU_DEP_1)
	v_cmp_lt_u32_e32 vcc_lo, 6, v100
	v_mov_b32_e32 v100, 3
	s_and_saveexec_b32 s1, vcc_lo
	s_cbranch_execz .LBB80_203
; %bb.200:
	v_and_b32_e32 v100, -8, v101
	s_mov_b32 s6, 0
	s_mov_b64 s[2:3], 10
	s_movk_i32 s7, 0x5c
	s_delay_alu instid0(VALU_DEP_1)
	v_sub_nc_u32_e32 v102, 0, v100
.LBB80_201:                             ; =>This Inner Loop Header: Depth=1
	s_add_co_i32 m0, s2, -7
	v_movrels_b32_e32 v105, v34
	v_mov_b32_e32 v100, s7
	s_add_co_i32 m0, s2, -6
	s_add_co_i32 s7, s7, 32
	v_movrels_b32_e32 v114, v34
	ds_load_2addr_b32 v[106:107], v100 offset1:1
	ds_load_2addr_b32 v[108:109], v100 offset0:2 offset1:3
	s_add_co_i32 m0, s2, -5
	s_wait_dscnt 0x1
	v_fmac_f32_e32 v104, v105, v106
	ds_load_2addr_b32 v[110:111], v100 offset0:4 offset1:5
	ds_load_2addr_b32 v[112:113], v100 offset0:6 offset1:7
	v_movrels_b32_e32 v100, v34
	s_add_co_i32 m0, s2, -4
	v_fmac_f32_e32 v104, v114, v107
	v_movrels_b32_e32 v105, v34
	s_add_co_i32 m0, s2, -3
	s_wait_dscnt 0x2
	s_delay_alu instid0(VALU_DEP_2) | instskip(SKIP_2) | instid1(VALU_DEP_2)
	v_fmac_f32_e32 v104, v100, v108
	v_movrels_b32_e32 v100, v34
	s_add_co_i32 m0, s2, -2
	v_fmac_f32_e32 v104, v105, v109
	v_movrels_b32_e32 v105, v34
	s_add_co_i32 m0, s2, -1
	s_wait_dscnt 0x1
	s_delay_alu instid0(VALU_DEP_2)
	v_fmac_f32_e32 v104, v100, v110
	v_movrels_b32_e32 v100, v34
	s_mov_b32 m0, s2
	s_add_nc_u64 s[2:3], s[2:3], 8
	v_movrels_b32_e32 v106, v34
	v_dual_fmac_f32 v104, v105, v111 :: v_dual_add_nc_u32 v105, s2, v102
	s_add_co_i32 s8, s2, -7
	s_wait_dscnt 0x0
	s_delay_alu instid0(VALU_DEP_1) | instskip(NEXT) | instid1(VALU_DEP_2)
	v_fmac_f32_e32 v104, v100, v112
	v_cmp_eq_u32_e32 vcc_lo, 10, v105
	s_delay_alu instid0(VALU_DEP_2) | instskip(SKIP_1) | instid1(SALU_CYCLE_1)
	v_dual_mov_b32 v100, s8 :: v_dual_fmac_f32 v104, v106, v113
	s_or_b32 s6, vcc_lo, s6
	s_and_not1_b32 exec_lo, exec_lo, s6
	s_cbranch_execnz .LBB80_201
; %bb.202:
	s_or_b32 exec_lo, exec_lo, s6
.LBB80_203:
	s_delay_alu instid0(SALU_CYCLE_1) | instskip(SKIP_3) | instid1(VALU_DEP_1)
	s_or_b32 exec_lo, exec_lo, s1
	v_and_b32_e32 v51, 7, v101
	s_mov_b32 s2, 0
	s_mov_b32 s1, exec_lo
	v_cmpx_ne_u32_e32 0, v51
	s_cbranch_execz .LBB80_207
; %bb.204:
	v_lshl_add_u32 v52, v100, 2, 0x50
	v_mov_b32_e32 v101, 0
.LBB80_205:                             ; =>This Inner Loop Header: Depth=1
	v_cmp_eq_u32_e32 vcc_lo, 1, v100
	ds_load_b32 v54, v52
	v_dual_add_nc_u32 v52, 4, v52 :: v_dual_add_nc_u32 v51, -1, v51
	v_cndmask_b32_e32 v53, v34, v35, vcc_lo
	v_cmp_eq_u32_e32 vcc_lo, 2, v100
	s_delay_alu instid0(VALU_DEP_2) | instskip(SKIP_1) | instid1(VALU_DEP_2)
	v_cndmask_b32_e32 v53, v53, v36, vcc_lo
	v_cmp_eq_u32_e32 vcc_lo, 3, v100
	v_cndmask_b32_e32 v53, v53, v37, vcc_lo
	v_cmp_eq_u32_e32 vcc_lo, 4, v100
	s_delay_alu instid0(VALU_DEP_2) | instskip(SKIP_1) | instid1(VALU_DEP_2)
	v_cndmask_b32_e32 v53, v53, v38, vcc_lo
	v_cmp_eq_u32_e32 vcc_lo, 5, v100
	;; [unrolled: 5-line block ×7, first 2 shown]
	v_cndmask_b32_e32 v53, v53, v49, vcc_lo
	v_cmp_eq_u32_e32 vcc_lo, 16, v100
	v_add_nc_u64_e32 v[100:101], 1, v[100:101]
	s_delay_alu instid0(VALU_DEP_3) | instskip(SKIP_2) | instid1(VALU_DEP_2)
	v_cndmask_b32_e32 v53, v53, v50, vcc_lo
	v_cmp_eq_u32_e32 vcc_lo, 0, v51
	s_wait_dscnt 0x0
	v_fmac_f32_e32 v104, v53, v54
	s_or_b32 s2, vcc_lo, s2
	s_delay_alu instid0(SALU_CYCLE_1)
	s_and_not1_b32 exec_lo, exec_lo, s2
	s_cbranch_execnz .LBB80_205
; %bb.206:
	s_or_b32 exec_lo, exec_lo, s2
.LBB80_207:
	s_delay_alu instid0(SALU_CYCLE_1)
	s_or_b32 exec_lo, exec_lo, s1
.LBB80_208:
	s_delay_alu instid0(SALU_CYCLE_1)
	s_or_b32 exec_lo, exec_lo, s5
	v_mov_b32_e32 v36, 0
	ds_load_b32 v36, v36 offset:8
	s_wait_dscnt 0x0
	v_mul_f32_e32 v36, v104, v36
.LBB80_209:
	s_or_b32 exec_lo, exec_lo, s4
	v_cmp_lt_u32_e64 s1, 1, v0
	ds_store_b32 v103, v35
	s_wait_dscnt 0x0
	s_barrier_signal -1
	s_barrier_wait -1
	s_and_saveexec_b32 s4, s1
	s_cbranch_execz .LBB80_225
; %bb.210:
	s_and_not1_b32 vcc_lo, exec_lo, s17
	s_cbranch_vccnz .LBB80_212
; %bb.211:
	v_cmp_eq_u32_e32 vcc_lo, 1, v0
	ds_load_b32 v101, v103
	v_cndmask_b32_e32 v100, v34, v35, vcc_lo
	v_cmp_eq_u32_e32 vcc_lo, 2, v0
	s_delay_alu instid0(VALU_DEP_2) | instskip(SKIP_1) | instid1(VALU_DEP_2)
	v_cndmask_b32_e32 v100, v100, v36, vcc_lo
	v_cmp_eq_u32_e32 vcc_lo, 3, v0
	v_cndmask_b32_e32 v100, v100, v37, vcc_lo
	v_cmp_eq_u32_e32 vcc_lo, 4, v0
	s_delay_alu instid0(VALU_DEP_2) | instskip(SKIP_1) | instid1(VALU_DEP_2)
	v_cndmask_b32_e32 v100, v100, v38, vcc_lo
	v_cmp_eq_u32_e32 vcc_lo, 5, v0
	;; [unrolled: 5-line block ×7, first 2 shown]
	v_cndmask_b32_e32 v100, v100, v49, vcc_lo
	v_cmp_eq_u32_e32 vcc_lo, 16, v0
	s_delay_alu instid0(VALU_DEP_2) | instskip(SKIP_1) | instid1(VALU_DEP_1)
	v_cndmask_b32_e32 v100, v100, v50, vcc_lo
	s_wait_dscnt 0x0
	v_mul_f32_e32 v104, v100, v101
	s_cbranch_execz .LBB80_213
	s_branch .LBB80_214
.LBB80_212:
                                        ; implicit-def: $vgpr104
.LBB80_213:
	ds_load_b32 v104, v103
.LBB80_214:
	s_and_saveexec_b32 s5, s0
	s_cbranch_execz .LBB80_224
; %bb.215:
	v_dual_add_nc_u32 v100, -3, v0 :: v_dual_add_nc_u32 v101, -2, v0
	s_delay_alu instid0(VALU_DEP_1)
	v_cmp_lt_u32_e32 vcc_lo, 6, v100
	v_mov_b32_e32 v100, 2
	s_and_saveexec_b32 s0, vcc_lo
	s_cbranch_execz .LBB80_219
; %bb.216:
	v_and_b32_e32 v100, -8, v101
	s_mov_b32 s6, 0
	s_mov_b64 s[2:3], 9
	s_movk_i32 s7, 0x58
	s_delay_alu instid0(VALU_DEP_1)
	v_sub_nc_u32_e32 v102, 0, v100
.LBB80_217:                             ; =>This Inner Loop Header: Depth=1
	s_add_co_i32 m0, s2, -7
	v_movrels_b32_e32 v105, v34
	v_mov_b32_e32 v100, s7
	s_add_co_i32 m0, s2, -6
	s_add_co_i32 s7, s7, 32
	v_movrels_b32_e32 v114, v34
	s_add_co_i32 m0, s2, -5
	ds_load_2addr_b64 v[106:109], v100 offset1:1
	ds_load_2addr_b64 v[110:113], v100 offset0:2 offset1:3
	v_movrels_b32_e32 v100, v34
	s_add_co_i32 m0, s2, -4
	s_wait_dscnt 0x1
	v_fmac_f32_e32 v104, v105, v106
	v_movrels_b32_e32 v105, v34
	s_add_co_i32 m0, s2, -3
	s_delay_alu instid0(VALU_DEP_2) | instskip(NEXT) | instid1(VALU_DEP_1)
	v_fmac_f32_e32 v104, v114, v107
	v_fmac_f32_e32 v104, v100, v108
	v_movrels_b32_e32 v100, v34
	s_add_co_i32 m0, s2, -2
	s_delay_alu instid0(VALU_DEP_2) | instskip(SKIP_3) | instid1(VALU_DEP_2)
	v_fmac_f32_e32 v104, v105, v109
	v_movrels_b32_e32 v105, v34
	s_add_co_i32 m0, s2, -1
	s_wait_dscnt 0x0
	v_fmac_f32_e32 v104, v100, v110
	v_movrels_b32_e32 v100, v34
	s_mov_b32 m0, s2
	s_add_nc_u64 s[2:3], s[2:3], 8
	v_movrels_b32_e32 v106, v34
	v_dual_fmac_f32 v104, v105, v111 :: v_dual_add_nc_u32 v105, s2, v102
	s_add_co_i32 s8, s2, -7
	s_delay_alu instid0(VALU_DEP_1) | instskip(NEXT) | instid1(VALU_DEP_2)
	v_fmac_f32_e32 v104, v100, v112
	v_cmp_eq_u32_e32 vcc_lo, 9, v105
	s_delay_alu instid0(VALU_DEP_2) | instskip(SKIP_1) | instid1(SALU_CYCLE_1)
	v_dual_mov_b32 v100, s8 :: v_dual_fmac_f32 v104, v106, v113
	s_or_b32 s6, vcc_lo, s6
	s_and_not1_b32 exec_lo, exec_lo, s6
	s_cbranch_execnz .LBB80_217
; %bb.218:
	s_or_b32 exec_lo, exec_lo, s6
.LBB80_219:
	s_delay_alu instid0(SALU_CYCLE_1) | instskip(SKIP_3) | instid1(VALU_DEP_1)
	s_or_b32 exec_lo, exec_lo, s0
	v_and_b32_e32 v51, 7, v101
	s_mov_b32 s2, 0
	s_mov_b32 s0, exec_lo
	v_cmpx_ne_u32_e32 0, v51
	s_cbranch_execz .LBB80_223
; %bb.220:
	v_lshl_add_u32 v52, v100, 2, 0x50
	v_mov_b32_e32 v101, 0
.LBB80_221:                             ; =>This Inner Loop Header: Depth=1
	v_cmp_eq_u32_e32 vcc_lo, 1, v100
	ds_load_b32 v54, v52
	v_dual_add_nc_u32 v52, 4, v52 :: v_dual_add_nc_u32 v51, -1, v51
	v_cndmask_b32_e32 v53, v34, v35, vcc_lo
	v_cmp_eq_u32_e32 vcc_lo, 2, v100
	s_delay_alu instid0(VALU_DEP_2) | instskip(SKIP_1) | instid1(VALU_DEP_2)
	v_cndmask_b32_e32 v53, v53, v36, vcc_lo
	v_cmp_eq_u32_e32 vcc_lo, 3, v100
	v_cndmask_b32_e32 v53, v53, v37, vcc_lo
	v_cmp_eq_u32_e32 vcc_lo, 4, v100
	s_delay_alu instid0(VALU_DEP_2) | instskip(SKIP_1) | instid1(VALU_DEP_2)
	v_cndmask_b32_e32 v53, v53, v38, vcc_lo
	v_cmp_eq_u32_e32 vcc_lo, 5, v100
	;; [unrolled: 5-line block ×7, first 2 shown]
	v_cndmask_b32_e32 v53, v53, v49, vcc_lo
	v_cmp_eq_u32_e32 vcc_lo, 16, v100
	v_add_nc_u64_e32 v[100:101], 1, v[100:101]
	s_delay_alu instid0(VALU_DEP_3) | instskip(SKIP_2) | instid1(VALU_DEP_2)
	v_cndmask_b32_e32 v53, v53, v50, vcc_lo
	v_cmp_eq_u32_e32 vcc_lo, 0, v51
	s_wait_dscnt 0x0
	v_fmac_f32_e32 v104, v53, v54
	s_or_b32 s2, vcc_lo, s2
	s_delay_alu instid0(SALU_CYCLE_1)
	s_and_not1_b32 exec_lo, exec_lo, s2
	s_cbranch_execnz .LBB80_221
; %bb.222:
	s_or_b32 exec_lo, exec_lo, s2
.LBB80_223:
	s_delay_alu instid0(SALU_CYCLE_1)
	s_or_b32 exec_lo, exec_lo, s0
.LBB80_224:
	s_delay_alu instid0(SALU_CYCLE_1)
	s_or_b32 exec_lo, exec_lo, s5
	v_mov_b32_e32 v35, 0
	ds_load_b32 v35, v35 offset:4
	s_wait_dscnt 0x0
	v_mul_f32_e32 v35, v104, v35
.LBB80_225:
	s_or_b32 exec_lo, exec_lo, s4
	s_mov_b32 s2, 0
	s_mov_b32 s3, exec_lo
	ds_store_b32 v103, v34
	s_wait_dscnt 0x0
	s_barrier_signal -1
	s_barrier_wait -1
	v_cmpx_ne_u32_e32 0, v0
	s_cbranch_execz .LBB80_241
; %bb.226:
	s_and_not1_b32 vcc_lo, exec_lo, s17
	s_cbranch_vccnz .LBB80_228
; %bb.227:
	v_cmp_eq_u32_e32 vcc_lo, 1, v0
	ds_load_b32 v101, v103
	v_cndmask_b32_e32 v100, v34, v35, vcc_lo
	v_cmp_eq_u32_e32 vcc_lo, 2, v0
	s_delay_alu instid0(VALU_DEP_2) | instskip(SKIP_1) | instid1(VALU_DEP_2)
	v_cndmask_b32_e32 v100, v100, v36, vcc_lo
	v_cmp_eq_u32_e32 vcc_lo, 3, v0
	v_cndmask_b32_e32 v100, v100, v37, vcc_lo
	v_cmp_eq_u32_e32 vcc_lo, 4, v0
	s_delay_alu instid0(VALU_DEP_2) | instskip(SKIP_1) | instid1(VALU_DEP_2)
	v_cndmask_b32_e32 v100, v100, v38, vcc_lo
	v_cmp_eq_u32_e32 vcc_lo, 5, v0
	;; [unrolled: 5-line block ×7, first 2 shown]
	v_cndmask_b32_e32 v100, v100, v49, vcc_lo
	v_cmp_eq_u32_e32 vcc_lo, 16, v0
	s_delay_alu instid0(VALU_DEP_2) | instskip(SKIP_1) | instid1(VALU_DEP_1)
	v_cndmask_b32_e32 v100, v100, v50, vcc_lo
	s_wait_dscnt 0x0
	v_mul_f32_e32 v104, v100, v101
	s_cbranch_execz .LBB80_229
	s_branch .LBB80_230
.LBB80_228:
                                        ; implicit-def: $vgpr104
.LBB80_229:
	ds_load_b32 v104, v103
.LBB80_230:
	s_and_saveexec_b32 s4, s1
	s_cbranch_execz .LBB80_240
; %bb.231:
	v_dual_add_nc_u32 v100, -2, v0 :: v_dual_add_nc_u32 v101, -1, v0
	s_delay_alu instid0(VALU_DEP_1)
	v_cmp_lt_u32_e32 vcc_lo, 6, v100
	v_mov_b32_e32 v100, 1
	s_and_saveexec_b32 s5, vcc_lo
	s_cbranch_execz .LBB80_235
; %bb.232:
	v_and_b32_e32 v100, -8, v101
	s_mov_b32 s6, 0
	s_mov_b64 s[0:1], 8
	s_movk_i32 s7, 0x54
	s_delay_alu instid0(VALU_DEP_1)
	v_sub_nc_u32_e32 v102, 0, v100
.LBB80_233:                             ; =>This Inner Loop Header: Depth=1
	s_add_co_i32 m0, s0, -7
	v_movrels_b32_e32 v105, v34
	v_mov_b32_e32 v100, s7
	s_add_co_i32 m0, s0, -6
	s_add_co_i32 s7, s7, 32
	v_movrels_b32_e32 v114, v34
	ds_load_2addr_b32 v[106:107], v100 offset1:1
	ds_load_2addr_b32 v[108:109], v100 offset0:2 offset1:3
	s_add_co_i32 m0, s0, -5
	s_wait_dscnt 0x1
	v_fmac_f32_e32 v104, v105, v106
	ds_load_2addr_b32 v[110:111], v100 offset0:4 offset1:5
	ds_load_2addr_b32 v[112:113], v100 offset0:6 offset1:7
	v_movrels_b32_e32 v100, v34
	s_add_co_i32 m0, s0, -4
	v_fmac_f32_e32 v104, v114, v107
	v_movrels_b32_e32 v105, v34
	s_add_co_i32 m0, s0, -3
	s_wait_dscnt 0x2
	s_delay_alu instid0(VALU_DEP_2) | instskip(SKIP_2) | instid1(VALU_DEP_2)
	v_fmac_f32_e32 v104, v100, v108
	v_movrels_b32_e32 v100, v34
	s_add_co_i32 m0, s0, -2
	v_fmac_f32_e32 v104, v105, v109
	v_movrels_b32_e32 v105, v34
	s_add_co_i32 m0, s0, -1
	s_wait_dscnt 0x1
	s_delay_alu instid0(VALU_DEP_2)
	v_fmac_f32_e32 v104, v100, v110
	v_movrels_b32_e32 v100, v34
	s_mov_b32 m0, s0
	s_add_nc_u64 s[0:1], s[0:1], 8
	v_movrels_b32_e32 v106, v34
	v_dual_fmac_f32 v104, v105, v111 :: v_dual_add_nc_u32 v105, s0, v102
	s_add_co_i32 s8, s0, -7
	s_wait_dscnt 0x0
	s_delay_alu instid0(VALU_DEP_1) | instskip(NEXT) | instid1(VALU_DEP_2)
	v_fmac_f32_e32 v104, v100, v112
	v_cmp_eq_u32_e32 vcc_lo, 8, v105
	s_delay_alu instid0(VALU_DEP_2) | instskip(SKIP_1) | instid1(SALU_CYCLE_1)
	v_dual_mov_b32 v100, s8 :: v_dual_fmac_f32 v104, v106, v113
	s_or_b32 s6, vcc_lo, s6
	s_and_not1_b32 exec_lo, exec_lo, s6
	s_cbranch_execnz .LBB80_233
; %bb.234:
	s_or_b32 exec_lo, exec_lo, s6
.LBB80_235:
	s_delay_alu instid0(SALU_CYCLE_1) | instskip(SKIP_3) | instid1(VALU_DEP_1)
	s_or_b32 exec_lo, exec_lo, s5
	v_and_b32_e32 v51, 7, v101
	s_mov_b32 s1, 0
	s_mov_b32 s0, exec_lo
	v_cmpx_ne_u32_e32 0, v51
	s_cbranch_execz .LBB80_239
; %bb.236:
	v_lshl_add_u32 v52, v100, 2, 0x50
	v_mov_b32_e32 v101, 0
.LBB80_237:                             ; =>This Inner Loop Header: Depth=1
	v_cmp_eq_u32_e32 vcc_lo, 1, v100
	ds_load_b32 v54, v52
	v_dual_add_nc_u32 v52, 4, v52 :: v_dual_add_nc_u32 v51, -1, v51
	v_cndmask_b32_e32 v53, v34, v35, vcc_lo
	v_cmp_eq_u32_e32 vcc_lo, 2, v100
	s_delay_alu instid0(VALU_DEP_2) | instskip(SKIP_1) | instid1(VALU_DEP_2)
	v_cndmask_b32_e32 v53, v53, v36, vcc_lo
	v_cmp_eq_u32_e32 vcc_lo, 3, v100
	v_cndmask_b32_e32 v53, v53, v37, vcc_lo
	v_cmp_eq_u32_e32 vcc_lo, 4, v100
	s_delay_alu instid0(VALU_DEP_2) | instskip(SKIP_1) | instid1(VALU_DEP_2)
	v_cndmask_b32_e32 v53, v53, v38, vcc_lo
	v_cmp_eq_u32_e32 vcc_lo, 5, v100
	;; [unrolled: 5-line block ×7, first 2 shown]
	v_cndmask_b32_e32 v53, v53, v49, vcc_lo
	v_cmp_eq_u32_e32 vcc_lo, 16, v100
	v_add_nc_u64_e32 v[100:101], 1, v[100:101]
	s_delay_alu instid0(VALU_DEP_3) | instskip(SKIP_2) | instid1(VALU_DEP_2)
	v_cndmask_b32_e32 v53, v53, v50, vcc_lo
	v_cmp_eq_u32_e32 vcc_lo, 0, v51
	s_wait_dscnt 0x0
	v_fmac_f32_e32 v104, v53, v54
	s_or_b32 s1, vcc_lo, s1
	s_delay_alu instid0(SALU_CYCLE_1)
	s_and_not1_b32 exec_lo, exec_lo, s1
	s_cbranch_execnz .LBB80_237
; %bb.238:
	s_or_b32 exec_lo, exec_lo, s1
.LBB80_239:
	s_delay_alu instid0(SALU_CYCLE_1)
	s_or_b32 exec_lo, exec_lo, s0
.LBB80_240:
	s_delay_alu instid0(SALU_CYCLE_1)
	s_or_b32 exec_lo, exec_lo, s4
	v_mov_b32_e32 v34, 0
	ds_load_b32 v34, v34
	s_wait_dscnt 0x0
	v_mul_f32_e32 v34, v104, v34
.LBB80_241:
	s_or_b32 exec_lo, exec_lo, s3
	s_delay_alu instid0(SALU_CYCLE_1)
	s_and_b32 vcc_lo, exec_lo, s2
	s_cbranch_vccz .LBB80_405
.LBB80_242:
	v_cmp_eq_u32_e64 s0, 0, v0
	s_wait_loadcnt_dscnt 0xf10
	ds_store_b32 v103, v3
	s_wait_loadcnt_dscnt 0x0
	s_barrier_signal -1
	s_barrier_wait -1
	s_and_saveexec_b32 s1, s0
	s_cbranch_execz .LBB80_248
; %bb.243:
	s_and_b32 vcc_lo, exec_lo, s17
	s_cbranch_vccz .LBB80_245
; %bb.244:
	v_cmp_eq_u32_e32 vcc_lo, 1, v0
	ds_load_b32 v19, v103
	v_cndmask_b32_e32 v3, v2, v3, vcc_lo
	v_cmp_eq_u32_e32 vcc_lo, 2, v0
	s_delay_alu instid0(VALU_DEP_2) | instskip(SKIP_1) | instid1(VALU_DEP_2)
	v_cndmask_b32_e32 v3, v3, v4, vcc_lo
	v_cmp_eq_u32_e32 vcc_lo, 3, v0
	v_cndmask_b32_e32 v3, v3, v5, vcc_lo
	v_cmp_eq_u32_e32 vcc_lo, 4, v0
	s_delay_alu instid0(VALU_DEP_2) | instskip(SKIP_1) | instid1(VALU_DEP_2)
	v_cndmask_b32_e32 v3, v3, v6, vcc_lo
	v_cmp_eq_u32_e32 vcc_lo, 5, v0
	;; [unrolled: 5-line block ×7, first 2 shown]
	v_cndmask_b32_e32 v3, v3, v17, vcc_lo
	v_cmp_eq_u32_e32 vcc_lo, 16, v0
	s_delay_alu instid0(VALU_DEP_2) | instskip(SKIP_1) | instid1(VALU_DEP_1)
	v_cndmask_b32_e32 v3, v3, v18, vcc_lo
	s_wait_dscnt 0x0
	v_mul_f32_e32 v3, v3, v19
	s_cbranch_execz .LBB80_246
	s_branch .LBB80_247
.LBB80_245:
                                        ; implicit-def: $vgpr3
.LBB80_246:
	ds_load_b32 v3, v103
.LBB80_247:
	v_mov_b32_e32 v19, 0
	ds_load_b32 v19, v19 offset:4
	s_wait_dscnt 0x0
	v_mul_f32_e32 v3, v3, v19
.LBB80_248:
	s_or_b32 exec_lo, exec_lo, s1
	v_cndmask_b32_e64 v34, 0, 1, s17
	s_mov_b32 s1, exec_lo
	ds_store_b32 v103, v4
	s_wait_dscnt 0x0
	s_barrier_signal -1
	s_barrier_wait -1
	v_cmpx_gt_u32_e32 2, v0
	s_cbranch_execz .LBB80_254
; %bb.249:
	s_and_not1_b32 vcc_lo, exec_lo, s17
	s_cbranch_vccnz .LBB80_251
; %bb.250:
	v_cmp_eq_u32_e32 vcc_lo, 1, v0
	v_cndmask_b32_e32 v19, v2, v3, vcc_lo
	v_cmp_eq_u32_e32 vcc_lo, 2, v0
	s_delay_alu instid0(VALU_DEP_2) | instskip(SKIP_4) | instid1(VALU_DEP_2)
	v_cndmask_b32_e32 v4, v19, v4, vcc_lo
	v_cmp_eq_u32_e32 vcc_lo, 3, v0
	ds_load_b32 v19, v103
	v_cndmask_b32_e32 v4, v4, v5, vcc_lo
	v_cmp_eq_u32_e32 vcc_lo, 4, v0
	v_cndmask_b32_e32 v4, v4, v6, vcc_lo
	v_cmp_eq_u32_e32 vcc_lo, 5, v0
	s_delay_alu instid0(VALU_DEP_2) | instskip(SKIP_1) | instid1(VALU_DEP_2)
	v_cndmask_b32_e32 v4, v4, v7, vcc_lo
	v_cmp_eq_u32_e32 vcc_lo, 6, v0
	v_cndmask_b32_e32 v4, v4, v8, vcc_lo
	v_cmp_eq_u32_e32 vcc_lo, 7, v0
	s_delay_alu instid0(VALU_DEP_2) | instskip(SKIP_1) | instid1(VALU_DEP_2)
	v_cndmask_b32_e32 v4, v4, v9, vcc_lo
	v_cmp_eq_u32_e32 vcc_lo, 8, v0
	v_cndmask_b32_e32 v4, v4, v10, vcc_lo
	v_cmp_eq_u32_e32 vcc_lo, 9, v0
	s_delay_alu instid0(VALU_DEP_2) | instskip(SKIP_1) | instid1(VALU_DEP_2)
	v_cndmask_b32_e32 v4, v4, v11, vcc_lo
	v_cmp_eq_u32_e32 vcc_lo, 10, v0
	v_cndmask_b32_e32 v4, v4, v12, vcc_lo
	v_cmp_eq_u32_e32 vcc_lo, 11, v0
	s_delay_alu instid0(VALU_DEP_2) | instskip(SKIP_1) | instid1(VALU_DEP_2)
	v_cndmask_b32_e32 v4, v4, v13, vcc_lo
	v_cmp_eq_u32_e32 vcc_lo, 12, v0
	v_cndmask_b32_e32 v4, v4, v14, vcc_lo
	v_cmp_eq_u32_e32 vcc_lo, 13, v0
	s_delay_alu instid0(VALU_DEP_2) | instskip(SKIP_1) | instid1(VALU_DEP_2)
	v_cndmask_b32_e32 v4, v4, v15, vcc_lo
	v_cmp_eq_u32_e32 vcc_lo, 14, v0
	v_cndmask_b32_e32 v4, v4, v16, vcc_lo
	v_cmp_eq_u32_e32 vcc_lo, 15, v0
	s_delay_alu instid0(VALU_DEP_2) | instskip(SKIP_1) | instid1(VALU_DEP_2)
	v_cndmask_b32_e32 v4, v4, v17, vcc_lo
	v_cmp_eq_u32_e32 vcc_lo, 16, v0
	v_cndmask_b32_e32 v4, v4, v18, vcc_lo
	s_wait_dscnt 0x0
	s_delay_alu instid0(VALU_DEP_1)
	v_mul_f32_e32 v4, v4, v19
	s_cbranch_execz .LBB80_252
	s_branch .LBB80_253
.LBB80_251:
                                        ; implicit-def: $vgpr4
.LBB80_252:
	ds_load_b32 v4, v103
.LBB80_253:
	v_mov_b32_e32 v19, 0
	ds_load_2addr_b32 v[20:21], v19 offset0:2 offset1:21
	s_wait_dscnt 0x0
	v_fma_f32 v19, v3, v21, v4
	s_delay_alu instid0(VALU_DEP_1) | instskip(NEXT) | instid1(VALU_DEP_1)
	v_cndmask_b32_e64 v4, v4, v19, s0
	v_mul_f32_e32 v4, v4, v20
.LBB80_254:
	s_or_b32 exec_lo, exec_lo, s1
	v_add_nc_u32_e32 v35, 1, v0
	v_cmp_gt_u32_e64 s1, 3, v0
	ds_store_b32 v103, v5
	s_wait_dscnt 0x0
	s_barrier_signal -1
	s_barrier_wait -1
	s_and_saveexec_b32 s2, s1
	s_cbranch_execz .LBB80_262
; %bb.255:
	v_cmp_ne_u32_e32 vcc_lo, 1, v34
	s_cbranch_vccnz .LBB80_257
; %bb.256:
	v_cmp_eq_u32_e32 vcc_lo, 1, v0
	ds_load_b32 v20, v103
	v_cndmask_b32_e32 v19, v2, v3, vcc_lo
	v_cmp_eq_u32_e32 vcc_lo, 2, v0
	s_delay_alu instid0(VALU_DEP_2) | instskip(SKIP_1) | instid1(VALU_DEP_2)
	v_cndmask_b32_e32 v19, v19, v4, vcc_lo
	v_cmp_eq_u32_e32 vcc_lo, 3, v0
	v_cndmask_b32_e32 v19, v19, v5, vcc_lo
	v_cmp_eq_u32_e32 vcc_lo, 4, v0
	s_delay_alu instid0(VALU_DEP_2) | instskip(SKIP_1) | instid1(VALU_DEP_2)
	v_cndmask_b32_e32 v19, v19, v6, vcc_lo
	v_cmp_eq_u32_e32 vcc_lo, 5, v0
	;; [unrolled: 5-line block ×7, first 2 shown]
	v_cndmask_b32_e32 v19, v19, v17, vcc_lo
	v_cmp_eq_u32_e32 vcc_lo, 16, v0
	s_delay_alu instid0(VALU_DEP_2) | instskip(SKIP_1) | instid1(VALU_DEP_1)
	v_cndmask_b32_e32 v19, v19, v18, vcc_lo
	s_wait_dscnt 0x0
	v_mul_f32_e32 v19, v19, v20
	s_cbranch_execz .LBB80_258
	s_branch .LBB80_259
.LBB80_257:
                                        ; implicit-def: $vgpr19
.LBB80_258:
	ds_load_b32 v19, v103
.LBB80_259:
	s_mov_b32 s3, exec_lo
	v_cmpx_ne_u32_e32 2, v0
	s_cbranch_execz .LBB80_261
; %bb.260:
	v_cmp_eq_u32_e32 vcc_lo, 1, v35
	v_dual_mov_b32 v21, 0 :: v_dual_cndmask_b32 v20, v2, v3
	v_cmp_eq_u32_e32 vcc_lo, 2, v35
	ds_load_b32 v21, v21 offset:88
	v_cndmask_b32_e32 v20, v20, v4, vcc_lo
	v_cmp_eq_u32_e32 vcc_lo, 3, v35
	s_delay_alu instid0(VALU_DEP_2) | instskip(SKIP_4) | instid1(VALU_DEP_2)
	v_cndmask_b32_e32 v5, v20, v5, vcc_lo
	v_cmp_eq_u32_e32 vcc_lo, 4, v35
	ds_load_b32 v20, v103 offset:4
	v_cndmask_b32_e32 v5, v5, v6, vcc_lo
	v_cmp_eq_u32_e32 vcc_lo, 5, v35
	v_cndmask_b32_e32 v5, v5, v7, vcc_lo
	v_cmp_eq_u32_e32 vcc_lo, 6, v35
	s_delay_alu instid0(VALU_DEP_2) | instskip(SKIP_1) | instid1(VALU_DEP_2)
	v_cndmask_b32_e32 v5, v5, v8, vcc_lo
	v_cmp_eq_u32_e32 vcc_lo, 7, v35
	v_cndmask_b32_e32 v5, v5, v9, vcc_lo
	v_cmp_eq_u32_e32 vcc_lo, 8, v35
	s_delay_alu instid0(VALU_DEP_2) | instskip(SKIP_1) | instid1(VALU_DEP_2)
	;; [unrolled: 5-line block ×5, first 2 shown]
	v_cndmask_b32_e32 v5, v5, v16, vcc_lo
	v_cmp_eq_u32_e32 vcc_lo, 15, v35
	v_cndmask_b32_e32 v5, v5, v17, vcc_lo
	v_cmp_eq_u32_e32 vcc_lo, 16, v35
	s_delay_alu instid0(VALU_DEP_2) | instskip(SKIP_1) | instid1(VALU_DEP_1)
	v_cndmask_b32_e32 v5, v5, v18, vcc_lo
	s_wait_dscnt 0x0
	v_fmac_f32_e32 v19, v5, v20
	s_delay_alu instid0(VALU_DEP_1) | instskip(NEXT) | instid1(VALU_DEP_1)
	v_fma_f32 v5, v4, v21, v19
	v_cndmask_b32_e64 v19, v19, v5, s0
.LBB80_261:
	s_or_b32 exec_lo, exec_lo, s3
	v_mov_b32_e32 v5, 0
	ds_load_b32 v5, v5 offset:12
	s_wait_dscnt 0x0
	v_mul_f32_e32 v5, v19, v5
.LBB80_262:
	s_or_b32 exec_lo, exec_lo, s2
	s_delay_alu instid0(SALU_CYCLE_1)
	s_mov_b32 s2, exec_lo
	ds_store_b32 v103, v6
	s_wait_dscnt 0x0
	s_barrier_signal -1
	s_barrier_wait -1
	v_cmpx_gt_u32_e32 4, v0
	s_cbranch_execz .LBB80_272
; %bb.263:
	v_cmp_ne_u32_e32 vcc_lo, 1, v34
	s_cbranch_vccnz .LBB80_265
; %bb.264:
	v_cmp_eq_u32_e32 vcc_lo, 1, v0
	ds_load_b32 v20, v103
	v_cndmask_b32_e32 v19, v2, v3, vcc_lo
	v_cmp_eq_u32_e32 vcc_lo, 2, v0
	s_delay_alu instid0(VALU_DEP_2) | instskip(SKIP_1) | instid1(VALU_DEP_2)
	v_cndmask_b32_e32 v19, v19, v4, vcc_lo
	v_cmp_eq_u32_e32 vcc_lo, 3, v0
	v_cndmask_b32_e32 v19, v19, v5, vcc_lo
	v_cmp_eq_u32_e32 vcc_lo, 4, v0
	s_delay_alu instid0(VALU_DEP_2) | instskip(SKIP_1) | instid1(VALU_DEP_2)
	v_cndmask_b32_e32 v19, v19, v6, vcc_lo
	v_cmp_eq_u32_e32 vcc_lo, 5, v0
	;; [unrolled: 5-line block ×7, first 2 shown]
	v_cndmask_b32_e32 v19, v19, v17, vcc_lo
	v_cmp_eq_u32_e32 vcc_lo, 16, v0
	s_delay_alu instid0(VALU_DEP_2) | instskip(SKIP_1) | instid1(VALU_DEP_1)
	v_cndmask_b32_e32 v19, v19, v18, vcc_lo
	s_wait_dscnt 0x0
	v_mul_f32_e32 v19, v19, v20
	s_cbranch_execz .LBB80_266
	s_branch .LBB80_267
.LBB80_265:
                                        ; implicit-def: $vgpr19
.LBB80_266:
	ds_load_b32 v19, v103
.LBB80_267:
	s_mov_b32 s3, exec_lo
	v_cmpx_ne_u32_e32 3, v0
	s_cbranch_execz .LBB80_271
; %bb.268:
	v_mov_b64_e32 v[20:21], v[0:1]
	v_lshl_add_u32 v22, v0, 2, 0x54
	s_mov_b32 s4, 0
.LBB80_269:                             ; =>This Inner Loop Header: Depth=1
	s_delay_alu instid0(VALU_DEP_2)
	v_add_nc_u64_e32 v[20:21], 1, v[20:21]
	ds_load_b32 v24, v22
	v_add_nc_u32_e32 v22, 4, v22
	v_cmp_eq_u32_e32 vcc_lo, 1, v20
	v_cndmask_b32_e32 v23, v2, v3, vcc_lo
	v_cmp_eq_u32_e32 vcc_lo, 2, v20
	s_delay_alu instid0(VALU_DEP_2) | instskip(SKIP_1) | instid1(VALU_DEP_2)
	v_cndmask_b32_e32 v23, v23, v4, vcc_lo
	v_cmp_eq_u32_e32 vcc_lo, 3, v20
	v_cndmask_b32_e32 v23, v23, v5, vcc_lo
	v_cmp_eq_u32_e32 vcc_lo, 4, v20
	s_delay_alu instid0(VALU_DEP_2) | instskip(SKIP_1) | instid1(VALU_DEP_2)
	v_cndmask_b32_e32 v23, v23, v6, vcc_lo
	;; [unrolled: 5-line block ×7, first 2 shown]
	v_cmp_eq_u32_e32 vcc_lo, 15, v20
	v_cndmask_b32_e32 v23, v23, v17, vcc_lo
	v_cmp_eq_u32_e32 vcc_lo, 16, v20
	s_delay_alu instid0(VALU_DEP_2) | instskip(SKIP_2) | instid1(VALU_DEP_2)
	v_cndmask_b32_e32 v23, v23, v18, vcc_lo
	v_cmp_lt_u32_e32 vcc_lo, 2, v20
	s_wait_dscnt 0x0
	v_fmac_f32_e32 v19, v23, v24
	s_or_b32 s4, vcc_lo, s4
	s_delay_alu instid0(SALU_CYCLE_1)
	s_and_not1_b32 exec_lo, exec_lo, s4
	s_cbranch_execnz .LBB80_269
; %bb.270:
	s_or_b32 exec_lo, exec_lo, s4
.LBB80_271:
	s_delay_alu instid0(SALU_CYCLE_1)
	s_or_b32 exec_lo, exec_lo, s3
	v_mov_b32_e32 v6, 0
	ds_load_b32 v6, v6 offset:16
	s_wait_dscnt 0x0
	v_mul_f32_e32 v6, v19, v6
.LBB80_272:
	s_or_b32 exec_lo, exec_lo, s2
	v_cmp_gt_u32_e64 s2, 5, v0
	ds_store_b32 v103, v7
	s_wait_dscnt 0x0
	s_barrier_signal -1
	s_barrier_wait -1
	s_and_saveexec_b32 s3, s2
	s_cbranch_execz .LBB80_282
; %bb.273:
	v_cmp_ne_u32_e32 vcc_lo, 1, v34
	s_cbranch_vccnz .LBB80_275
; %bb.274:
	v_cmp_eq_u32_e32 vcc_lo, 1, v0
	ds_load_b32 v20, v103
	v_cndmask_b32_e32 v19, v2, v3, vcc_lo
	v_cmp_eq_u32_e32 vcc_lo, 2, v0
	s_delay_alu instid0(VALU_DEP_2) | instskip(SKIP_1) | instid1(VALU_DEP_2)
	v_cndmask_b32_e32 v19, v19, v4, vcc_lo
	v_cmp_eq_u32_e32 vcc_lo, 3, v0
	v_cndmask_b32_e32 v19, v19, v5, vcc_lo
	v_cmp_eq_u32_e32 vcc_lo, 4, v0
	s_delay_alu instid0(VALU_DEP_2) | instskip(SKIP_1) | instid1(VALU_DEP_2)
	v_cndmask_b32_e32 v19, v19, v6, vcc_lo
	v_cmp_eq_u32_e32 vcc_lo, 5, v0
	;; [unrolled: 5-line block ×7, first 2 shown]
	v_cndmask_b32_e32 v19, v19, v17, vcc_lo
	v_cmp_eq_u32_e32 vcc_lo, 16, v0
	s_delay_alu instid0(VALU_DEP_2) | instskip(SKIP_1) | instid1(VALU_DEP_1)
	v_cndmask_b32_e32 v19, v19, v18, vcc_lo
	s_wait_dscnt 0x0
	v_mul_f32_e32 v19, v19, v20
	s_cbranch_execz .LBB80_276
	s_branch .LBB80_277
.LBB80_275:
                                        ; implicit-def: $vgpr19
.LBB80_276:
	ds_load_b32 v19, v103
.LBB80_277:
	s_mov_b32 s4, exec_lo
	v_cmpx_ne_u32_e32 4, v0
	s_cbranch_execz .LBB80_281
; %bb.278:
	v_mov_b64_e32 v[20:21], v[0:1]
	v_lshl_add_u32 v22, v0, 2, 0x54
	s_mov_b32 s5, 0
.LBB80_279:                             ; =>This Inner Loop Header: Depth=1
	s_delay_alu instid0(VALU_DEP_2)
	v_add_nc_u64_e32 v[20:21], 1, v[20:21]
	ds_load_b32 v24, v22
	v_add_nc_u32_e32 v22, 4, v22
	v_cmp_eq_u32_e32 vcc_lo, 1, v20
	v_cndmask_b32_e32 v23, v2, v3, vcc_lo
	v_cmp_eq_u32_e32 vcc_lo, 2, v20
	s_delay_alu instid0(VALU_DEP_2) | instskip(SKIP_1) | instid1(VALU_DEP_2)
	v_cndmask_b32_e32 v23, v23, v4, vcc_lo
	v_cmp_eq_u32_e32 vcc_lo, 3, v20
	v_cndmask_b32_e32 v23, v23, v5, vcc_lo
	v_cmp_eq_u32_e32 vcc_lo, 4, v20
	s_delay_alu instid0(VALU_DEP_2) | instskip(SKIP_1) | instid1(VALU_DEP_2)
	v_cndmask_b32_e32 v23, v23, v6, vcc_lo
	;; [unrolled: 5-line block ×7, first 2 shown]
	v_cmp_eq_u32_e32 vcc_lo, 15, v20
	v_cndmask_b32_e32 v23, v23, v17, vcc_lo
	v_cmp_eq_u32_e32 vcc_lo, 16, v20
	s_delay_alu instid0(VALU_DEP_2) | instskip(SKIP_2) | instid1(VALU_DEP_2)
	v_cndmask_b32_e32 v23, v23, v18, vcc_lo
	v_cmp_lt_u32_e32 vcc_lo, 3, v20
	s_wait_dscnt 0x0
	v_fmac_f32_e32 v19, v23, v24
	s_or_b32 s5, vcc_lo, s5
	s_delay_alu instid0(SALU_CYCLE_1)
	s_and_not1_b32 exec_lo, exec_lo, s5
	s_cbranch_execnz .LBB80_279
; %bb.280:
	s_or_b32 exec_lo, exec_lo, s5
.LBB80_281:
	s_delay_alu instid0(SALU_CYCLE_1)
	s_or_b32 exec_lo, exec_lo, s4
	v_mov_b32_e32 v7, 0
	ds_load_b32 v7, v7 offset:20
	s_wait_dscnt 0x0
	v_mul_f32_e32 v7, v19, v7
.LBB80_282:
	s_or_b32 exec_lo, exec_lo, s3
	s_delay_alu instid0(SALU_CYCLE_1)
	s_mov_b32 s3, exec_lo
	ds_store_b32 v103, v8
	s_wait_dscnt 0x0
	s_barrier_signal -1
	s_barrier_wait -1
	v_cmpx_gt_u32_e32 6, v0
	s_cbranch_execz .LBB80_292
; %bb.283:
	v_cmp_ne_u32_e32 vcc_lo, 1, v34
	s_cbranch_vccnz .LBB80_285
; %bb.284:
	v_cmp_eq_u32_e32 vcc_lo, 1, v0
	ds_load_b32 v20, v103
	v_cndmask_b32_e32 v19, v2, v3, vcc_lo
	v_cmp_eq_u32_e32 vcc_lo, 2, v0
	s_delay_alu instid0(VALU_DEP_2) | instskip(SKIP_1) | instid1(VALU_DEP_2)
	v_cndmask_b32_e32 v19, v19, v4, vcc_lo
	v_cmp_eq_u32_e32 vcc_lo, 3, v0
	v_cndmask_b32_e32 v19, v19, v5, vcc_lo
	v_cmp_eq_u32_e32 vcc_lo, 4, v0
	s_delay_alu instid0(VALU_DEP_2) | instskip(SKIP_1) | instid1(VALU_DEP_2)
	v_cndmask_b32_e32 v19, v19, v6, vcc_lo
	v_cmp_eq_u32_e32 vcc_lo, 5, v0
	v_cndmask_b32_e32 v19, v19, v7, vcc_lo
	v_cmp_eq_u32_e32 vcc_lo, 6, v0
	s_delay_alu instid0(VALU_DEP_2) | instskip(SKIP_1) | instid1(VALU_DEP_2)
	v_cndmask_b32_e32 v19, v19, v8, vcc_lo
	v_cmp_eq_u32_e32 vcc_lo, 7, v0
	v_cndmask_b32_e32 v19, v19, v9, vcc_lo
	v_cmp_eq_u32_e32 vcc_lo, 8, v0
	s_delay_alu instid0(VALU_DEP_2) | instskip(SKIP_1) | instid1(VALU_DEP_2)
	v_cndmask_b32_e32 v19, v19, v10, vcc_lo
	v_cmp_eq_u32_e32 vcc_lo, 9, v0
	v_cndmask_b32_e32 v19, v19, v11, vcc_lo
	v_cmp_eq_u32_e32 vcc_lo, 10, v0
	s_delay_alu instid0(VALU_DEP_2) | instskip(SKIP_1) | instid1(VALU_DEP_2)
	v_cndmask_b32_e32 v19, v19, v12, vcc_lo
	v_cmp_eq_u32_e32 vcc_lo, 11, v0
	v_cndmask_b32_e32 v19, v19, v13, vcc_lo
	v_cmp_eq_u32_e32 vcc_lo, 12, v0
	s_delay_alu instid0(VALU_DEP_2) | instskip(SKIP_1) | instid1(VALU_DEP_2)
	v_cndmask_b32_e32 v19, v19, v14, vcc_lo
	v_cmp_eq_u32_e32 vcc_lo, 13, v0
	v_cndmask_b32_e32 v19, v19, v15, vcc_lo
	v_cmp_eq_u32_e32 vcc_lo, 14, v0
	s_delay_alu instid0(VALU_DEP_2) | instskip(SKIP_1) | instid1(VALU_DEP_2)
	v_cndmask_b32_e32 v19, v19, v16, vcc_lo
	v_cmp_eq_u32_e32 vcc_lo, 15, v0
	v_cndmask_b32_e32 v19, v19, v17, vcc_lo
	v_cmp_eq_u32_e32 vcc_lo, 16, v0
	s_delay_alu instid0(VALU_DEP_2) | instskip(SKIP_1) | instid1(VALU_DEP_1)
	v_cndmask_b32_e32 v19, v19, v18, vcc_lo
	s_wait_dscnt 0x0
	v_mul_f32_e32 v19, v19, v20
	s_cbranch_execz .LBB80_286
	s_branch .LBB80_287
.LBB80_285:
                                        ; implicit-def: $vgpr19
.LBB80_286:
	ds_load_b32 v19, v103
.LBB80_287:
	s_mov_b32 s4, exec_lo
	v_cmpx_ne_u32_e32 5, v0
	s_cbranch_execz .LBB80_291
; %bb.288:
	v_mov_b64_e32 v[20:21], v[0:1]
	v_lshl_add_u32 v22, v0, 2, 0x54
	s_mov_b32 s5, 0
.LBB80_289:                             ; =>This Inner Loop Header: Depth=1
	s_delay_alu instid0(VALU_DEP_2)
	v_add_nc_u64_e32 v[20:21], 1, v[20:21]
	ds_load_b32 v24, v22
	v_add_nc_u32_e32 v22, 4, v22
	v_cmp_eq_u32_e32 vcc_lo, 1, v20
	v_cndmask_b32_e32 v23, v2, v3, vcc_lo
	v_cmp_eq_u32_e32 vcc_lo, 2, v20
	s_delay_alu instid0(VALU_DEP_2) | instskip(SKIP_1) | instid1(VALU_DEP_2)
	v_cndmask_b32_e32 v23, v23, v4, vcc_lo
	v_cmp_eq_u32_e32 vcc_lo, 3, v20
	v_cndmask_b32_e32 v23, v23, v5, vcc_lo
	v_cmp_eq_u32_e32 vcc_lo, 4, v20
	s_delay_alu instid0(VALU_DEP_2) | instskip(SKIP_1) | instid1(VALU_DEP_2)
	v_cndmask_b32_e32 v23, v23, v6, vcc_lo
	;; [unrolled: 5-line block ×7, first 2 shown]
	v_cmp_eq_u32_e32 vcc_lo, 15, v20
	v_cndmask_b32_e32 v23, v23, v17, vcc_lo
	v_cmp_eq_u32_e32 vcc_lo, 16, v20
	s_delay_alu instid0(VALU_DEP_2) | instskip(SKIP_2) | instid1(VALU_DEP_2)
	v_cndmask_b32_e32 v23, v23, v18, vcc_lo
	v_cmp_lt_u32_e32 vcc_lo, 4, v20
	s_wait_dscnt 0x0
	v_fmac_f32_e32 v19, v23, v24
	s_or_b32 s5, vcc_lo, s5
	s_delay_alu instid0(SALU_CYCLE_1)
	s_and_not1_b32 exec_lo, exec_lo, s5
	s_cbranch_execnz .LBB80_289
; %bb.290:
	s_or_b32 exec_lo, exec_lo, s5
.LBB80_291:
	s_delay_alu instid0(SALU_CYCLE_1)
	s_or_b32 exec_lo, exec_lo, s4
	v_mov_b32_e32 v8, 0
	ds_load_b32 v8, v8 offset:24
	s_wait_dscnt 0x0
	v_mul_f32_e32 v8, v19, v8
.LBB80_292:
	s_or_b32 exec_lo, exec_lo, s3
	v_cmp_gt_u32_e64 s3, 7, v0
	ds_store_b32 v103, v9
	s_wait_dscnt 0x0
	s_barrier_signal -1
	s_barrier_wait -1
	s_and_saveexec_b32 s4, s3
	s_cbranch_execz .LBB80_302
; %bb.293:
	v_cmp_ne_u32_e32 vcc_lo, 1, v34
	s_cbranch_vccnz .LBB80_295
; %bb.294:
	v_cmp_eq_u32_e32 vcc_lo, 1, v0
	ds_load_b32 v20, v103
	v_cndmask_b32_e32 v19, v2, v3, vcc_lo
	v_cmp_eq_u32_e32 vcc_lo, 2, v0
	s_delay_alu instid0(VALU_DEP_2) | instskip(SKIP_1) | instid1(VALU_DEP_2)
	v_cndmask_b32_e32 v19, v19, v4, vcc_lo
	v_cmp_eq_u32_e32 vcc_lo, 3, v0
	v_cndmask_b32_e32 v19, v19, v5, vcc_lo
	v_cmp_eq_u32_e32 vcc_lo, 4, v0
	s_delay_alu instid0(VALU_DEP_2) | instskip(SKIP_1) | instid1(VALU_DEP_2)
	v_cndmask_b32_e32 v19, v19, v6, vcc_lo
	v_cmp_eq_u32_e32 vcc_lo, 5, v0
	;; [unrolled: 5-line block ×7, first 2 shown]
	v_cndmask_b32_e32 v19, v19, v17, vcc_lo
	v_cmp_eq_u32_e32 vcc_lo, 16, v0
	s_delay_alu instid0(VALU_DEP_2) | instskip(SKIP_1) | instid1(VALU_DEP_1)
	v_cndmask_b32_e32 v19, v19, v18, vcc_lo
	s_wait_dscnt 0x0
	v_mul_f32_e32 v19, v19, v20
	s_cbranch_execz .LBB80_296
	s_branch .LBB80_297
.LBB80_295:
                                        ; implicit-def: $vgpr19
.LBB80_296:
	ds_load_b32 v19, v103
.LBB80_297:
	s_mov_b32 s5, exec_lo
	v_cmpx_ne_u32_e32 6, v0
	s_cbranch_execz .LBB80_301
; %bb.298:
	v_mov_b64_e32 v[20:21], v[0:1]
	v_lshl_add_u32 v22, v0, 2, 0x54
	s_mov_b32 s6, 0
.LBB80_299:                             ; =>This Inner Loop Header: Depth=1
	s_delay_alu instid0(VALU_DEP_2)
	v_add_nc_u64_e32 v[20:21], 1, v[20:21]
	ds_load_b32 v24, v22
	v_add_nc_u32_e32 v22, 4, v22
	v_cmp_eq_u32_e32 vcc_lo, 1, v20
	v_cndmask_b32_e32 v23, v2, v3, vcc_lo
	v_cmp_eq_u32_e32 vcc_lo, 2, v20
	s_delay_alu instid0(VALU_DEP_2) | instskip(SKIP_1) | instid1(VALU_DEP_2)
	v_cndmask_b32_e32 v23, v23, v4, vcc_lo
	v_cmp_eq_u32_e32 vcc_lo, 3, v20
	v_cndmask_b32_e32 v23, v23, v5, vcc_lo
	v_cmp_eq_u32_e32 vcc_lo, 4, v20
	s_delay_alu instid0(VALU_DEP_2) | instskip(SKIP_1) | instid1(VALU_DEP_2)
	v_cndmask_b32_e32 v23, v23, v6, vcc_lo
	;; [unrolled: 5-line block ×7, first 2 shown]
	v_cmp_eq_u32_e32 vcc_lo, 15, v20
	v_cndmask_b32_e32 v23, v23, v17, vcc_lo
	v_cmp_eq_u32_e32 vcc_lo, 16, v20
	s_delay_alu instid0(VALU_DEP_2) | instskip(SKIP_2) | instid1(VALU_DEP_2)
	v_cndmask_b32_e32 v23, v23, v18, vcc_lo
	v_cmp_lt_u32_e32 vcc_lo, 5, v20
	s_wait_dscnt 0x0
	v_fmac_f32_e32 v19, v23, v24
	s_or_b32 s6, vcc_lo, s6
	s_delay_alu instid0(SALU_CYCLE_1)
	s_and_not1_b32 exec_lo, exec_lo, s6
	s_cbranch_execnz .LBB80_299
; %bb.300:
	s_or_b32 exec_lo, exec_lo, s6
.LBB80_301:
	s_delay_alu instid0(SALU_CYCLE_1)
	s_or_b32 exec_lo, exec_lo, s5
	v_mov_b32_e32 v9, 0
	ds_load_b32 v9, v9 offset:28
	s_wait_dscnt 0x0
	v_mul_f32_e32 v9, v19, v9
.LBB80_302:
	s_or_b32 exec_lo, exec_lo, s4
	s_delay_alu instid0(SALU_CYCLE_1)
	s_mov_b32 s4, exec_lo
	ds_store_b32 v103, v10
	s_wait_dscnt 0x0
	s_barrier_signal -1
	s_barrier_wait -1
	v_cmpx_gt_u32_e32 8, v0
	s_cbranch_execz .LBB80_312
; %bb.303:
	v_cmp_ne_u32_e32 vcc_lo, 1, v34
	s_cbranch_vccnz .LBB80_305
; %bb.304:
	v_cmp_eq_u32_e32 vcc_lo, 1, v0
	ds_load_b32 v20, v103
	v_cndmask_b32_e32 v19, v2, v3, vcc_lo
	v_cmp_eq_u32_e32 vcc_lo, 2, v0
	s_delay_alu instid0(VALU_DEP_2) | instskip(SKIP_1) | instid1(VALU_DEP_2)
	v_cndmask_b32_e32 v19, v19, v4, vcc_lo
	v_cmp_eq_u32_e32 vcc_lo, 3, v0
	v_cndmask_b32_e32 v19, v19, v5, vcc_lo
	v_cmp_eq_u32_e32 vcc_lo, 4, v0
	s_delay_alu instid0(VALU_DEP_2) | instskip(SKIP_1) | instid1(VALU_DEP_2)
	v_cndmask_b32_e32 v19, v19, v6, vcc_lo
	v_cmp_eq_u32_e32 vcc_lo, 5, v0
	;; [unrolled: 5-line block ×7, first 2 shown]
	v_cndmask_b32_e32 v19, v19, v17, vcc_lo
	v_cmp_eq_u32_e32 vcc_lo, 16, v0
	s_delay_alu instid0(VALU_DEP_2) | instskip(SKIP_1) | instid1(VALU_DEP_1)
	v_cndmask_b32_e32 v19, v19, v18, vcc_lo
	s_wait_dscnt 0x0
	v_mul_f32_e32 v19, v19, v20
	s_cbranch_execz .LBB80_306
	s_branch .LBB80_307
.LBB80_305:
                                        ; implicit-def: $vgpr19
.LBB80_306:
	ds_load_b32 v19, v103
.LBB80_307:
	s_mov_b32 s5, exec_lo
	v_cmpx_ne_u32_e32 7, v0
	s_cbranch_execz .LBB80_311
; %bb.308:
	v_mov_b64_e32 v[20:21], v[0:1]
	v_lshl_add_u32 v22, v0, 2, 0x54
	s_mov_b32 s6, 0
.LBB80_309:                             ; =>This Inner Loop Header: Depth=1
	s_delay_alu instid0(VALU_DEP_2)
	v_add_nc_u64_e32 v[20:21], 1, v[20:21]
	ds_load_b32 v24, v22
	v_add_nc_u32_e32 v22, 4, v22
	v_cmp_eq_u32_e32 vcc_lo, 1, v20
	v_cndmask_b32_e32 v23, v2, v3, vcc_lo
	v_cmp_eq_u32_e32 vcc_lo, 2, v20
	s_delay_alu instid0(VALU_DEP_2) | instskip(SKIP_1) | instid1(VALU_DEP_2)
	v_cndmask_b32_e32 v23, v23, v4, vcc_lo
	v_cmp_eq_u32_e32 vcc_lo, 3, v20
	v_cndmask_b32_e32 v23, v23, v5, vcc_lo
	v_cmp_eq_u32_e32 vcc_lo, 4, v20
	s_delay_alu instid0(VALU_DEP_2) | instskip(SKIP_1) | instid1(VALU_DEP_2)
	v_cndmask_b32_e32 v23, v23, v6, vcc_lo
	;; [unrolled: 5-line block ×7, first 2 shown]
	v_cmp_eq_u32_e32 vcc_lo, 15, v20
	v_cndmask_b32_e32 v23, v23, v17, vcc_lo
	v_cmp_eq_u32_e32 vcc_lo, 16, v20
	s_delay_alu instid0(VALU_DEP_2) | instskip(SKIP_2) | instid1(VALU_DEP_2)
	v_cndmask_b32_e32 v23, v23, v18, vcc_lo
	v_cmp_lt_u32_e32 vcc_lo, 6, v20
	s_wait_dscnt 0x0
	v_fmac_f32_e32 v19, v23, v24
	s_or_b32 s6, vcc_lo, s6
	s_delay_alu instid0(SALU_CYCLE_1)
	s_and_not1_b32 exec_lo, exec_lo, s6
	s_cbranch_execnz .LBB80_309
; %bb.310:
	s_or_b32 exec_lo, exec_lo, s6
.LBB80_311:
	s_delay_alu instid0(SALU_CYCLE_1)
	s_or_b32 exec_lo, exec_lo, s5
	v_mov_b32_e32 v10, 0
	ds_load_b32 v10, v10 offset:32
	s_wait_dscnt 0x0
	v_mul_f32_e32 v10, v19, v10
.LBB80_312:
	s_or_b32 exec_lo, exec_lo, s4
	s_delay_alu instid0(SALU_CYCLE_1)
	s_mov_b32 s4, exec_lo
	ds_store_b32 v103, v11
	s_wait_dscnt 0x0
	s_barrier_signal -1
	s_barrier_wait -1
	v_cmpx_gt_u32_e32 9, v0
	s_cbranch_execz .LBB80_334
; %bb.313:
	v_cmp_ne_u32_e32 vcc_lo, 1, v34
	s_cbranch_vccnz .LBB80_315
; %bb.314:
	v_cmp_eq_u32_e32 vcc_lo, 1, v0
	ds_load_b32 v20, v103
	v_cndmask_b32_e32 v19, v2, v3, vcc_lo
	v_cmp_eq_u32_e32 vcc_lo, 2, v0
	s_delay_alu instid0(VALU_DEP_2) | instskip(SKIP_1) | instid1(VALU_DEP_2)
	v_cndmask_b32_e32 v19, v19, v4, vcc_lo
	v_cmp_eq_u32_e32 vcc_lo, 3, v0
	v_cndmask_b32_e32 v19, v19, v5, vcc_lo
	v_cmp_eq_u32_e32 vcc_lo, 4, v0
	s_delay_alu instid0(VALU_DEP_2) | instskip(SKIP_1) | instid1(VALU_DEP_2)
	v_cndmask_b32_e32 v19, v19, v6, vcc_lo
	v_cmp_eq_u32_e32 vcc_lo, 5, v0
	;; [unrolled: 5-line block ×7, first 2 shown]
	v_cndmask_b32_e32 v19, v19, v17, vcc_lo
	v_cmp_eq_u32_e32 vcc_lo, 16, v0
	s_delay_alu instid0(VALU_DEP_2) | instskip(SKIP_1) | instid1(VALU_DEP_1)
	v_cndmask_b32_e32 v19, v19, v18, vcc_lo
	s_wait_dscnt 0x0
	v_mul_f32_e32 v19, v19, v20
	s_cbranch_execz .LBB80_316
	s_branch .LBB80_317
.LBB80_315:
                                        ; implicit-def: $vgpr19
.LBB80_316:
	ds_load_b32 v19, v103
.LBB80_317:
	s_mov_b32 s5, exec_lo
	v_cmpx_ne_u32_e32 8, v0
	s_cbranch_execz .LBB80_333
; %bb.318:
	v_cmp_eq_u32_e32 vcc_lo, 1, v35
	ds_load_b32 v21, v103 offset:4
	v_cndmask_b32_e32 v20, v2, v3, vcc_lo
	v_cmp_eq_u32_e32 vcc_lo, 2, v35
	s_delay_alu instid0(VALU_DEP_2) | instskip(SKIP_1) | instid1(VALU_DEP_2)
	v_cndmask_b32_e32 v20, v20, v4, vcc_lo
	v_cmp_eq_u32_e32 vcc_lo, 3, v35
	v_cndmask_b32_e32 v20, v20, v5, vcc_lo
	v_cmp_eq_u32_e32 vcc_lo, 4, v35
	s_delay_alu instid0(VALU_DEP_2) | instskip(SKIP_1) | instid1(VALU_DEP_2)
	v_cndmask_b32_e32 v20, v20, v6, vcc_lo
	v_cmp_eq_u32_e32 vcc_lo, 5, v35
	;; [unrolled: 5-line block ×7, first 2 shown]
	v_cndmask_b32_e32 v20, v20, v17, vcc_lo
	v_cmp_eq_u32_e32 vcc_lo, 16, v35
	s_delay_alu instid0(VALU_DEP_2) | instskip(SKIP_1) | instid1(VALU_DEP_1)
	v_cndmask_b32_e32 v20, v20, v18, vcc_lo
	s_wait_dscnt 0x0
	v_fmac_f32_e32 v19, v20, v21
	s_and_saveexec_b32 s6, s3
	s_cbranch_execz .LBB80_332
; %bb.319:
	v_add_nc_u32_e32 v20, 2, v0
	ds_load_b32 v22, v103 offset:8
	s_mov_b32 s3, exec_lo
	v_cmp_eq_u32_e32 vcc_lo, 1, v20
	v_cndmask_b32_e32 v21, v2, v3, vcc_lo
	v_cmp_eq_u32_e32 vcc_lo, 2, v20
	s_delay_alu instid0(VALU_DEP_2) | instskip(SKIP_1) | instid1(VALU_DEP_2)
	v_cndmask_b32_e32 v21, v21, v4, vcc_lo
	v_cmp_eq_u32_e32 vcc_lo, 3, v20
	v_cndmask_b32_e32 v21, v21, v5, vcc_lo
	v_cmp_eq_u32_e32 vcc_lo, 4, v20
	s_delay_alu instid0(VALU_DEP_2) | instskip(SKIP_1) | instid1(VALU_DEP_2)
	v_cndmask_b32_e32 v21, v21, v6, vcc_lo
	;; [unrolled: 5-line block ×7, first 2 shown]
	v_cmp_eq_u32_e32 vcc_lo, 15, v20
	v_cndmask_b32_e32 v21, v21, v17, vcc_lo
	v_cmp_eq_u32_e32 vcc_lo, 16, v20
	s_delay_alu instid0(VALU_DEP_2) | instskip(SKIP_1) | instid1(VALU_DEP_1)
	v_cndmask_b32_e32 v20, v21, v18, vcc_lo
	s_wait_dscnt 0x0
	v_fmac_f32_e32 v19, v20, v22
	v_cmpx_ne_u32_e32 6, v0
	s_cbranch_execz .LBB80_331
; %bb.320:
	v_add_nc_u32_e32 v20, 3, v0
	ds_load_b32 v22, v103 offset:12
	v_cmp_eq_u32_e32 vcc_lo, 1, v20
	v_cndmask_b32_e32 v21, v2, v3, vcc_lo
	v_cmp_eq_u32_e32 vcc_lo, 2, v20
	s_delay_alu instid0(VALU_DEP_2) | instskip(SKIP_1) | instid1(VALU_DEP_2)
	v_cndmask_b32_e32 v21, v21, v4, vcc_lo
	v_cmp_eq_u32_e32 vcc_lo, 3, v20
	v_cndmask_b32_e32 v21, v21, v5, vcc_lo
	v_cmp_eq_u32_e32 vcc_lo, 4, v20
	s_delay_alu instid0(VALU_DEP_2) | instskip(SKIP_1) | instid1(VALU_DEP_2)
	v_cndmask_b32_e32 v21, v21, v6, vcc_lo
	;; [unrolled: 5-line block ×7, first 2 shown]
	v_cmp_eq_u32_e32 vcc_lo, 15, v20
	v_cndmask_b32_e32 v21, v21, v17, vcc_lo
	v_cmp_eq_u32_e32 vcc_lo, 16, v20
	s_delay_alu instid0(VALU_DEP_2) | instskip(SKIP_1) | instid1(VALU_DEP_1)
	v_cndmask_b32_e32 v20, v21, v18, vcc_lo
	s_wait_dscnt 0x0
	v_fmac_f32_e32 v19, v20, v22
	s_and_saveexec_b32 s7, s2
	s_cbranch_execz .LBB80_330
; %bb.321:
	v_add_nc_u32_e32 v20, 4, v0
	ds_load_b32 v22, v103 offset:16
	s_mov_b32 s2, exec_lo
	v_cmp_eq_u32_e32 vcc_lo, 1, v20
	v_cndmask_b32_e32 v21, v2, v3, vcc_lo
	v_cmp_eq_u32_e32 vcc_lo, 2, v20
	s_delay_alu instid0(VALU_DEP_2) | instskip(SKIP_1) | instid1(VALU_DEP_2)
	v_cndmask_b32_e32 v21, v21, v4, vcc_lo
	v_cmp_eq_u32_e32 vcc_lo, 3, v20
	v_cndmask_b32_e32 v21, v21, v5, vcc_lo
	v_cmp_eq_u32_e32 vcc_lo, 4, v20
	s_delay_alu instid0(VALU_DEP_2) | instskip(SKIP_1) | instid1(VALU_DEP_2)
	v_cndmask_b32_e32 v21, v21, v6, vcc_lo
	;; [unrolled: 5-line block ×7, first 2 shown]
	v_cmp_eq_u32_e32 vcc_lo, 15, v20
	v_cndmask_b32_e32 v21, v21, v17, vcc_lo
	v_cmp_eq_u32_e32 vcc_lo, 16, v20
	s_delay_alu instid0(VALU_DEP_2) | instskip(SKIP_1) | instid1(VALU_DEP_1)
	v_cndmask_b32_e32 v20, v21, v18, vcc_lo
	s_wait_dscnt 0x0
	v_fmac_f32_e32 v19, v20, v22
	v_cmpx_ne_u32_e32 4, v0
	s_cbranch_execz .LBB80_329
; %bb.322:
	v_add_nc_u32_e32 v20, 5, v0
	ds_load_b32 v22, v103 offset:20
	v_cmp_eq_u32_e32 vcc_lo, 1, v20
	v_cndmask_b32_e32 v21, v2, v3, vcc_lo
	v_cmp_eq_u32_e32 vcc_lo, 2, v20
	s_delay_alu instid0(VALU_DEP_2) | instskip(SKIP_1) | instid1(VALU_DEP_2)
	v_cndmask_b32_e32 v21, v21, v4, vcc_lo
	v_cmp_eq_u32_e32 vcc_lo, 3, v20
	v_cndmask_b32_e32 v21, v21, v5, vcc_lo
	v_cmp_eq_u32_e32 vcc_lo, 4, v20
	s_delay_alu instid0(VALU_DEP_2) | instskip(SKIP_1) | instid1(VALU_DEP_2)
	v_cndmask_b32_e32 v21, v21, v6, vcc_lo
	;; [unrolled: 5-line block ×7, first 2 shown]
	v_cmp_eq_u32_e32 vcc_lo, 15, v20
	v_cndmask_b32_e32 v21, v21, v17, vcc_lo
	v_cmp_eq_u32_e32 vcc_lo, 16, v20
	s_delay_alu instid0(VALU_DEP_2) | instskip(SKIP_1) | instid1(VALU_DEP_1)
	v_cndmask_b32_e32 v20, v21, v18, vcc_lo
	s_wait_dscnt 0x0
	v_fmac_f32_e32 v19, v20, v22
	s_and_saveexec_b32 s8, s1
	s_cbranch_execz .LBB80_328
; %bb.323:
	v_add_nc_u32_e32 v20, 6, v0
	ds_load_b32 v22, v103 offset:24
	s_mov_b32 s1, exec_lo
	v_cmp_eq_u32_e32 vcc_lo, 1, v20
	v_cndmask_b32_e32 v21, v2, v3, vcc_lo
	v_cmp_eq_u32_e32 vcc_lo, 2, v20
	s_delay_alu instid0(VALU_DEP_2) | instskip(SKIP_1) | instid1(VALU_DEP_2)
	v_cndmask_b32_e32 v21, v21, v4, vcc_lo
	v_cmp_eq_u32_e32 vcc_lo, 3, v20
	v_cndmask_b32_e32 v21, v21, v5, vcc_lo
	v_cmp_eq_u32_e32 vcc_lo, 4, v20
	s_delay_alu instid0(VALU_DEP_2) | instskip(SKIP_1) | instid1(VALU_DEP_2)
	v_cndmask_b32_e32 v21, v21, v6, vcc_lo
	;; [unrolled: 5-line block ×7, first 2 shown]
	v_cmp_eq_u32_e32 vcc_lo, 15, v20
	v_cndmask_b32_e32 v21, v21, v17, vcc_lo
	v_cmp_eq_u32_e32 vcc_lo, 16, v20
	s_delay_alu instid0(VALU_DEP_2) | instskip(SKIP_1) | instid1(VALU_DEP_1)
	v_cndmask_b32_e32 v20, v21, v18, vcc_lo
	s_wait_dscnt 0x0
	v_fmac_f32_e32 v19, v20, v22
	v_cmpx_ne_u32_e32 2, v0
	s_cbranch_execz .LBB80_327
; %bb.324:
	v_add_nc_u32_e32 v20, 7, v0
	s_delay_alu instid0(VALU_DEP_1) | instskip(SKIP_2) | instid1(VALU_DEP_2)
	v_cmp_eq_u32_e32 vcc_lo, 1, v20
	v_cndmask_b32_e32 v21, v2, v3, vcc_lo
	v_cmp_eq_u32_e32 vcc_lo, 2, v20
	v_cndmask_b32_e32 v21, v21, v4, vcc_lo
	v_cmp_eq_u32_e32 vcc_lo, 3, v20
	s_delay_alu instid0(VALU_DEP_2) | instskip(SKIP_1) | instid1(VALU_DEP_2)
	v_cndmask_b32_e32 v21, v21, v5, vcc_lo
	v_cmp_eq_u32_e32 vcc_lo, 4, v20
	v_cndmask_b32_e32 v21, v21, v6, vcc_lo
	v_cmp_eq_u32_e32 vcc_lo, 5, v20
	s_delay_alu instid0(VALU_DEP_2) | instskip(SKIP_1) | instid1(VALU_DEP_2)
	;; [unrolled: 5-line block ×3, first 2 shown]
	v_cndmask_b32_e32 v21, v21, v9, vcc_lo
	v_cmp_eq_u32_e32 vcc_lo, 8, v20
	v_cndmask_b32_e32 v21, v21, v10, vcc_lo
	v_cmp_eq_u32_e32 vcc_lo, 9, v20
	s_delay_alu instid0(VALU_DEP_2) | instskip(SKIP_4) | instid1(VALU_DEP_2)
	v_cndmask_b32_e32 v11, v21, v11, vcc_lo
	v_cmp_eq_u32_e32 vcc_lo, 10, v20
	ds_load_b32 v21, v103 offset:28
	v_cndmask_b32_e32 v11, v11, v12, vcc_lo
	v_cmp_eq_u32_e32 vcc_lo, 11, v20
	v_cndmask_b32_e32 v11, v11, v13, vcc_lo
	v_cmp_eq_u32_e32 vcc_lo, 12, v20
	s_delay_alu instid0(VALU_DEP_2) | instskip(SKIP_1) | instid1(VALU_DEP_2)
	v_cndmask_b32_e32 v11, v11, v14, vcc_lo
	v_cmp_eq_u32_e32 vcc_lo, 13, v20
	v_cndmask_b32_e32 v11, v11, v15, vcc_lo
	v_cmp_eq_u32_e32 vcc_lo, 14, v20
	s_delay_alu instid0(VALU_DEP_2) | instskip(SKIP_1) | instid1(VALU_DEP_2)
	v_cndmask_b32_e32 v11, v11, v16, vcc_lo
	v_cmp_eq_u32_e32 vcc_lo, 15, v20
	v_cndmask_b32_e32 v11, v11, v17, vcc_lo
	v_cmp_eq_u32_e32 vcc_lo, 16, v20
	s_delay_alu instid0(VALU_DEP_2) | instskip(SKIP_1) | instid1(VALU_DEP_1)
	v_cndmask_b32_e32 v11, v11, v18, vcc_lo
	s_wait_dscnt 0x0
	v_fmac_f32_e32 v19, v11, v21
	s_and_saveexec_b32 s9, s0
	s_cbranch_execz .LBB80_326
; %bb.325:
	ds_load_b32 v11, v103 offset:32
	s_wait_dscnt 0x0
	v_fmac_f32_e32 v19, v10, v11
.LBB80_326:
	s_or_b32 exec_lo, exec_lo, s9
.LBB80_327:
	s_delay_alu instid0(SALU_CYCLE_1)
	s_or_b32 exec_lo, exec_lo, s1
.LBB80_328:
	s_delay_alu instid0(SALU_CYCLE_1)
	s_or_b32 exec_lo, exec_lo, s8
.LBB80_329:
	s_delay_alu instid0(SALU_CYCLE_1)
	s_or_b32 exec_lo, exec_lo, s2
.LBB80_330:
	s_delay_alu instid0(SALU_CYCLE_1)
	s_or_b32 exec_lo, exec_lo, s7
.LBB80_331:
	s_delay_alu instid0(SALU_CYCLE_1)
	s_or_b32 exec_lo, exec_lo, s3
.LBB80_332:
	s_delay_alu instid0(SALU_CYCLE_1)
	s_or_b32 exec_lo, exec_lo, s6
.LBB80_333:
	s_delay_alu instid0(SALU_CYCLE_1)
	s_or_b32 exec_lo, exec_lo, s5
	v_mov_b32_e32 v11, 0
	ds_load_b32 v11, v11 offset:36
	s_wait_dscnt 0x0
	v_mul_f32_e32 v11, v19, v11
.LBB80_334:
	s_or_b32 exec_lo, exec_lo, s4
	s_delay_alu instid0(SALU_CYCLE_1)
	s_mov_b32 s0, exec_lo
	ds_store_b32 v103, v12
	s_wait_dscnt 0x0
	s_barrier_signal -1
	s_barrier_wait -1
	v_cmpx_gt_u32_e32 10, v0
	s_cbranch_execz .LBB80_344
; %bb.335:
	v_cmp_ne_u32_e32 vcc_lo, 1, v34
	s_cbranch_vccnz .LBB80_337
; %bb.336:
	v_cmp_eq_u32_e32 vcc_lo, 1, v0
	ds_load_b32 v20, v103
	v_cndmask_b32_e32 v19, v2, v3, vcc_lo
	v_cmp_eq_u32_e32 vcc_lo, 2, v0
	s_delay_alu instid0(VALU_DEP_2) | instskip(SKIP_1) | instid1(VALU_DEP_2)
	v_cndmask_b32_e32 v19, v19, v4, vcc_lo
	v_cmp_eq_u32_e32 vcc_lo, 3, v0
	v_cndmask_b32_e32 v19, v19, v5, vcc_lo
	v_cmp_eq_u32_e32 vcc_lo, 4, v0
	s_delay_alu instid0(VALU_DEP_2) | instskip(SKIP_1) | instid1(VALU_DEP_2)
	v_cndmask_b32_e32 v19, v19, v6, vcc_lo
	v_cmp_eq_u32_e32 vcc_lo, 5, v0
	;; [unrolled: 5-line block ×7, first 2 shown]
	v_cndmask_b32_e32 v19, v19, v17, vcc_lo
	v_cmp_eq_u32_e32 vcc_lo, 16, v0
	s_delay_alu instid0(VALU_DEP_2) | instskip(SKIP_1) | instid1(VALU_DEP_1)
	v_cndmask_b32_e32 v19, v19, v18, vcc_lo
	s_wait_dscnt 0x0
	v_mul_f32_e32 v19, v19, v20
	s_cbranch_execz .LBB80_338
	s_branch .LBB80_339
.LBB80_337:
                                        ; implicit-def: $vgpr19
.LBB80_338:
	ds_load_b32 v19, v103
.LBB80_339:
	s_mov_b32 s1, exec_lo
	v_cmpx_ne_u32_e32 9, v0
	s_cbranch_execz .LBB80_343
; %bb.340:
	v_mov_b64_e32 v[20:21], v[0:1]
	v_lshl_add_u32 v22, v0, 2, 0x54
	s_mov_b32 s2, 0
.LBB80_341:                             ; =>This Inner Loop Header: Depth=1
	s_delay_alu instid0(VALU_DEP_2)
	v_add_nc_u64_e32 v[20:21], 1, v[20:21]
	ds_load_b32 v24, v22
	v_add_nc_u32_e32 v22, 4, v22
	v_cmp_eq_u32_e32 vcc_lo, 1, v20
	v_cndmask_b32_e32 v23, v2, v3, vcc_lo
	v_cmp_eq_u32_e32 vcc_lo, 2, v20
	s_delay_alu instid0(VALU_DEP_2) | instskip(SKIP_1) | instid1(VALU_DEP_2)
	v_cndmask_b32_e32 v23, v23, v4, vcc_lo
	v_cmp_eq_u32_e32 vcc_lo, 3, v20
	v_cndmask_b32_e32 v23, v23, v5, vcc_lo
	v_cmp_eq_u32_e32 vcc_lo, 4, v20
	s_delay_alu instid0(VALU_DEP_2) | instskip(SKIP_1) | instid1(VALU_DEP_2)
	v_cndmask_b32_e32 v23, v23, v6, vcc_lo
	;; [unrolled: 5-line block ×7, first 2 shown]
	v_cmp_eq_u32_e32 vcc_lo, 15, v20
	v_cndmask_b32_e32 v23, v23, v17, vcc_lo
	v_cmp_eq_u32_e32 vcc_lo, 16, v20
	s_delay_alu instid0(VALU_DEP_2) | instskip(SKIP_2) | instid1(VALU_DEP_2)
	v_cndmask_b32_e32 v23, v23, v18, vcc_lo
	v_cmp_lt_u32_e32 vcc_lo, 8, v20
	s_wait_dscnt 0x0
	v_fmac_f32_e32 v19, v23, v24
	s_or_b32 s2, vcc_lo, s2
	s_delay_alu instid0(SALU_CYCLE_1)
	s_and_not1_b32 exec_lo, exec_lo, s2
	s_cbranch_execnz .LBB80_341
; %bb.342:
	s_or_b32 exec_lo, exec_lo, s2
.LBB80_343:
	s_delay_alu instid0(SALU_CYCLE_1)
	s_or_b32 exec_lo, exec_lo, s1
	v_mov_b32_e32 v12, 0
	ds_load_b32 v12, v12 offset:40
	s_wait_dscnt 0x0
	v_mul_f32_e32 v12, v19, v12
.LBB80_344:
	s_or_b32 exec_lo, exec_lo, s0
	s_delay_alu instid0(SALU_CYCLE_1)
	s_mov_b32 s0, exec_lo
	ds_store_b32 v103, v13
	s_wait_dscnt 0x0
	s_barrier_signal -1
	s_barrier_wait -1
	v_cmpx_gt_u32_e32 11, v0
	s_cbranch_execz .LBB80_354
; %bb.345:
	v_cmp_ne_u32_e32 vcc_lo, 1, v34
	s_cbranch_vccnz .LBB80_347
; %bb.346:
	v_cmp_eq_u32_e32 vcc_lo, 1, v0
	ds_load_b32 v20, v103
	v_cndmask_b32_e32 v19, v2, v3, vcc_lo
	v_cmp_eq_u32_e32 vcc_lo, 2, v0
	s_delay_alu instid0(VALU_DEP_2) | instskip(SKIP_1) | instid1(VALU_DEP_2)
	v_cndmask_b32_e32 v19, v19, v4, vcc_lo
	v_cmp_eq_u32_e32 vcc_lo, 3, v0
	v_cndmask_b32_e32 v19, v19, v5, vcc_lo
	v_cmp_eq_u32_e32 vcc_lo, 4, v0
	s_delay_alu instid0(VALU_DEP_2) | instskip(SKIP_1) | instid1(VALU_DEP_2)
	v_cndmask_b32_e32 v19, v19, v6, vcc_lo
	v_cmp_eq_u32_e32 vcc_lo, 5, v0
	;; [unrolled: 5-line block ×7, first 2 shown]
	v_cndmask_b32_e32 v19, v19, v17, vcc_lo
	v_cmp_eq_u32_e32 vcc_lo, 16, v0
	s_delay_alu instid0(VALU_DEP_2) | instskip(SKIP_1) | instid1(VALU_DEP_1)
	v_cndmask_b32_e32 v19, v19, v18, vcc_lo
	s_wait_dscnt 0x0
	v_mul_f32_e32 v19, v19, v20
	s_cbranch_execz .LBB80_348
	s_branch .LBB80_349
.LBB80_347:
                                        ; implicit-def: $vgpr19
.LBB80_348:
	ds_load_b32 v19, v103
.LBB80_349:
	s_mov_b32 s1, exec_lo
	v_cmpx_ne_u32_e32 10, v0
	s_cbranch_execz .LBB80_353
; %bb.350:
	v_mov_b64_e32 v[20:21], v[0:1]
	v_lshl_add_u32 v22, v0, 2, 0x54
	s_mov_b32 s2, 0
.LBB80_351:                             ; =>This Inner Loop Header: Depth=1
	s_delay_alu instid0(VALU_DEP_2)
	v_add_nc_u64_e32 v[20:21], 1, v[20:21]
	ds_load_b32 v24, v22
	v_add_nc_u32_e32 v22, 4, v22
	v_cmp_eq_u32_e32 vcc_lo, 1, v20
	v_cndmask_b32_e32 v23, v2, v3, vcc_lo
	v_cmp_eq_u32_e32 vcc_lo, 2, v20
	s_delay_alu instid0(VALU_DEP_2) | instskip(SKIP_1) | instid1(VALU_DEP_2)
	v_cndmask_b32_e32 v23, v23, v4, vcc_lo
	v_cmp_eq_u32_e32 vcc_lo, 3, v20
	v_cndmask_b32_e32 v23, v23, v5, vcc_lo
	v_cmp_eq_u32_e32 vcc_lo, 4, v20
	s_delay_alu instid0(VALU_DEP_2) | instskip(SKIP_1) | instid1(VALU_DEP_2)
	v_cndmask_b32_e32 v23, v23, v6, vcc_lo
	;; [unrolled: 5-line block ×7, first 2 shown]
	v_cmp_eq_u32_e32 vcc_lo, 15, v20
	v_cndmask_b32_e32 v23, v23, v17, vcc_lo
	v_cmp_eq_u32_e32 vcc_lo, 16, v20
	s_delay_alu instid0(VALU_DEP_2) | instskip(SKIP_2) | instid1(VALU_DEP_2)
	v_cndmask_b32_e32 v23, v23, v18, vcc_lo
	v_cmp_lt_u32_e32 vcc_lo, 9, v20
	s_wait_dscnt 0x0
	v_fmac_f32_e32 v19, v23, v24
	s_or_b32 s2, vcc_lo, s2
	s_delay_alu instid0(SALU_CYCLE_1)
	s_and_not1_b32 exec_lo, exec_lo, s2
	s_cbranch_execnz .LBB80_351
; %bb.352:
	s_or_b32 exec_lo, exec_lo, s2
.LBB80_353:
	s_delay_alu instid0(SALU_CYCLE_1)
	s_or_b32 exec_lo, exec_lo, s1
	v_mov_b32_e32 v13, 0
	ds_load_b32 v13, v13 offset:44
	s_wait_dscnt 0x0
	v_mul_f32_e32 v13, v19, v13
.LBB80_354:
	s_or_b32 exec_lo, exec_lo, s0
	s_delay_alu instid0(SALU_CYCLE_1)
	s_mov_b32 s0, exec_lo
	ds_store_b32 v103, v14
	s_wait_dscnt 0x0
	s_barrier_signal -1
	s_barrier_wait -1
	v_cmpx_gt_u32_e32 12, v0
	s_cbranch_execz .LBB80_364
; %bb.355:
	v_cmp_ne_u32_e32 vcc_lo, 1, v34
	s_cbranch_vccnz .LBB80_357
; %bb.356:
	v_cmp_eq_u32_e32 vcc_lo, 1, v0
	ds_load_b32 v20, v103
	v_cndmask_b32_e32 v19, v2, v3, vcc_lo
	v_cmp_eq_u32_e32 vcc_lo, 2, v0
	s_delay_alu instid0(VALU_DEP_2) | instskip(SKIP_1) | instid1(VALU_DEP_2)
	v_cndmask_b32_e32 v19, v19, v4, vcc_lo
	v_cmp_eq_u32_e32 vcc_lo, 3, v0
	v_cndmask_b32_e32 v19, v19, v5, vcc_lo
	v_cmp_eq_u32_e32 vcc_lo, 4, v0
	s_delay_alu instid0(VALU_DEP_2) | instskip(SKIP_1) | instid1(VALU_DEP_2)
	v_cndmask_b32_e32 v19, v19, v6, vcc_lo
	v_cmp_eq_u32_e32 vcc_lo, 5, v0
	;; [unrolled: 5-line block ×7, first 2 shown]
	v_cndmask_b32_e32 v19, v19, v17, vcc_lo
	v_cmp_eq_u32_e32 vcc_lo, 16, v0
	s_delay_alu instid0(VALU_DEP_2) | instskip(SKIP_1) | instid1(VALU_DEP_1)
	v_cndmask_b32_e32 v19, v19, v18, vcc_lo
	s_wait_dscnt 0x0
	v_mul_f32_e32 v19, v19, v20
	s_cbranch_execz .LBB80_358
	s_branch .LBB80_359
.LBB80_357:
                                        ; implicit-def: $vgpr19
.LBB80_358:
	ds_load_b32 v19, v103
.LBB80_359:
	s_mov_b32 s1, exec_lo
	v_cmpx_ne_u32_e32 11, v0
	s_cbranch_execz .LBB80_363
; %bb.360:
	v_mov_b64_e32 v[20:21], v[0:1]
	v_lshl_add_u32 v22, v0, 2, 0x54
	s_mov_b32 s2, 0
.LBB80_361:                             ; =>This Inner Loop Header: Depth=1
	s_delay_alu instid0(VALU_DEP_2)
	v_add_nc_u64_e32 v[20:21], 1, v[20:21]
	ds_load_b32 v24, v22
	v_add_nc_u32_e32 v22, 4, v22
	v_cmp_eq_u32_e32 vcc_lo, 1, v20
	v_cndmask_b32_e32 v23, v2, v3, vcc_lo
	v_cmp_eq_u32_e32 vcc_lo, 2, v20
	s_delay_alu instid0(VALU_DEP_2) | instskip(SKIP_1) | instid1(VALU_DEP_2)
	v_cndmask_b32_e32 v23, v23, v4, vcc_lo
	v_cmp_eq_u32_e32 vcc_lo, 3, v20
	v_cndmask_b32_e32 v23, v23, v5, vcc_lo
	v_cmp_eq_u32_e32 vcc_lo, 4, v20
	s_delay_alu instid0(VALU_DEP_2) | instskip(SKIP_1) | instid1(VALU_DEP_2)
	v_cndmask_b32_e32 v23, v23, v6, vcc_lo
	;; [unrolled: 5-line block ×7, first 2 shown]
	v_cmp_eq_u32_e32 vcc_lo, 15, v20
	v_cndmask_b32_e32 v23, v23, v17, vcc_lo
	v_cmp_eq_u32_e32 vcc_lo, 16, v20
	s_delay_alu instid0(VALU_DEP_2) | instskip(SKIP_2) | instid1(VALU_DEP_2)
	v_cndmask_b32_e32 v23, v23, v18, vcc_lo
	v_cmp_lt_u32_e32 vcc_lo, 10, v20
	s_wait_dscnt 0x0
	v_fmac_f32_e32 v19, v23, v24
	s_or_b32 s2, vcc_lo, s2
	s_delay_alu instid0(SALU_CYCLE_1)
	s_and_not1_b32 exec_lo, exec_lo, s2
	s_cbranch_execnz .LBB80_361
; %bb.362:
	s_or_b32 exec_lo, exec_lo, s2
.LBB80_363:
	s_delay_alu instid0(SALU_CYCLE_1)
	s_or_b32 exec_lo, exec_lo, s1
	v_mov_b32_e32 v14, 0
	ds_load_b32 v14, v14 offset:48
	s_wait_dscnt 0x0
	v_mul_f32_e32 v14, v19, v14
.LBB80_364:
	s_or_b32 exec_lo, exec_lo, s0
	s_delay_alu instid0(SALU_CYCLE_1)
	s_mov_b32 s0, exec_lo
	ds_store_b32 v103, v15
	s_wait_dscnt 0x0
	s_barrier_signal -1
	s_barrier_wait -1
	v_cmpx_gt_u32_e32 13, v0
	s_cbranch_execz .LBB80_374
; %bb.365:
	v_cmp_ne_u32_e32 vcc_lo, 1, v34
	s_cbranch_vccnz .LBB80_367
; %bb.366:
	v_cmp_eq_u32_e32 vcc_lo, 1, v0
	ds_load_b32 v20, v103
	v_cndmask_b32_e32 v19, v2, v3, vcc_lo
	v_cmp_eq_u32_e32 vcc_lo, 2, v0
	s_delay_alu instid0(VALU_DEP_2) | instskip(SKIP_1) | instid1(VALU_DEP_2)
	v_cndmask_b32_e32 v19, v19, v4, vcc_lo
	v_cmp_eq_u32_e32 vcc_lo, 3, v0
	v_cndmask_b32_e32 v19, v19, v5, vcc_lo
	v_cmp_eq_u32_e32 vcc_lo, 4, v0
	s_delay_alu instid0(VALU_DEP_2) | instskip(SKIP_1) | instid1(VALU_DEP_2)
	v_cndmask_b32_e32 v19, v19, v6, vcc_lo
	v_cmp_eq_u32_e32 vcc_lo, 5, v0
	;; [unrolled: 5-line block ×7, first 2 shown]
	v_cndmask_b32_e32 v19, v19, v17, vcc_lo
	v_cmp_eq_u32_e32 vcc_lo, 16, v0
	s_delay_alu instid0(VALU_DEP_2) | instskip(SKIP_1) | instid1(VALU_DEP_1)
	v_cndmask_b32_e32 v19, v19, v18, vcc_lo
	s_wait_dscnt 0x0
	v_mul_f32_e32 v19, v19, v20
	s_cbranch_execz .LBB80_368
	s_branch .LBB80_369
.LBB80_367:
                                        ; implicit-def: $vgpr19
.LBB80_368:
	ds_load_b32 v19, v103
.LBB80_369:
	s_mov_b32 s1, exec_lo
	v_cmpx_ne_u32_e32 12, v0
	s_cbranch_execz .LBB80_373
; %bb.370:
	v_mov_b64_e32 v[20:21], v[0:1]
	v_lshl_add_u32 v22, v0, 2, 0x54
	s_mov_b32 s2, 0
.LBB80_371:                             ; =>This Inner Loop Header: Depth=1
	s_delay_alu instid0(VALU_DEP_2)
	v_add_nc_u64_e32 v[20:21], 1, v[20:21]
	ds_load_b32 v24, v22
	v_add_nc_u32_e32 v22, 4, v22
	v_cmp_eq_u32_e32 vcc_lo, 1, v20
	v_cndmask_b32_e32 v23, v2, v3, vcc_lo
	v_cmp_eq_u32_e32 vcc_lo, 2, v20
	s_delay_alu instid0(VALU_DEP_2) | instskip(SKIP_1) | instid1(VALU_DEP_2)
	v_cndmask_b32_e32 v23, v23, v4, vcc_lo
	v_cmp_eq_u32_e32 vcc_lo, 3, v20
	v_cndmask_b32_e32 v23, v23, v5, vcc_lo
	v_cmp_eq_u32_e32 vcc_lo, 4, v20
	s_delay_alu instid0(VALU_DEP_2) | instskip(SKIP_1) | instid1(VALU_DEP_2)
	v_cndmask_b32_e32 v23, v23, v6, vcc_lo
	;; [unrolled: 5-line block ×7, first 2 shown]
	v_cmp_eq_u32_e32 vcc_lo, 15, v20
	v_cndmask_b32_e32 v23, v23, v17, vcc_lo
	v_cmp_eq_u32_e32 vcc_lo, 16, v20
	s_delay_alu instid0(VALU_DEP_2) | instskip(SKIP_2) | instid1(VALU_DEP_2)
	v_cndmask_b32_e32 v23, v23, v18, vcc_lo
	v_cmp_lt_u32_e32 vcc_lo, 11, v20
	s_wait_dscnt 0x0
	v_fmac_f32_e32 v19, v23, v24
	s_or_b32 s2, vcc_lo, s2
	s_delay_alu instid0(SALU_CYCLE_1)
	s_and_not1_b32 exec_lo, exec_lo, s2
	s_cbranch_execnz .LBB80_371
; %bb.372:
	s_or_b32 exec_lo, exec_lo, s2
.LBB80_373:
	s_delay_alu instid0(SALU_CYCLE_1)
	s_or_b32 exec_lo, exec_lo, s1
	v_mov_b32_e32 v15, 0
	ds_load_b32 v15, v15 offset:52
	s_wait_dscnt 0x0
	v_mul_f32_e32 v15, v19, v15
.LBB80_374:
	s_or_b32 exec_lo, exec_lo, s0
	s_delay_alu instid0(SALU_CYCLE_1)
	s_mov_b32 s0, exec_lo
	ds_store_b32 v103, v16
	s_wait_dscnt 0x0
	s_barrier_signal -1
	s_barrier_wait -1
	v_cmpx_gt_u32_e32 14, v0
	s_cbranch_execz .LBB80_384
; %bb.375:
	v_cmp_ne_u32_e32 vcc_lo, 1, v34
	s_cbranch_vccnz .LBB80_377
; %bb.376:
	v_cmp_eq_u32_e32 vcc_lo, 1, v0
	ds_load_b32 v20, v103
	v_cndmask_b32_e32 v19, v2, v3, vcc_lo
	v_cmp_eq_u32_e32 vcc_lo, 2, v0
	s_delay_alu instid0(VALU_DEP_2) | instskip(SKIP_1) | instid1(VALU_DEP_2)
	v_cndmask_b32_e32 v19, v19, v4, vcc_lo
	v_cmp_eq_u32_e32 vcc_lo, 3, v0
	v_cndmask_b32_e32 v19, v19, v5, vcc_lo
	v_cmp_eq_u32_e32 vcc_lo, 4, v0
	s_delay_alu instid0(VALU_DEP_2) | instskip(SKIP_1) | instid1(VALU_DEP_2)
	v_cndmask_b32_e32 v19, v19, v6, vcc_lo
	v_cmp_eq_u32_e32 vcc_lo, 5, v0
	;; [unrolled: 5-line block ×7, first 2 shown]
	v_cndmask_b32_e32 v19, v19, v17, vcc_lo
	v_cmp_eq_u32_e32 vcc_lo, 16, v0
	s_delay_alu instid0(VALU_DEP_2) | instskip(SKIP_1) | instid1(VALU_DEP_1)
	v_cndmask_b32_e32 v19, v19, v18, vcc_lo
	s_wait_dscnt 0x0
	v_mul_f32_e32 v19, v19, v20
	s_cbranch_execz .LBB80_378
	s_branch .LBB80_379
.LBB80_377:
                                        ; implicit-def: $vgpr19
.LBB80_378:
	ds_load_b32 v19, v103
.LBB80_379:
	s_mov_b32 s1, exec_lo
	v_cmpx_ne_u32_e32 13, v0
	s_cbranch_execz .LBB80_383
; %bb.380:
	v_mov_b64_e32 v[20:21], v[0:1]
	v_lshl_add_u32 v22, v0, 2, 0x54
	s_mov_b32 s2, 0
.LBB80_381:                             ; =>This Inner Loop Header: Depth=1
	s_delay_alu instid0(VALU_DEP_2)
	v_add_nc_u64_e32 v[20:21], 1, v[20:21]
	ds_load_b32 v24, v22
	v_add_nc_u32_e32 v22, 4, v22
	v_cmp_eq_u32_e32 vcc_lo, 1, v20
	v_cndmask_b32_e32 v23, v2, v3, vcc_lo
	v_cmp_eq_u32_e32 vcc_lo, 2, v20
	s_delay_alu instid0(VALU_DEP_2) | instskip(SKIP_1) | instid1(VALU_DEP_2)
	v_cndmask_b32_e32 v23, v23, v4, vcc_lo
	v_cmp_eq_u32_e32 vcc_lo, 3, v20
	v_cndmask_b32_e32 v23, v23, v5, vcc_lo
	v_cmp_eq_u32_e32 vcc_lo, 4, v20
	s_delay_alu instid0(VALU_DEP_2) | instskip(SKIP_1) | instid1(VALU_DEP_2)
	v_cndmask_b32_e32 v23, v23, v6, vcc_lo
	;; [unrolled: 5-line block ×7, first 2 shown]
	v_cmp_eq_u32_e32 vcc_lo, 15, v20
	v_cndmask_b32_e32 v23, v23, v17, vcc_lo
	v_cmp_eq_u32_e32 vcc_lo, 16, v20
	s_delay_alu instid0(VALU_DEP_2) | instskip(SKIP_2) | instid1(VALU_DEP_2)
	v_cndmask_b32_e32 v23, v23, v18, vcc_lo
	v_cmp_lt_u32_e32 vcc_lo, 12, v20
	s_wait_dscnt 0x0
	v_fmac_f32_e32 v19, v23, v24
	s_or_b32 s2, vcc_lo, s2
	s_delay_alu instid0(SALU_CYCLE_1)
	s_and_not1_b32 exec_lo, exec_lo, s2
	s_cbranch_execnz .LBB80_381
; %bb.382:
	s_or_b32 exec_lo, exec_lo, s2
.LBB80_383:
	s_delay_alu instid0(SALU_CYCLE_1)
	s_or_b32 exec_lo, exec_lo, s1
	v_mov_b32_e32 v16, 0
	ds_load_b32 v16, v16 offset:56
	s_wait_dscnt 0x0
	v_mul_f32_e32 v16, v19, v16
.LBB80_384:
	s_or_b32 exec_lo, exec_lo, s0
	v_cmp_gt_u32_e64 s0, 15, v0
	ds_store_b32 v103, v17
	s_wait_dscnt 0x0
	s_barrier_signal -1
	s_barrier_wait -1
	s_and_saveexec_b32 s1, s0
	s_cbranch_execz .LBB80_394
; %bb.385:
	v_cmp_ne_u32_e32 vcc_lo, 1, v34
	s_cbranch_vccnz .LBB80_387
; %bb.386:
	v_cmp_eq_u32_e32 vcc_lo, 1, v0
	ds_load_b32 v20, v103
	v_cndmask_b32_e32 v19, v2, v3, vcc_lo
	v_cmp_eq_u32_e32 vcc_lo, 2, v0
	s_delay_alu instid0(VALU_DEP_2) | instskip(SKIP_1) | instid1(VALU_DEP_2)
	v_cndmask_b32_e32 v19, v19, v4, vcc_lo
	v_cmp_eq_u32_e32 vcc_lo, 3, v0
	v_cndmask_b32_e32 v19, v19, v5, vcc_lo
	v_cmp_eq_u32_e32 vcc_lo, 4, v0
	s_delay_alu instid0(VALU_DEP_2) | instskip(SKIP_1) | instid1(VALU_DEP_2)
	v_cndmask_b32_e32 v19, v19, v6, vcc_lo
	v_cmp_eq_u32_e32 vcc_lo, 5, v0
	;; [unrolled: 5-line block ×7, first 2 shown]
	v_cndmask_b32_e32 v19, v19, v17, vcc_lo
	v_cmp_eq_u32_e32 vcc_lo, 16, v0
	s_delay_alu instid0(VALU_DEP_2) | instskip(SKIP_1) | instid1(VALU_DEP_1)
	v_cndmask_b32_e32 v19, v19, v18, vcc_lo
	s_wait_dscnt 0x0
	v_mul_f32_e32 v19, v19, v20
	s_cbranch_execz .LBB80_388
	s_branch .LBB80_389
.LBB80_387:
                                        ; implicit-def: $vgpr19
.LBB80_388:
	ds_load_b32 v19, v103
.LBB80_389:
	s_mov_b32 s2, exec_lo
	v_cmpx_ne_u32_e32 14, v0
	s_cbranch_execz .LBB80_393
; %bb.390:
	v_mov_b64_e32 v[20:21], v[0:1]
	v_lshl_add_u32 v22, v0, 2, 0x54
	s_mov_b32 s3, 0
.LBB80_391:                             ; =>This Inner Loop Header: Depth=1
	s_delay_alu instid0(VALU_DEP_2)
	v_add_nc_u64_e32 v[20:21], 1, v[20:21]
	ds_load_b32 v24, v22
	v_add_nc_u32_e32 v22, 4, v22
	v_cmp_eq_u32_e32 vcc_lo, 1, v20
	v_cndmask_b32_e32 v23, v2, v3, vcc_lo
	v_cmp_eq_u32_e32 vcc_lo, 2, v20
	s_delay_alu instid0(VALU_DEP_2) | instskip(SKIP_1) | instid1(VALU_DEP_2)
	v_cndmask_b32_e32 v23, v23, v4, vcc_lo
	v_cmp_eq_u32_e32 vcc_lo, 3, v20
	v_cndmask_b32_e32 v23, v23, v5, vcc_lo
	v_cmp_eq_u32_e32 vcc_lo, 4, v20
	s_delay_alu instid0(VALU_DEP_2) | instskip(SKIP_1) | instid1(VALU_DEP_2)
	v_cndmask_b32_e32 v23, v23, v6, vcc_lo
	;; [unrolled: 5-line block ×7, first 2 shown]
	v_cmp_eq_u32_e32 vcc_lo, 15, v20
	v_cndmask_b32_e32 v23, v23, v17, vcc_lo
	v_cmp_eq_u32_e32 vcc_lo, 16, v20
	s_delay_alu instid0(VALU_DEP_2) | instskip(SKIP_2) | instid1(VALU_DEP_2)
	v_cndmask_b32_e32 v23, v23, v18, vcc_lo
	v_cmp_lt_u32_e32 vcc_lo, 13, v20
	s_wait_dscnt 0x0
	v_fmac_f32_e32 v19, v23, v24
	s_or_b32 s3, vcc_lo, s3
	s_delay_alu instid0(SALU_CYCLE_1)
	s_and_not1_b32 exec_lo, exec_lo, s3
	s_cbranch_execnz .LBB80_391
; %bb.392:
	s_or_b32 exec_lo, exec_lo, s3
.LBB80_393:
	s_delay_alu instid0(SALU_CYCLE_1)
	s_or_b32 exec_lo, exec_lo, s2
	v_mov_b32_e32 v17, 0
	ds_load_b32 v17, v17 offset:60
	s_wait_dscnt 0x0
	v_mul_f32_e32 v17, v19, v17
.LBB80_394:
	s_or_b32 exec_lo, exec_lo, s1
	s_delay_alu instid0(SALU_CYCLE_1)
	s_mov_b32 s1, exec_lo
	ds_store_b32 v103, v18
	s_wait_dscnt 0x0
	s_barrier_signal -1
	s_barrier_wait -1
	v_cmpx_ne_u32_e32 16, v0
	s_cbranch_execz .LBB80_404
; %bb.395:
	v_cmp_ne_u32_e32 vcc_lo, 1, v34
	s_cbranch_vccnz .LBB80_397
; %bb.396:
	v_cmp_eq_u32_e32 vcc_lo, 1, v0
	ds_load_b32 v20, v103
	v_cndmask_b32_e32 v19, v2, v3, vcc_lo
	v_cmp_eq_u32_e32 vcc_lo, 2, v0
	s_delay_alu instid0(VALU_DEP_2) | instskip(SKIP_1) | instid1(VALU_DEP_2)
	v_cndmask_b32_e32 v19, v19, v4, vcc_lo
	v_cmp_eq_u32_e32 vcc_lo, 3, v0
	v_cndmask_b32_e32 v19, v19, v5, vcc_lo
	v_cmp_eq_u32_e32 vcc_lo, 4, v0
	s_delay_alu instid0(VALU_DEP_2) | instskip(SKIP_1) | instid1(VALU_DEP_2)
	v_cndmask_b32_e32 v19, v19, v6, vcc_lo
	v_cmp_eq_u32_e32 vcc_lo, 5, v0
	;; [unrolled: 5-line block ×7, first 2 shown]
	v_cndmask_b32_e32 v19, v19, v17, vcc_lo
	v_cmp_eq_u32_e32 vcc_lo, 16, v0
	s_delay_alu instid0(VALU_DEP_2) | instskip(SKIP_1) | instid1(VALU_DEP_1)
	v_cndmask_b32_e32 v19, v19, v18, vcc_lo
	s_wait_dscnt 0x0
	v_mul_f32_e32 v19, v19, v20
	s_cbranch_execz .LBB80_398
	s_branch .LBB80_399
.LBB80_397:
                                        ; implicit-def: $vgpr19
.LBB80_398:
	ds_load_b32 v19, v103
.LBB80_399:
	s_and_saveexec_b32 s2, s0
	s_cbranch_execz .LBB80_403
; %bb.400:
	v_lshl_add_u32 v20, v0, 2, 0x54
	s_mov_b32 s0, 0
.LBB80_401:                             ; =>This Inner Loop Header: Depth=1
	v_add_nc_u64_e32 v[0:1], 1, v[0:1]
	ds_load_b32 v22, v20
	v_add_nc_u32_e32 v20, 4, v20
	v_cmp_eq_u32_e32 vcc_lo, 1, v0
	v_cndmask_b32_e32 v21, v2, v3, vcc_lo
	v_cmp_eq_u32_e32 vcc_lo, 2, v0
	s_delay_alu instid0(VALU_DEP_2) | instskip(SKIP_1) | instid1(VALU_DEP_2)
	v_cndmask_b32_e32 v21, v21, v4, vcc_lo
	v_cmp_eq_u32_e32 vcc_lo, 3, v0
	v_cndmask_b32_e32 v21, v21, v5, vcc_lo
	v_cmp_eq_u32_e32 vcc_lo, 4, v0
	s_delay_alu instid0(VALU_DEP_2) | instskip(SKIP_1) | instid1(VALU_DEP_2)
	v_cndmask_b32_e32 v21, v21, v6, vcc_lo
	;; [unrolled: 5-line block ×7, first 2 shown]
	v_cmp_eq_u32_e32 vcc_lo, 15, v0
	v_cndmask_b32_e32 v21, v21, v17, vcc_lo
	v_cmp_eq_u32_e32 vcc_lo, 16, v0
	s_delay_alu instid0(VALU_DEP_2) | instskip(SKIP_2) | instid1(VALU_DEP_2)
	v_cndmask_b32_e32 v21, v21, v18, vcc_lo
	v_cmp_lt_u32_e32 vcc_lo, 14, v0
	s_wait_dscnt 0x0
	v_fmac_f32_e32 v19, v21, v22
	s_or_b32 s0, vcc_lo, s0
	s_delay_alu instid0(SALU_CYCLE_1)
	s_and_not1_b32 exec_lo, exec_lo, s0
	s_cbranch_execnz .LBB80_401
; %bb.402:
	s_or_b32 exec_lo, exec_lo, s0
.LBB80_403:
	s_delay_alu instid0(SALU_CYCLE_1)
	s_or_b32 exec_lo, exec_lo, s2
	v_mov_b32_e32 v0, 0
	ds_load_b32 v0, v0 offset:64
	s_wait_dscnt 0x0
	v_mul_f32_e32 v18, v19, v0
.LBB80_404:
	s_or_b32 exec_lo, exec_lo, s1
	v_mov_b64_e32 v[64:65], v[32:33]
	s_delay_alu instid0(VALU_DEP_2)
	v_mov_b64_e32 v[50:51], v[18:19]
	v_mov_b64_e32 v[48:49], v[16:17]
	v_mov_b64_e32 v[46:47], v[14:15]
	v_mov_b64_e32 v[44:45], v[12:13]
	v_mov_b64_e32 v[42:43], v[10:11]
	v_mov_b64_e32 v[40:41], v[8:9]
	v_mov_b64_e32 v[38:39], v[6:7]
	v_mov_b64_e32 v[36:37], v[4:5]
	v_mov_b64_e32 v[34:35], v[2:3]
	v_mov_b64_e32 v[62:63], v[30:31]
	v_mov_b64_e32 v[60:61], v[28:29]
	v_mov_b64_e32 v[58:59], v[26:27]
	v_mov_b64_e32 v[56:57], v[24:25]
	v_mov_b64_e32 v[54:55], v[22:23]
	v_mov_b64_e32 v[52:53], v[20:21]
.LBB80_405:
	s_wait_xcnt 0x10
	v_lshl_add_u64 v[0:1], v[66:67], 2, s[18:19]
	s_wait_loadcnt_dscnt 0xf10
	v_lshl_add_u64 v[2:3], v[68:69], 2, s[18:19]
	s_wait_loadcnt_dscnt 0xd0e
	;; [unrolled: 2-line block ×9, first 2 shown]
	v_lshl_add_u64 v[18:19], v[84:85], 2, s[18:19]
	v_lshl_add_u64 v[20:21], v[88:89], 2, s[18:19]
	;; [unrolled: 1-line block ×6, first 2 shown]
	s_clause 0x10
	flat_store_b32 v[86:87], v34
	flat_store_b32 v[90:91], v35
	;; [unrolled: 1-line block ×17, first 2 shown]
.LBB80_406:
	s_sendmsg sendmsg(MSG_DEALLOC_VGPRS)
	s_endpgm
	.section	.rodata,"a",@progbits
	.p2align	6, 0x0
	.amdhsa_kernel _ZN9rocsolver6v33100L18trti2_kernel_smallILi17EfPKPfEEv13rocblas_fill_17rocblas_diagonal_T1_iil
		.amdhsa_group_segment_fixed_size 148
		.amdhsa_private_segment_fixed_size 0
		.amdhsa_kernarg_size 32
		.amdhsa_user_sgpr_count 2
		.amdhsa_user_sgpr_dispatch_ptr 0
		.amdhsa_user_sgpr_queue_ptr 0
		.amdhsa_user_sgpr_kernarg_segment_ptr 1
		.amdhsa_user_sgpr_dispatch_id 0
		.amdhsa_user_sgpr_kernarg_preload_length 0
		.amdhsa_user_sgpr_kernarg_preload_offset 0
		.amdhsa_user_sgpr_private_segment_size 0
		.amdhsa_wavefront_size32 1
		.amdhsa_uses_dynamic_stack 0
		.amdhsa_enable_private_segment 0
		.amdhsa_system_sgpr_workgroup_id_x 1
		.amdhsa_system_sgpr_workgroup_id_y 0
		.amdhsa_system_sgpr_workgroup_id_z 0
		.amdhsa_system_sgpr_workgroup_info 0
		.amdhsa_system_vgpr_workitem_id 0
		.amdhsa_next_free_vgpr 115
		.amdhsa_next_free_sgpr 24
		.amdhsa_named_barrier_count 0
		.amdhsa_reserve_vcc 1
		.amdhsa_float_round_mode_32 0
		.amdhsa_float_round_mode_16_64 0
		.amdhsa_float_denorm_mode_32 3
		.amdhsa_float_denorm_mode_16_64 3
		.amdhsa_fp16_overflow 0
		.amdhsa_memory_ordered 1
		.amdhsa_forward_progress 1
		.amdhsa_inst_pref_size 175
		.amdhsa_round_robin_scheduling 0
		.amdhsa_exception_fp_ieee_invalid_op 0
		.amdhsa_exception_fp_denorm_src 0
		.amdhsa_exception_fp_ieee_div_zero 0
		.amdhsa_exception_fp_ieee_overflow 0
		.amdhsa_exception_fp_ieee_underflow 0
		.amdhsa_exception_fp_ieee_inexact 0
		.amdhsa_exception_int_div_zero 0
	.end_amdhsa_kernel
	.section	.text._ZN9rocsolver6v33100L18trti2_kernel_smallILi17EfPKPfEEv13rocblas_fill_17rocblas_diagonal_T1_iil,"axG",@progbits,_ZN9rocsolver6v33100L18trti2_kernel_smallILi17EfPKPfEEv13rocblas_fill_17rocblas_diagonal_T1_iil,comdat
.Lfunc_end80:
	.size	_ZN9rocsolver6v33100L18trti2_kernel_smallILi17EfPKPfEEv13rocblas_fill_17rocblas_diagonal_T1_iil, .Lfunc_end80-_ZN9rocsolver6v33100L18trti2_kernel_smallILi17EfPKPfEEv13rocblas_fill_17rocblas_diagonal_T1_iil
                                        ; -- End function
	.set _ZN9rocsolver6v33100L18trti2_kernel_smallILi17EfPKPfEEv13rocblas_fill_17rocblas_diagonal_T1_iil.num_vgpr, 115
	.set _ZN9rocsolver6v33100L18trti2_kernel_smallILi17EfPKPfEEv13rocblas_fill_17rocblas_diagonal_T1_iil.num_agpr, 0
	.set _ZN9rocsolver6v33100L18trti2_kernel_smallILi17EfPKPfEEv13rocblas_fill_17rocblas_diagonal_T1_iil.numbered_sgpr, 24
	.set _ZN9rocsolver6v33100L18trti2_kernel_smallILi17EfPKPfEEv13rocblas_fill_17rocblas_diagonal_T1_iil.num_named_barrier, 0
	.set _ZN9rocsolver6v33100L18trti2_kernel_smallILi17EfPKPfEEv13rocblas_fill_17rocblas_diagonal_T1_iil.private_seg_size, 0
	.set _ZN9rocsolver6v33100L18trti2_kernel_smallILi17EfPKPfEEv13rocblas_fill_17rocblas_diagonal_T1_iil.uses_vcc, 1
	.set _ZN9rocsolver6v33100L18trti2_kernel_smallILi17EfPKPfEEv13rocblas_fill_17rocblas_diagonal_T1_iil.uses_flat_scratch, 1
	.set _ZN9rocsolver6v33100L18trti2_kernel_smallILi17EfPKPfEEv13rocblas_fill_17rocblas_diagonal_T1_iil.has_dyn_sized_stack, 0
	.set _ZN9rocsolver6v33100L18trti2_kernel_smallILi17EfPKPfEEv13rocblas_fill_17rocblas_diagonal_T1_iil.has_recursion, 0
	.set _ZN9rocsolver6v33100L18trti2_kernel_smallILi17EfPKPfEEv13rocblas_fill_17rocblas_diagonal_T1_iil.has_indirect_call, 0
	.section	.AMDGPU.csdata,"",@progbits
; Kernel info:
; codeLenInByte = 22276
; TotalNumSgprs: 26
; NumVgprs: 115
; ScratchSize: 0
; MemoryBound: 0
; FloatMode: 240
; IeeeMode: 1
; LDSByteSize: 148 bytes/workgroup (compile time only)
; SGPRBlocks: 0
; VGPRBlocks: 7
; NumSGPRsForWavesPerEU: 26
; NumVGPRsForWavesPerEU: 115
; NamedBarCnt: 0
; Occupancy: 8
; WaveLimiterHint : 1
; COMPUTE_PGM_RSRC2:SCRATCH_EN: 0
; COMPUTE_PGM_RSRC2:USER_SGPR: 2
; COMPUTE_PGM_RSRC2:TRAP_HANDLER: 0
; COMPUTE_PGM_RSRC2:TGID_X_EN: 1
; COMPUTE_PGM_RSRC2:TGID_Y_EN: 0
; COMPUTE_PGM_RSRC2:TGID_Z_EN: 0
; COMPUTE_PGM_RSRC2:TIDIG_COMP_CNT: 0
	.section	.text._ZN9rocsolver6v33100L18trti2_kernel_smallILi18EfPKPfEEv13rocblas_fill_17rocblas_diagonal_T1_iil,"axG",@progbits,_ZN9rocsolver6v33100L18trti2_kernel_smallILi18EfPKPfEEv13rocblas_fill_17rocblas_diagonal_T1_iil,comdat
	.globl	_ZN9rocsolver6v33100L18trti2_kernel_smallILi18EfPKPfEEv13rocblas_fill_17rocblas_diagonal_T1_iil ; -- Begin function _ZN9rocsolver6v33100L18trti2_kernel_smallILi18EfPKPfEEv13rocblas_fill_17rocblas_diagonal_T1_iil
	.p2align	8
	.type	_ZN9rocsolver6v33100L18trti2_kernel_smallILi18EfPKPfEEv13rocblas_fill_17rocblas_diagonal_T1_iil,@function
_ZN9rocsolver6v33100L18trti2_kernel_smallILi18EfPKPfEEv13rocblas_fill_17rocblas_diagonal_T1_iil: ; @_ZN9rocsolver6v33100L18trti2_kernel_smallILi18EfPKPfEEv13rocblas_fill_17rocblas_diagonal_T1_iil
; %bb.0:
	s_mov_b32 s2, exec_lo
	v_cmpx_gt_u32_e32 18, v0
	s_cbranch_execz .LBB81_432
; %bb.1:
	s_clause 0x1
	s_load_b64 s[2:3], s[0:1], 0x10
	s_load_b128 s[20:23], s[0:1], 0x0
	s_wait_xcnt 0x0
	s_bfe_u32 s0, ttmp6, 0x4000c
	s_and_b32 s1, ttmp6, 15
	s_add_co_i32 s0, s0, 1
	s_getreg_b32 s4, hwreg(HW_REG_IB_STS2, 6, 4)
	s_mul_i32 s0, ttmp9, s0
	v_mov_b32_e32 v1, 0
	s_add_co_i32 s0, s1, s0
	s_delay_alu instid0(VALU_DEP_1)
	v_dual_mov_b32 v35, v1 :: v_dual_lshlrev_b32 v34, 2, v0
	s_wait_kmcnt 0x0
	v_add3_u32 v66, s3, s3, v0
	s_ashr_i32 s1, s2, 31
	s_cmp_eq_u32 s4, 0
	s_cselect_b32 s4, ttmp9, s0
	s_delay_alu instid0(VALU_DEP_1)
	v_add_nc_u32_e32 v68, s3, v66
	s_ashr_i32 s5, s4, 31
	s_mov_b32 s0, s2
	s_lshl_b64 s[4:5], s[4:5], 3
	s_lshl_b64 s[0:1], s[0:1], 2
	v_add_nc_u32_e32 v70, s3, v68
	s_add_nc_u64 s[4:5], s[22:23], s[4:5]
	s_load_b64 s[4:5], s[4:5], 0x0
	s_delay_alu instid0(VALU_DEP_1) | instskip(NEXT) | instid1(VALU_DEP_1)
	v_add_nc_u32_e32 v72, s3, v70
	v_add_nc_u32_e32 v74, s3, v72
	s_delay_alu instid0(VALU_DEP_1) | instskip(NEXT) | instid1(VALU_DEP_1)
	v_add_nc_u32_e32 v76, s3, v74
	v_add_nc_u32_e32 v78, s3, v76
	s_wait_kmcnt 0x0
	s_add_nc_u64 s[18:19], s[4:5], s[0:1]
	s_mov_b32 s0, s3
	s_delay_alu instid0(VALU_DEP_1)
	v_add_nc_u32_e32 v80, s3, v78
	s_ashr_i32 s1, s3, 31
	s_cmp_lg_u32 s21, 0x84
	v_add_nc_u64_e32 v[86:87], s[18:19], v[34:35]
	s_cselect_b32 s22, -1, 0
	v_add_nc_u32_e32 v82, s3, v80
	s_cmp_eq_u32 s21, 0x84
	s_delay_alu instid0(VALU_DEP_1) | instskip(NEXT) | instid1(VALU_DEP_3)
	v_dual_mov_b32 v35, -1.0 :: v_dual_add_nc_u32 v84, s3, v82
	v_lshl_add_u64 v[92:93], s[0:1], 2, v[86:87]
	s_clause 0x7
	flat_load_b32 v3, v[92:93]
	flat_load_b32 v4, v66, s[18:19] scale_offset
	flat_load_b32 v5, v68, s[18:19] scale_offset
	;; [unrolled: 1-line block ×7, first 2 shown]
	v_add_nc_u32_e32 v88, s3, v84
	v_cmp_eq_u32_e64 s0, 0, v0
	s_delay_alu instid0(VALU_DEP_2) | instskip(NEXT) | instid1(VALU_DEP_1)
	v_add_nc_u32_e32 v90, s3, v88
	v_add_nc_u32_e32 v94, s3, v90
	s_delay_alu instid0(VALU_DEP_1) | instskip(NEXT) | instid1(VALU_DEP_1)
	v_add_nc_u32_e32 v96, s3, v94
	v_add_nc_u32_e32 v98, s3, v96
	s_delay_alu instid0(VALU_DEP_1)
	v_add_nc_u32_e32 v100, s3, v98
	s_clause 0x9
	flat_load_b32 v11, v80, s[18:19] scale_offset
	flat_load_b32 v12, v82, s[18:19] scale_offset
	flat_load_b32 v13, v84, s[18:19] scale_offset
	flat_load_b32 v14, v88, s[18:19] scale_offset
	flat_load_b32 v15, v90, s[18:19] scale_offset
	flat_load_b32 v16, v94, s[18:19] scale_offset
	flat_load_b32 v17, v96, s[18:19] scale_offset
	flat_load_b32 v18, v98, s[18:19] scale_offset
	flat_load_b32 v2, v0, s[18:19] scale_offset
	flat_load_b32 v19, v100, s[18:19] scale_offset
	s_cbranch_scc1 .LBB81_3
; %bb.2:
	v_cmp_eq_u32_e64 s1, 1, v0
	v_cmp_eq_u32_e64 s2, 2, v0
	;; [unrolled: 1-line block ×5, first 2 shown]
	s_wait_loadcnt_dscnt 0x101
	v_cndmask_b32_e64 v20, v2, v3, s1
	v_cmp_eq_u32_e64 s6, 6, v0
	v_cmp_eq_u32_e64 s7, 7, v0
	v_cmp_eq_u32_e64 s8, 8, v0
	v_cmp_eq_u32_e64 s9, 9, v0
	v_cndmask_b32_e64 v20, v20, v4, s2
	v_cmp_eq_u32_e64 s10, 10, v0
	v_cmp_eq_u32_e64 s11, 11, v0
	v_cmp_eq_u32_e64 s12, 12, v0
	v_cmp_eq_u32_e64 s13, 13, v0
	;; [unrolled: 5-line block ×3, first 2 shown]
	v_cndmask_b32_e64 v20, v20, v6, s4
	s_delay_alu instid0(VALU_DEP_1) | instskip(NEXT) | instid1(VALU_DEP_1)
	v_cndmask_b32_e64 v20, v20, v7, s5
	v_cndmask_b32_e64 v20, v20, v8, s6
	s_delay_alu instid0(VALU_DEP_1) | instskip(NEXT) | instid1(VALU_DEP_1)
	v_cndmask_b32_e64 v20, v20, v9, s7
	;; [unrolled: 3-line block ×6, first 2 shown]
	v_cndmask_b32_e64 v20, v20, v18, s16
	s_wait_loadcnt_dscnt 0x0
	s_delay_alu instid0(VALU_DEP_1) | instskip(NEXT) | instid1(VALU_DEP_1)
	v_cndmask_b32_e64 v20, v20, v19, s17
	v_div_scale_f32 v21, null, v20, v20, 1.0
	v_div_scale_f32 v24, vcc_lo, 1.0, v20, 1.0
	s_delay_alu instid0(VALU_DEP_2) | instskip(SKIP_1) | instid1(TRANS32_DEP_1)
	v_rcp_f32_e32 v22, v21
	v_nop
	v_fma_f32 v23, -v21, v22, 1.0
	s_delay_alu instid0(VALU_DEP_1) | instskip(NEXT) | instid1(VALU_DEP_1)
	v_fmac_f32_e32 v22, v23, v22
	v_mul_f32_e32 v23, v24, v22
	s_delay_alu instid0(VALU_DEP_1) | instskip(NEXT) | instid1(VALU_DEP_1)
	v_fma_f32 v25, -v21, v23, v24
	v_fmac_f32_e32 v23, v25, v22
	s_delay_alu instid0(VALU_DEP_1) | instskip(NEXT) | instid1(VALU_DEP_1)
	v_fma_f32 v21, -v21, v23, v24
	v_div_fmas_f32 v21, v21, v22, v23
	s_delay_alu instid0(VALU_DEP_1) | instskip(NEXT) | instid1(VALU_DEP_1)
	v_div_fixup_f32 v20, v21, v20, 1.0
	v_dual_cndmask_b32 v19, v19, v20, s17 :: v_dual_cndmask_b32 v18, v18, v20, s16
	v_dual_cndmask_b32 v17, v17, v20, s15 :: v_dual_cndmask_b32 v16, v16, v20, s14
	;; [unrolled: 1-line block ×9, first 2 shown]
	v_xor_b32_e32 v35, 0x80000000, v20
.LBB81_3:
	v_dual_ashrrev_i32 v67, 31, v66 :: v_dual_ashrrev_i32 v69, 31, v68
	v_dual_ashrrev_i32 v71, 31, v70 :: v_dual_ashrrev_i32 v73, 31, v72
	;; [unrolled: 1-line block ×8, first 2 shown]
	v_add_nc_u32_e32 v105, 0x50, v34
	s_cmp_eq_u32 s20, 0x79
	ds_store_b32 v34, v35
	s_cbranch_scc1 .LBB81_7
; %bb.4:
	s_wait_loadcnt_dscnt 0x1
	v_mov_b64_e32 v[64:65], v[32:33]
	v_mov_b64_e32 v[62:63], v[30:31]
	;; [unrolled: 1-line block ×16, first 2 shown]
	v_cmp_eq_u32_e64 s0, 17, v0
	ds_store_b32 v105, v18
	s_wait_dscnt 0x0
	s_barrier_signal -1
	s_barrier_wait -1
	s_and_saveexec_b32 s1, s0
	s_cbranch_execz .LBB81_11
; %bb.5:
	s_and_b32 vcc_lo, exec_lo, s22
	s_cbranch_vccz .LBB81_8
; %bb.6:
	v_cmp_eq_u32_e32 vcc_lo, 1, v0
	ds_load_b32 v35, v105
	v_cndmask_b32_e32 v34, v2, v3, vcc_lo
	v_cmp_eq_u32_e32 vcc_lo, 2, v0
	s_delay_alu instid0(VALU_DEP_2) | instskip(SKIP_1) | instid1(VALU_DEP_2)
	v_cndmask_b32_e32 v34, v34, v4, vcc_lo
	v_cmp_eq_u32_e32 vcc_lo, 3, v0
	v_cndmask_b32_e32 v34, v34, v5, vcc_lo
	v_cmp_eq_u32_e32 vcc_lo, 4, v0
	s_delay_alu instid0(VALU_DEP_2) | instskip(SKIP_1) | instid1(VALU_DEP_2)
	v_cndmask_b32_e32 v34, v34, v6, vcc_lo
	v_cmp_eq_u32_e32 vcc_lo, 5, v0
	;; [unrolled: 5-line block ×8, first 2 shown]
	v_cndmask_b32_e32 v34, v34, v19, vcc_lo
	s_wait_dscnt 0x0
	s_delay_alu instid0(VALU_DEP_1)
	v_mul_f32_e32 v50, v34, v35
	s_cbranch_execz .LBB81_9
	s_branch .LBB81_10
.LBB81_7:
                                        ; implicit-def: $vgpr34_vgpr35_vgpr36_vgpr37_vgpr38_vgpr39_vgpr40_vgpr41_vgpr42_vgpr43_vgpr44_vgpr45_vgpr46_vgpr47_vgpr48_vgpr49_vgpr50_vgpr51_vgpr52_vgpr53_vgpr54_vgpr55_vgpr56_vgpr57_vgpr58_vgpr59_vgpr60_vgpr61_vgpr62_vgpr63_vgpr64_vgpr65
	s_cbranch_execnz .LBB81_258
	s_branch .LBB81_431
.LBB81_8:
                                        ; implicit-def: $vgpr50
.LBB81_9:
	ds_load_b32 v50, v105
.LBB81_10:
	v_dual_mov_b32 v34, 0 :: v_dual_mov_b32 v35, v3
	v_dual_mov_b32 v37, v5 :: v_dual_mov_b32 v38, v6
	;; [unrolled: 1-line block ×3, first 2 shown]
	ds_load_b32 v51, v34 offset:64
	v_dual_mov_b32 v34, v2 :: v_dual_mov_b32 v36, v4
	v_dual_mov_b32 v41, v9 :: v_dual_mov_b32 v42, v10
	v_dual_mov_b32 v43, v11 :: v_dual_mov_b32 v44, v12
	v_dual_mov_b32 v45, v13 :: v_dual_mov_b32 v46, v14
	v_dual_mov_b32 v47, v15 :: v_dual_mov_b32 v48, v16
	s_wait_dscnt 0x0
	v_dual_mov_b32 v49, v17 :: v_dual_mul_f32 v50, v50, v51
	v_mov_b32_e32 v51, v19
.LBB81_11:
	s_or_b32 exec_lo, exec_lo, s1
	v_cmp_lt_u32_e64 s1, 15, v0
	ds_store_b32 v105, v49
	s_wait_dscnt 0x0
	s_barrier_signal -1
	s_barrier_wait -1
	s_and_saveexec_b32 s2, s1
	s_cbranch_execz .LBB81_17
; %bb.12:
	s_and_not1_b32 vcc_lo, exec_lo, s22
	s_cbranch_vccnz .LBB81_14
; %bb.13:
	v_cmp_eq_u32_e32 vcc_lo, 1, v0
	ds_load_b32 v53, v105
	v_cndmask_b32_e32 v52, v34, v35, vcc_lo
	v_cmp_eq_u32_e32 vcc_lo, 2, v0
	s_delay_alu instid0(VALU_DEP_2) | instskip(SKIP_1) | instid1(VALU_DEP_2)
	v_cndmask_b32_e32 v52, v52, v36, vcc_lo
	v_cmp_eq_u32_e32 vcc_lo, 3, v0
	v_cndmask_b32_e32 v52, v52, v37, vcc_lo
	v_cmp_eq_u32_e32 vcc_lo, 4, v0
	s_delay_alu instid0(VALU_DEP_2) | instskip(SKIP_1) | instid1(VALU_DEP_2)
	v_cndmask_b32_e32 v52, v52, v38, vcc_lo
	v_cmp_eq_u32_e32 vcc_lo, 5, v0
	v_cndmask_b32_e32 v52, v52, v39, vcc_lo
	v_cmp_eq_u32_e32 vcc_lo, 6, v0
	s_delay_alu instid0(VALU_DEP_2) | instskip(SKIP_1) | instid1(VALU_DEP_2)
	v_cndmask_b32_e32 v52, v52, v40, vcc_lo
	v_cmp_eq_u32_e32 vcc_lo, 7, v0
	v_cndmask_b32_e32 v52, v52, v41, vcc_lo
	v_cmp_eq_u32_e32 vcc_lo, 8, v0
	s_delay_alu instid0(VALU_DEP_2) | instskip(SKIP_1) | instid1(VALU_DEP_2)
	v_cndmask_b32_e32 v52, v52, v42, vcc_lo
	v_cmp_eq_u32_e32 vcc_lo, 9, v0
	v_cndmask_b32_e32 v52, v52, v43, vcc_lo
	v_cmp_eq_u32_e32 vcc_lo, 10, v0
	s_delay_alu instid0(VALU_DEP_2) | instskip(SKIP_1) | instid1(VALU_DEP_2)
	v_cndmask_b32_e32 v52, v52, v44, vcc_lo
	v_cmp_eq_u32_e32 vcc_lo, 11, v0
	v_cndmask_b32_e32 v52, v52, v45, vcc_lo
	v_cmp_eq_u32_e32 vcc_lo, 12, v0
	s_delay_alu instid0(VALU_DEP_2) | instskip(SKIP_1) | instid1(VALU_DEP_2)
	v_cndmask_b32_e32 v52, v52, v46, vcc_lo
	v_cmp_eq_u32_e32 vcc_lo, 13, v0
	v_cndmask_b32_e32 v52, v52, v47, vcc_lo
	v_cmp_eq_u32_e32 vcc_lo, 14, v0
	s_delay_alu instid0(VALU_DEP_2) | instskip(SKIP_1) | instid1(VALU_DEP_2)
	v_cndmask_b32_e32 v52, v52, v48, vcc_lo
	v_cmp_eq_u32_e32 vcc_lo, 15, v0
	v_cndmask_b32_e32 v49, v52, v49, vcc_lo
	v_cmp_eq_u32_e32 vcc_lo, 16, v0
	s_delay_alu instid0(VALU_DEP_2) | instskip(SKIP_1) | instid1(VALU_DEP_2)
	v_cndmask_b32_e32 v49, v49, v50, vcc_lo
	v_cmp_eq_u32_e32 vcc_lo, 17, v0
	v_cndmask_b32_e32 v49, v49, v51, vcc_lo
	s_wait_dscnt 0x0
	s_delay_alu instid0(VALU_DEP_1)
	v_mul_f32_e32 v49, v49, v53
	s_cbranch_execz .LBB81_15
	s_branch .LBB81_16
.LBB81_14:
                                        ; implicit-def: $vgpr49
.LBB81_15:
	ds_load_b32 v49, v105
.LBB81_16:
	v_mov_b32_e32 v52, 0
	ds_load_2addr_b32 v[52:53], v52 offset0:15 offset1:36
	s_wait_dscnt 0x0
	v_fma_f32 v53, v50, v53, v49
	s_delay_alu instid0(VALU_DEP_1) | instskip(NEXT) | instid1(VALU_DEP_1)
	v_cndmask_b32_e64 v49, v49, v53, s0
	v_mul_f32_e32 v49, v49, v52
.LBB81_17:
	s_or_b32 exec_lo, exec_lo, s2
	v_cmp_lt_u32_e64 s0, 14, v0
	ds_store_b32 v105, v48
	s_wait_dscnt 0x0
	s_barrier_signal -1
	s_barrier_wait -1
	s_and_saveexec_b32 s4, s0
	s_cbranch_execz .LBB81_33
; %bb.18:
	s_and_not1_b32 vcc_lo, exec_lo, s22
	s_cbranch_vccnz .LBB81_20
; %bb.19:
	v_cmp_eq_u32_e32 vcc_lo, 1, v0
	ds_load_b32 v103, v105
	v_cndmask_b32_e32 v102, v34, v35, vcc_lo
	v_cmp_eq_u32_e32 vcc_lo, 2, v0
	s_delay_alu instid0(VALU_DEP_2) | instskip(SKIP_1) | instid1(VALU_DEP_2)
	v_cndmask_b32_e32 v102, v102, v36, vcc_lo
	v_cmp_eq_u32_e32 vcc_lo, 3, v0
	v_cndmask_b32_e32 v102, v102, v37, vcc_lo
	v_cmp_eq_u32_e32 vcc_lo, 4, v0
	s_delay_alu instid0(VALU_DEP_2) | instskip(SKIP_1) | instid1(VALU_DEP_2)
	v_cndmask_b32_e32 v102, v102, v38, vcc_lo
	v_cmp_eq_u32_e32 vcc_lo, 5, v0
	;; [unrolled: 5-line block ×8, first 2 shown]
	v_cndmask_b32_e32 v102, v102, v51, vcc_lo
	s_wait_dscnt 0x0
	s_delay_alu instid0(VALU_DEP_1)
	v_mul_f32_e32 v106, v102, v103
	s_cbranch_execz .LBB81_21
	s_branch .LBB81_22
.LBB81_20:
                                        ; implicit-def: $vgpr106
.LBB81_21:
	ds_load_b32 v106, v105
.LBB81_22:
	s_and_saveexec_b32 s5, s1
	s_cbranch_execz .LBB81_32
; %bb.23:
	v_dual_add_nc_u32 v102, -16, v0 :: v_dual_add_nc_u32 v103, -15, v0
	s_delay_alu instid0(VALU_DEP_1)
	v_cmp_lt_u32_e32 vcc_lo, 6, v102
	v_mov_b32_e32 v102, 15
	s_and_saveexec_b32 s1, vcc_lo
	s_cbranch_execz .LBB81_27
; %bb.24:
	v_and_b32_e32 v102, -8, v103
	s_mov_b32 s6, 0
	s_mov_b64 s[2:3], 22
	s_movk_i32 s7, 0x8c
	s_delay_alu instid0(VALU_DEP_1)
	v_sub_nc_u32_e32 v104, 0, v102
.LBB81_25:                              ; =>This Inner Loop Header: Depth=1
	s_add_co_i32 m0, s2, -7
	v_movrels_b32_e32 v107, v34
	v_mov_b32_e32 v102, s7
	s_add_co_i32 m0, s2, -6
	s_add_co_i32 s7, s7, 32
	v_movrels_b32_e32 v116, v34
	ds_load_2addr_b32 v[108:109], v102 offset1:1
	ds_load_2addr_b32 v[110:111], v102 offset0:2 offset1:3
	s_add_co_i32 m0, s2, -5
	s_wait_dscnt 0x1
	v_fmac_f32_e32 v106, v107, v108
	ds_load_2addr_b32 v[112:113], v102 offset0:4 offset1:5
	ds_load_2addr_b32 v[114:115], v102 offset0:6 offset1:7
	v_movrels_b32_e32 v102, v34
	s_add_co_i32 m0, s2, -4
	v_fmac_f32_e32 v106, v116, v109
	v_movrels_b32_e32 v107, v34
	s_add_co_i32 m0, s2, -3
	s_wait_dscnt 0x2
	s_delay_alu instid0(VALU_DEP_2) | instskip(SKIP_2) | instid1(VALU_DEP_2)
	v_fmac_f32_e32 v106, v102, v110
	v_movrels_b32_e32 v102, v34
	s_add_co_i32 m0, s2, -2
	v_fmac_f32_e32 v106, v107, v111
	v_movrels_b32_e32 v107, v34
	s_add_co_i32 m0, s2, -1
	s_wait_dscnt 0x1
	s_delay_alu instid0(VALU_DEP_2)
	v_fmac_f32_e32 v106, v102, v112
	v_movrels_b32_e32 v102, v34
	s_mov_b32 m0, s2
	s_add_nc_u64 s[2:3], s[2:3], 8
	v_movrels_b32_e32 v108, v34
	v_dual_fmac_f32 v106, v107, v113 :: v_dual_add_nc_u32 v107, s2, v104
	s_add_co_i32 s8, s2, -7
	s_wait_dscnt 0x0
	s_delay_alu instid0(VALU_DEP_1) | instskip(NEXT) | instid1(VALU_DEP_2)
	v_fmac_f32_e32 v106, v102, v114
	v_cmp_eq_u32_e32 vcc_lo, 22, v107
	s_delay_alu instid0(VALU_DEP_2) | instskip(SKIP_1) | instid1(SALU_CYCLE_1)
	v_dual_mov_b32 v102, s8 :: v_dual_fmac_f32 v106, v108, v115
	s_or_b32 s6, vcc_lo, s6
	s_and_not1_b32 exec_lo, exec_lo, s6
	s_cbranch_execnz .LBB81_25
; %bb.26:
	s_or_b32 exec_lo, exec_lo, s6
.LBB81_27:
	s_delay_alu instid0(SALU_CYCLE_1) | instskip(SKIP_3) | instid1(VALU_DEP_1)
	s_or_b32 exec_lo, exec_lo, s1
	v_and_b32_e32 v52, 7, v103
	s_mov_b32 s2, 0
	s_mov_b32 s1, exec_lo
	v_cmpx_ne_u32_e32 0, v52
	s_cbranch_execz .LBB81_31
; %bb.28:
	v_lshl_add_u32 v53, v102, 2, 0x50
	v_mov_b32_e32 v103, 0
.LBB81_29:                              ; =>This Inner Loop Header: Depth=1
	v_cmp_eq_u32_e32 vcc_lo, 1, v102
	ds_load_b32 v55, v53
	v_dual_add_nc_u32 v52, -1, v52 :: v_dual_add_nc_u32 v53, 4, v53
	v_cndmask_b32_e32 v54, v34, v35, vcc_lo
	v_cmp_eq_u32_e32 vcc_lo, 2, v102
	s_delay_alu instid0(VALU_DEP_2) | instskip(SKIP_1) | instid1(VALU_DEP_2)
	v_cndmask_b32_e32 v54, v54, v36, vcc_lo
	v_cmp_eq_u32_e32 vcc_lo, 3, v102
	v_cndmask_b32_e32 v54, v54, v37, vcc_lo
	v_cmp_eq_u32_e32 vcc_lo, 4, v102
	s_delay_alu instid0(VALU_DEP_2) | instskip(SKIP_1) | instid1(VALU_DEP_2)
	v_cndmask_b32_e32 v54, v54, v38, vcc_lo
	v_cmp_eq_u32_e32 vcc_lo, 5, v102
	;; [unrolled: 5-line block ×7, first 2 shown]
	v_cndmask_b32_e32 v54, v54, v49, vcc_lo
	v_cmp_eq_u32_e32 vcc_lo, 16, v102
	s_delay_alu instid0(VALU_DEP_2) | instskip(SKIP_2) | instid1(VALU_DEP_3)
	v_cndmask_b32_e32 v54, v54, v50, vcc_lo
	v_cmp_eq_u32_e32 vcc_lo, 17, v102
	v_add_nc_u64_e32 v[102:103], 1, v[102:103]
	v_cndmask_b32_e32 v54, v54, v51, vcc_lo
	v_cmp_eq_u32_e32 vcc_lo, 0, v52
	s_wait_dscnt 0x0
	s_delay_alu instid0(VALU_DEP_2) | instskip(SKIP_1) | instid1(SALU_CYCLE_1)
	v_fmac_f32_e32 v106, v54, v55
	s_or_b32 s2, vcc_lo, s2
	s_and_not1_b32 exec_lo, exec_lo, s2
	s_cbranch_execnz .LBB81_29
; %bb.30:
	s_or_b32 exec_lo, exec_lo, s2
.LBB81_31:
	s_delay_alu instid0(SALU_CYCLE_1)
	s_or_b32 exec_lo, exec_lo, s1
.LBB81_32:
	s_delay_alu instid0(SALU_CYCLE_1)
	s_or_b32 exec_lo, exec_lo, s5
	v_mov_b32_e32 v48, 0
	ds_load_b32 v48, v48 offset:56
	s_wait_dscnt 0x0
	v_mul_f32_e32 v48, v106, v48
.LBB81_33:
	s_or_b32 exec_lo, exec_lo, s4
	v_cmp_lt_u32_e64 s1, 13, v0
	ds_store_b32 v105, v47
	s_wait_dscnt 0x0
	s_barrier_signal -1
	s_barrier_wait -1
	s_and_saveexec_b32 s4, s1
	s_cbranch_execz .LBB81_49
; %bb.34:
	s_and_not1_b32 vcc_lo, exec_lo, s22
	s_cbranch_vccnz .LBB81_36
; %bb.35:
	v_cmp_eq_u32_e32 vcc_lo, 1, v0
	ds_load_b32 v103, v105
	v_cndmask_b32_e32 v102, v34, v35, vcc_lo
	v_cmp_eq_u32_e32 vcc_lo, 2, v0
	s_delay_alu instid0(VALU_DEP_2) | instskip(SKIP_1) | instid1(VALU_DEP_2)
	v_cndmask_b32_e32 v102, v102, v36, vcc_lo
	v_cmp_eq_u32_e32 vcc_lo, 3, v0
	v_cndmask_b32_e32 v102, v102, v37, vcc_lo
	v_cmp_eq_u32_e32 vcc_lo, 4, v0
	s_delay_alu instid0(VALU_DEP_2) | instskip(SKIP_1) | instid1(VALU_DEP_2)
	v_cndmask_b32_e32 v102, v102, v38, vcc_lo
	v_cmp_eq_u32_e32 vcc_lo, 5, v0
	;; [unrolled: 5-line block ×8, first 2 shown]
	v_cndmask_b32_e32 v102, v102, v51, vcc_lo
	s_wait_dscnt 0x0
	s_delay_alu instid0(VALU_DEP_1)
	v_mul_f32_e32 v106, v102, v103
	s_cbranch_execz .LBB81_37
	s_branch .LBB81_38
.LBB81_36:
                                        ; implicit-def: $vgpr106
.LBB81_37:
	ds_load_b32 v106, v105
.LBB81_38:
	s_and_saveexec_b32 s5, s0
	s_cbranch_execz .LBB81_48
; %bb.39:
	v_dual_add_nc_u32 v102, -15, v0 :: v_dual_add_nc_u32 v103, -14, v0
	s_delay_alu instid0(VALU_DEP_1)
	v_cmp_lt_u32_e32 vcc_lo, 6, v102
	v_mov_b32_e32 v102, 14
	s_and_saveexec_b32 s0, vcc_lo
	s_cbranch_execz .LBB81_43
; %bb.40:
	v_and_b32_e32 v102, -8, v103
	s_mov_b32 s6, 0
	s_mov_b64 s[2:3], 21
	s_movk_i32 s7, 0x88
	s_delay_alu instid0(VALU_DEP_1)
	v_sub_nc_u32_e32 v104, 0, v102
.LBB81_41:                              ; =>This Inner Loop Header: Depth=1
	s_add_co_i32 m0, s2, -7
	v_movrels_b32_e32 v107, v34
	v_mov_b32_e32 v102, s7
	s_add_co_i32 m0, s2, -6
	s_add_co_i32 s7, s7, 32
	v_movrels_b32_e32 v116, v34
	s_add_co_i32 m0, s2, -5
	ds_load_2addr_b64 v[108:111], v102 offset1:1
	ds_load_2addr_b64 v[112:115], v102 offset0:2 offset1:3
	v_movrels_b32_e32 v102, v34
	s_add_co_i32 m0, s2, -4
	s_wait_dscnt 0x1
	v_fmac_f32_e32 v106, v107, v108
	v_movrels_b32_e32 v107, v34
	s_add_co_i32 m0, s2, -3
	s_delay_alu instid0(VALU_DEP_2) | instskip(NEXT) | instid1(VALU_DEP_1)
	v_fmac_f32_e32 v106, v116, v109
	v_fmac_f32_e32 v106, v102, v110
	v_movrels_b32_e32 v102, v34
	s_add_co_i32 m0, s2, -2
	s_delay_alu instid0(VALU_DEP_2) | instskip(SKIP_3) | instid1(VALU_DEP_2)
	v_fmac_f32_e32 v106, v107, v111
	v_movrels_b32_e32 v107, v34
	s_add_co_i32 m0, s2, -1
	s_wait_dscnt 0x0
	v_fmac_f32_e32 v106, v102, v112
	v_movrels_b32_e32 v102, v34
	s_mov_b32 m0, s2
	s_add_nc_u64 s[2:3], s[2:3], 8
	v_movrels_b32_e32 v108, v34
	v_dual_fmac_f32 v106, v107, v113 :: v_dual_add_nc_u32 v107, s2, v104
	s_add_co_i32 s8, s2, -7
	s_delay_alu instid0(VALU_DEP_1) | instskip(NEXT) | instid1(VALU_DEP_2)
	v_fmac_f32_e32 v106, v102, v114
	v_cmp_eq_u32_e32 vcc_lo, 21, v107
	s_delay_alu instid0(VALU_DEP_2) | instskip(SKIP_1) | instid1(SALU_CYCLE_1)
	v_dual_mov_b32 v102, s8 :: v_dual_fmac_f32 v106, v108, v115
	s_or_b32 s6, vcc_lo, s6
	s_and_not1_b32 exec_lo, exec_lo, s6
	s_cbranch_execnz .LBB81_41
; %bb.42:
	s_or_b32 exec_lo, exec_lo, s6
.LBB81_43:
	s_delay_alu instid0(SALU_CYCLE_1) | instskip(SKIP_3) | instid1(VALU_DEP_1)
	s_or_b32 exec_lo, exec_lo, s0
	v_and_b32_e32 v52, 7, v103
	s_mov_b32 s2, 0
	s_mov_b32 s0, exec_lo
	v_cmpx_ne_u32_e32 0, v52
	s_cbranch_execz .LBB81_47
; %bb.44:
	v_lshl_add_u32 v53, v102, 2, 0x50
	v_mov_b32_e32 v103, 0
.LBB81_45:                              ; =>This Inner Loop Header: Depth=1
	v_cmp_eq_u32_e32 vcc_lo, 1, v102
	ds_load_b32 v55, v53
	v_dual_add_nc_u32 v52, -1, v52 :: v_dual_add_nc_u32 v53, 4, v53
	v_cndmask_b32_e32 v54, v34, v35, vcc_lo
	v_cmp_eq_u32_e32 vcc_lo, 2, v102
	s_delay_alu instid0(VALU_DEP_2) | instskip(SKIP_1) | instid1(VALU_DEP_2)
	v_cndmask_b32_e32 v54, v54, v36, vcc_lo
	v_cmp_eq_u32_e32 vcc_lo, 3, v102
	v_cndmask_b32_e32 v54, v54, v37, vcc_lo
	v_cmp_eq_u32_e32 vcc_lo, 4, v102
	s_delay_alu instid0(VALU_DEP_2) | instskip(SKIP_1) | instid1(VALU_DEP_2)
	v_cndmask_b32_e32 v54, v54, v38, vcc_lo
	v_cmp_eq_u32_e32 vcc_lo, 5, v102
	;; [unrolled: 5-line block ×7, first 2 shown]
	v_cndmask_b32_e32 v54, v54, v49, vcc_lo
	v_cmp_eq_u32_e32 vcc_lo, 16, v102
	s_delay_alu instid0(VALU_DEP_2) | instskip(SKIP_2) | instid1(VALU_DEP_3)
	v_cndmask_b32_e32 v54, v54, v50, vcc_lo
	v_cmp_eq_u32_e32 vcc_lo, 17, v102
	v_add_nc_u64_e32 v[102:103], 1, v[102:103]
	v_cndmask_b32_e32 v54, v54, v51, vcc_lo
	v_cmp_eq_u32_e32 vcc_lo, 0, v52
	s_wait_dscnt 0x0
	s_delay_alu instid0(VALU_DEP_2) | instskip(SKIP_1) | instid1(SALU_CYCLE_1)
	v_fmac_f32_e32 v106, v54, v55
	s_or_b32 s2, vcc_lo, s2
	s_and_not1_b32 exec_lo, exec_lo, s2
	s_cbranch_execnz .LBB81_45
; %bb.46:
	s_or_b32 exec_lo, exec_lo, s2
.LBB81_47:
	s_delay_alu instid0(SALU_CYCLE_1)
	s_or_b32 exec_lo, exec_lo, s0
.LBB81_48:
	s_delay_alu instid0(SALU_CYCLE_1)
	s_or_b32 exec_lo, exec_lo, s5
	v_mov_b32_e32 v47, 0
	ds_load_b32 v47, v47 offset:52
	s_wait_dscnt 0x0
	v_mul_f32_e32 v47, v106, v47
.LBB81_49:
	s_or_b32 exec_lo, exec_lo, s4
	v_cmp_lt_u32_e64 s0, 12, v0
	ds_store_b32 v105, v46
	s_wait_dscnt 0x0
	s_barrier_signal -1
	s_barrier_wait -1
	s_and_saveexec_b32 s4, s0
	s_cbranch_execz .LBB81_65
; %bb.50:
	s_and_not1_b32 vcc_lo, exec_lo, s22
	s_cbranch_vccnz .LBB81_52
; %bb.51:
	v_cmp_eq_u32_e32 vcc_lo, 1, v0
	ds_load_b32 v103, v105
	v_cndmask_b32_e32 v102, v34, v35, vcc_lo
	v_cmp_eq_u32_e32 vcc_lo, 2, v0
	s_delay_alu instid0(VALU_DEP_2) | instskip(SKIP_1) | instid1(VALU_DEP_2)
	v_cndmask_b32_e32 v102, v102, v36, vcc_lo
	v_cmp_eq_u32_e32 vcc_lo, 3, v0
	v_cndmask_b32_e32 v102, v102, v37, vcc_lo
	v_cmp_eq_u32_e32 vcc_lo, 4, v0
	s_delay_alu instid0(VALU_DEP_2) | instskip(SKIP_1) | instid1(VALU_DEP_2)
	v_cndmask_b32_e32 v102, v102, v38, vcc_lo
	v_cmp_eq_u32_e32 vcc_lo, 5, v0
	;; [unrolled: 5-line block ×8, first 2 shown]
	v_cndmask_b32_e32 v102, v102, v51, vcc_lo
	s_wait_dscnt 0x0
	s_delay_alu instid0(VALU_DEP_1)
	v_mul_f32_e32 v106, v102, v103
	s_cbranch_execz .LBB81_53
	s_branch .LBB81_54
.LBB81_52:
                                        ; implicit-def: $vgpr106
.LBB81_53:
	ds_load_b32 v106, v105
.LBB81_54:
	s_and_saveexec_b32 s5, s1
	s_cbranch_execz .LBB81_64
; %bb.55:
	v_dual_add_nc_u32 v102, -14, v0 :: v_dual_add_nc_u32 v103, -13, v0
	s_delay_alu instid0(VALU_DEP_1)
	v_cmp_lt_u32_e32 vcc_lo, 6, v102
	v_mov_b32_e32 v102, 13
	s_and_saveexec_b32 s1, vcc_lo
	s_cbranch_execz .LBB81_59
; %bb.56:
	v_and_b32_e32 v102, -8, v103
	s_mov_b32 s6, 0
	s_mov_b64 s[2:3], 20
	s_movk_i32 s7, 0x84
	s_delay_alu instid0(VALU_DEP_1)
	v_sub_nc_u32_e32 v104, 0, v102
.LBB81_57:                              ; =>This Inner Loop Header: Depth=1
	s_add_co_i32 m0, s2, -7
	v_movrels_b32_e32 v107, v34
	v_mov_b32_e32 v102, s7
	s_add_co_i32 m0, s2, -6
	s_add_co_i32 s7, s7, 32
	v_movrels_b32_e32 v116, v34
	ds_load_2addr_b32 v[108:109], v102 offset1:1
	ds_load_2addr_b32 v[110:111], v102 offset0:2 offset1:3
	s_add_co_i32 m0, s2, -5
	s_wait_dscnt 0x1
	v_fmac_f32_e32 v106, v107, v108
	ds_load_2addr_b32 v[112:113], v102 offset0:4 offset1:5
	ds_load_2addr_b32 v[114:115], v102 offset0:6 offset1:7
	v_movrels_b32_e32 v102, v34
	s_add_co_i32 m0, s2, -4
	v_fmac_f32_e32 v106, v116, v109
	v_movrels_b32_e32 v107, v34
	s_add_co_i32 m0, s2, -3
	s_wait_dscnt 0x2
	s_delay_alu instid0(VALU_DEP_2) | instskip(SKIP_2) | instid1(VALU_DEP_2)
	v_fmac_f32_e32 v106, v102, v110
	v_movrels_b32_e32 v102, v34
	s_add_co_i32 m0, s2, -2
	v_fmac_f32_e32 v106, v107, v111
	v_movrels_b32_e32 v107, v34
	s_add_co_i32 m0, s2, -1
	s_wait_dscnt 0x1
	s_delay_alu instid0(VALU_DEP_2)
	v_fmac_f32_e32 v106, v102, v112
	v_movrels_b32_e32 v102, v34
	s_mov_b32 m0, s2
	s_add_nc_u64 s[2:3], s[2:3], 8
	v_movrels_b32_e32 v108, v34
	v_dual_fmac_f32 v106, v107, v113 :: v_dual_add_nc_u32 v107, s2, v104
	s_add_co_i32 s8, s2, -7
	s_wait_dscnt 0x0
	s_delay_alu instid0(VALU_DEP_1) | instskip(NEXT) | instid1(VALU_DEP_2)
	v_fmac_f32_e32 v106, v102, v114
	v_cmp_eq_u32_e32 vcc_lo, 20, v107
	s_delay_alu instid0(VALU_DEP_2) | instskip(SKIP_1) | instid1(SALU_CYCLE_1)
	v_dual_mov_b32 v102, s8 :: v_dual_fmac_f32 v106, v108, v115
	s_or_b32 s6, vcc_lo, s6
	s_and_not1_b32 exec_lo, exec_lo, s6
	s_cbranch_execnz .LBB81_57
; %bb.58:
	s_or_b32 exec_lo, exec_lo, s6
.LBB81_59:
	s_delay_alu instid0(SALU_CYCLE_1) | instskip(SKIP_3) | instid1(VALU_DEP_1)
	s_or_b32 exec_lo, exec_lo, s1
	v_and_b32_e32 v52, 7, v103
	s_mov_b32 s2, 0
	s_mov_b32 s1, exec_lo
	v_cmpx_ne_u32_e32 0, v52
	s_cbranch_execz .LBB81_63
; %bb.60:
	v_lshl_add_u32 v53, v102, 2, 0x50
	v_mov_b32_e32 v103, 0
.LBB81_61:                              ; =>This Inner Loop Header: Depth=1
	v_cmp_eq_u32_e32 vcc_lo, 1, v102
	ds_load_b32 v55, v53
	v_dual_add_nc_u32 v52, -1, v52 :: v_dual_add_nc_u32 v53, 4, v53
	v_cndmask_b32_e32 v54, v34, v35, vcc_lo
	v_cmp_eq_u32_e32 vcc_lo, 2, v102
	s_delay_alu instid0(VALU_DEP_2) | instskip(SKIP_1) | instid1(VALU_DEP_2)
	v_cndmask_b32_e32 v54, v54, v36, vcc_lo
	v_cmp_eq_u32_e32 vcc_lo, 3, v102
	v_cndmask_b32_e32 v54, v54, v37, vcc_lo
	v_cmp_eq_u32_e32 vcc_lo, 4, v102
	s_delay_alu instid0(VALU_DEP_2) | instskip(SKIP_1) | instid1(VALU_DEP_2)
	v_cndmask_b32_e32 v54, v54, v38, vcc_lo
	v_cmp_eq_u32_e32 vcc_lo, 5, v102
	;; [unrolled: 5-line block ×7, first 2 shown]
	v_cndmask_b32_e32 v54, v54, v49, vcc_lo
	v_cmp_eq_u32_e32 vcc_lo, 16, v102
	s_delay_alu instid0(VALU_DEP_2) | instskip(SKIP_2) | instid1(VALU_DEP_3)
	v_cndmask_b32_e32 v54, v54, v50, vcc_lo
	v_cmp_eq_u32_e32 vcc_lo, 17, v102
	v_add_nc_u64_e32 v[102:103], 1, v[102:103]
	v_cndmask_b32_e32 v54, v54, v51, vcc_lo
	v_cmp_eq_u32_e32 vcc_lo, 0, v52
	s_wait_dscnt 0x0
	s_delay_alu instid0(VALU_DEP_2) | instskip(SKIP_1) | instid1(SALU_CYCLE_1)
	v_fmac_f32_e32 v106, v54, v55
	s_or_b32 s2, vcc_lo, s2
	s_and_not1_b32 exec_lo, exec_lo, s2
	s_cbranch_execnz .LBB81_61
; %bb.62:
	s_or_b32 exec_lo, exec_lo, s2
.LBB81_63:
	s_delay_alu instid0(SALU_CYCLE_1)
	s_or_b32 exec_lo, exec_lo, s1
.LBB81_64:
	s_delay_alu instid0(SALU_CYCLE_1)
	s_or_b32 exec_lo, exec_lo, s5
	v_mov_b32_e32 v46, 0
	ds_load_b32 v46, v46 offset:48
	s_wait_dscnt 0x0
	v_mul_f32_e32 v46, v106, v46
.LBB81_65:
	s_or_b32 exec_lo, exec_lo, s4
	v_cmp_lt_u32_e64 s1, 11, v0
	ds_store_b32 v105, v45
	s_wait_dscnt 0x0
	s_barrier_signal -1
	s_barrier_wait -1
	s_and_saveexec_b32 s4, s1
	s_cbranch_execz .LBB81_81
; %bb.66:
	s_and_not1_b32 vcc_lo, exec_lo, s22
	s_cbranch_vccnz .LBB81_68
; %bb.67:
	v_cmp_eq_u32_e32 vcc_lo, 1, v0
	ds_load_b32 v103, v105
	v_cndmask_b32_e32 v102, v34, v35, vcc_lo
	v_cmp_eq_u32_e32 vcc_lo, 2, v0
	s_delay_alu instid0(VALU_DEP_2) | instskip(SKIP_1) | instid1(VALU_DEP_2)
	v_cndmask_b32_e32 v102, v102, v36, vcc_lo
	v_cmp_eq_u32_e32 vcc_lo, 3, v0
	v_cndmask_b32_e32 v102, v102, v37, vcc_lo
	v_cmp_eq_u32_e32 vcc_lo, 4, v0
	s_delay_alu instid0(VALU_DEP_2) | instskip(SKIP_1) | instid1(VALU_DEP_2)
	v_cndmask_b32_e32 v102, v102, v38, vcc_lo
	v_cmp_eq_u32_e32 vcc_lo, 5, v0
	;; [unrolled: 5-line block ×8, first 2 shown]
	v_cndmask_b32_e32 v102, v102, v51, vcc_lo
	s_wait_dscnt 0x0
	s_delay_alu instid0(VALU_DEP_1)
	v_mul_f32_e32 v106, v102, v103
	s_cbranch_execz .LBB81_69
	s_branch .LBB81_70
.LBB81_68:
                                        ; implicit-def: $vgpr106
.LBB81_69:
	ds_load_b32 v106, v105
.LBB81_70:
	s_and_saveexec_b32 s5, s0
	s_cbranch_execz .LBB81_80
; %bb.71:
	v_dual_add_nc_u32 v102, -13, v0 :: v_dual_add_nc_u32 v103, -12, v0
	s_delay_alu instid0(VALU_DEP_1)
	v_cmp_lt_u32_e32 vcc_lo, 6, v102
	v_mov_b32_e32 v102, 12
	s_and_saveexec_b32 s0, vcc_lo
	s_cbranch_execz .LBB81_75
; %bb.72:
	v_and_b32_e32 v102, -8, v103
	s_mov_b32 s6, 0
	s_mov_b64 s[2:3], 19
	s_movk_i32 s7, 0x80
	s_delay_alu instid0(VALU_DEP_1)
	v_sub_nc_u32_e32 v104, 0, v102
.LBB81_73:                              ; =>This Inner Loop Header: Depth=1
	s_add_co_i32 m0, s2, -7
	v_movrels_b32_e32 v107, v34
	v_mov_b32_e32 v102, s7
	s_add_co_i32 m0, s2, -6
	s_add_co_i32 s7, s7, 32
	v_movrels_b32_e32 v116, v34
	s_add_co_i32 m0, s2, -5
	ds_load_b128 v[108:111], v102
	ds_load_b128 v[112:115], v102 offset:16
	v_movrels_b32_e32 v102, v34
	s_add_co_i32 m0, s2, -4
	s_wait_dscnt 0x1
	v_fmac_f32_e32 v106, v107, v108
	v_movrels_b32_e32 v107, v34
	s_add_co_i32 m0, s2, -3
	s_delay_alu instid0(VALU_DEP_2) | instskip(NEXT) | instid1(VALU_DEP_1)
	v_fmac_f32_e32 v106, v116, v109
	v_fmac_f32_e32 v106, v102, v110
	v_movrels_b32_e32 v102, v34
	s_add_co_i32 m0, s2, -2
	s_delay_alu instid0(VALU_DEP_2) | instskip(SKIP_3) | instid1(VALU_DEP_2)
	v_fmac_f32_e32 v106, v107, v111
	v_movrels_b32_e32 v107, v34
	s_add_co_i32 m0, s2, -1
	s_wait_dscnt 0x0
	v_fmac_f32_e32 v106, v102, v112
	v_movrels_b32_e32 v102, v34
	s_mov_b32 m0, s2
	s_add_nc_u64 s[2:3], s[2:3], 8
	v_movrels_b32_e32 v108, v34
	v_dual_fmac_f32 v106, v107, v113 :: v_dual_add_nc_u32 v107, s2, v104
	s_add_co_i32 s8, s2, -7
	s_delay_alu instid0(VALU_DEP_1) | instskip(NEXT) | instid1(VALU_DEP_2)
	v_fmac_f32_e32 v106, v102, v114
	v_cmp_eq_u32_e32 vcc_lo, 19, v107
	s_delay_alu instid0(VALU_DEP_2) | instskip(SKIP_1) | instid1(SALU_CYCLE_1)
	v_dual_mov_b32 v102, s8 :: v_dual_fmac_f32 v106, v108, v115
	s_or_b32 s6, vcc_lo, s6
	s_and_not1_b32 exec_lo, exec_lo, s6
	s_cbranch_execnz .LBB81_73
; %bb.74:
	s_or_b32 exec_lo, exec_lo, s6
.LBB81_75:
	s_delay_alu instid0(SALU_CYCLE_1) | instskip(SKIP_3) | instid1(VALU_DEP_1)
	s_or_b32 exec_lo, exec_lo, s0
	v_and_b32_e32 v52, 7, v103
	s_mov_b32 s2, 0
	s_mov_b32 s0, exec_lo
	v_cmpx_ne_u32_e32 0, v52
	s_cbranch_execz .LBB81_79
; %bb.76:
	v_lshl_add_u32 v53, v102, 2, 0x50
	v_mov_b32_e32 v103, 0
.LBB81_77:                              ; =>This Inner Loop Header: Depth=1
	v_cmp_eq_u32_e32 vcc_lo, 1, v102
	ds_load_b32 v55, v53
	v_dual_add_nc_u32 v52, -1, v52 :: v_dual_add_nc_u32 v53, 4, v53
	v_cndmask_b32_e32 v54, v34, v35, vcc_lo
	v_cmp_eq_u32_e32 vcc_lo, 2, v102
	s_delay_alu instid0(VALU_DEP_2) | instskip(SKIP_1) | instid1(VALU_DEP_2)
	v_cndmask_b32_e32 v54, v54, v36, vcc_lo
	v_cmp_eq_u32_e32 vcc_lo, 3, v102
	v_cndmask_b32_e32 v54, v54, v37, vcc_lo
	v_cmp_eq_u32_e32 vcc_lo, 4, v102
	s_delay_alu instid0(VALU_DEP_2) | instskip(SKIP_1) | instid1(VALU_DEP_2)
	v_cndmask_b32_e32 v54, v54, v38, vcc_lo
	v_cmp_eq_u32_e32 vcc_lo, 5, v102
	;; [unrolled: 5-line block ×7, first 2 shown]
	v_cndmask_b32_e32 v54, v54, v49, vcc_lo
	v_cmp_eq_u32_e32 vcc_lo, 16, v102
	s_delay_alu instid0(VALU_DEP_2) | instskip(SKIP_2) | instid1(VALU_DEP_3)
	v_cndmask_b32_e32 v54, v54, v50, vcc_lo
	v_cmp_eq_u32_e32 vcc_lo, 17, v102
	v_add_nc_u64_e32 v[102:103], 1, v[102:103]
	v_cndmask_b32_e32 v54, v54, v51, vcc_lo
	v_cmp_eq_u32_e32 vcc_lo, 0, v52
	s_wait_dscnt 0x0
	s_delay_alu instid0(VALU_DEP_2) | instskip(SKIP_1) | instid1(SALU_CYCLE_1)
	v_fmac_f32_e32 v106, v54, v55
	s_or_b32 s2, vcc_lo, s2
	s_and_not1_b32 exec_lo, exec_lo, s2
	s_cbranch_execnz .LBB81_77
; %bb.78:
	s_or_b32 exec_lo, exec_lo, s2
.LBB81_79:
	s_delay_alu instid0(SALU_CYCLE_1)
	s_or_b32 exec_lo, exec_lo, s0
.LBB81_80:
	s_delay_alu instid0(SALU_CYCLE_1)
	s_or_b32 exec_lo, exec_lo, s5
	v_mov_b32_e32 v45, 0
	ds_load_b32 v45, v45 offset:44
	s_wait_dscnt 0x0
	v_mul_f32_e32 v45, v106, v45
.LBB81_81:
	s_or_b32 exec_lo, exec_lo, s4
	v_cmp_lt_u32_e64 s0, 10, v0
	ds_store_b32 v105, v44
	s_wait_dscnt 0x0
	s_barrier_signal -1
	s_barrier_wait -1
	s_and_saveexec_b32 s4, s0
	s_cbranch_execz .LBB81_97
; %bb.82:
	s_and_not1_b32 vcc_lo, exec_lo, s22
	s_cbranch_vccnz .LBB81_84
; %bb.83:
	v_cmp_eq_u32_e32 vcc_lo, 1, v0
	ds_load_b32 v103, v105
	v_cndmask_b32_e32 v102, v34, v35, vcc_lo
	v_cmp_eq_u32_e32 vcc_lo, 2, v0
	s_delay_alu instid0(VALU_DEP_2) | instskip(SKIP_1) | instid1(VALU_DEP_2)
	v_cndmask_b32_e32 v102, v102, v36, vcc_lo
	v_cmp_eq_u32_e32 vcc_lo, 3, v0
	v_cndmask_b32_e32 v102, v102, v37, vcc_lo
	v_cmp_eq_u32_e32 vcc_lo, 4, v0
	s_delay_alu instid0(VALU_DEP_2) | instskip(SKIP_1) | instid1(VALU_DEP_2)
	v_cndmask_b32_e32 v102, v102, v38, vcc_lo
	v_cmp_eq_u32_e32 vcc_lo, 5, v0
	;; [unrolled: 5-line block ×8, first 2 shown]
	v_cndmask_b32_e32 v102, v102, v51, vcc_lo
	s_wait_dscnt 0x0
	s_delay_alu instid0(VALU_DEP_1)
	v_mul_f32_e32 v106, v102, v103
	s_cbranch_execz .LBB81_85
	s_branch .LBB81_86
.LBB81_84:
                                        ; implicit-def: $vgpr106
.LBB81_85:
	ds_load_b32 v106, v105
.LBB81_86:
	s_and_saveexec_b32 s5, s1
	s_cbranch_execz .LBB81_96
; %bb.87:
	v_dual_add_nc_u32 v102, -12, v0 :: v_dual_add_nc_u32 v103, -11, v0
	s_delay_alu instid0(VALU_DEP_1)
	v_cmp_lt_u32_e32 vcc_lo, 6, v102
	v_mov_b32_e32 v102, 11
	s_and_saveexec_b32 s1, vcc_lo
	s_cbranch_execz .LBB81_91
; %bb.88:
	v_and_b32_e32 v102, -8, v103
	s_mov_b32 s6, 0
	s_mov_b64 s[2:3], 18
	s_movk_i32 s7, 0x7c
	s_delay_alu instid0(VALU_DEP_1)
	v_sub_nc_u32_e32 v104, 0, v102
.LBB81_89:                              ; =>This Inner Loop Header: Depth=1
	s_add_co_i32 m0, s2, -7
	v_movrels_b32_e32 v107, v34
	v_mov_b32_e32 v102, s7
	s_add_co_i32 m0, s2, -6
	s_add_co_i32 s7, s7, 32
	v_movrels_b32_e32 v116, v34
	ds_load_2addr_b32 v[108:109], v102 offset1:1
	ds_load_2addr_b32 v[110:111], v102 offset0:2 offset1:3
	s_add_co_i32 m0, s2, -5
	s_wait_dscnt 0x1
	v_fmac_f32_e32 v106, v107, v108
	ds_load_2addr_b32 v[112:113], v102 offset0:4 offset1:5
	ds_load_2addr_b32 v[114:115], v102 offset0:6 offset1:7
	v_movrels_b32_e32 v102, v34
	s_add_co_i32 m0, s2, -4
	v_fmac_f32_e32 v106, v116, v109
	v_movrels_b32_e32 v107, v34
	s_add_co_i32 m0, s2, -3
	s_wait_dscnt 0x2
	s_delay_alu instid0(VALU_DEP_2) | instskip(SKIP_2) | instid1(VALU_DEP_2)
	v_fmac_f32_e32 v106, v102, v110
	v_movrels_b32_e32 v102, v34
	s_add_co_i32 m0, s2, -2
	v_fmac_f32_e32 v106, v107, v111
	v_movrels_b32_e32 v107, v34
	s_add_co_i32 m0, s2, -1
	s_wait_dscnt 0x1
	s_delay_alu instid0(VALU_DEP_2)
	v_fmac_f32_e32 v106, v102, v112
	v_movrels_b32_e32 v102, v34
	s_mov_b32 m0, s2
	s_add_nc_u64 s[2:3], s[2:3], 8
	v_movrels_b32_e32 v108, v34
	v_dual_fmac_f32 v106, v107, v113 :: v_dual_add_nc_u32 v107, s2, v104
	s_add_co_i32 s8, s2, -7
	s_wait_dscnt 0x0
	s_delay_alu instid0(VALU_DEP_1) | instskip(NEXT) | instid1(VALU_DEP_2)
	v_fmac_f32_e32 v106, v102, v114
	v_cmp_eq_u32_e32 vcc_lo, 18, v107
	s_delay_alu instid0(VALU_DEP_2) | instskip(SKIP_1) | instid1(SALU_CYCLE_1)
	v_dual_mov_b32 v102, s8 :: v_dual_fmac_f32 v106, v108, v115
	s_or_b32 s6, vcc_lo, s6
	s_and_not1_b32 exec_lo, exec_lo, s6
	s_cbranch_execnz .LBB81_89
; %bb.90:
	s_or_b32 exec_lo, exec_lo, s6
.LBB81_91:
	s_delay_alu instid0(SALU_CYCLE_1) | instskip(SKIP_3) | instid1(VALU_DEP_1)
	s_or_b32 exec_lo, exec_lo, s1
	v_and_b32_e32 v52, 7, v103
	s_mov_b32 s2, 0
	s_mov_b32 s1, exec_lo
	v_cmpx_ne_u32_e32 0, v52
	s_cbranch_execz .LBB81_95
; %bb.92:
	v_lshl_add_u32 v53, v102, 2, 0x50
	v_mov_b32_e32 v103, 0
.LBB81_93:                              ; =>This Inner Loop Header: Depth=1
	v_cmp_eq_u32_e32 vcc_lo, 1, v102
	ds_load_b32 v55, v53
	v_dual_add_nc_u32 v52, -1, v52 :: v_dual_add_nc_u32 v53, 4, v53
	v_cndmask_b32_e32 v54, v34, v35, vcc_lo
	v_cmp_eq_u32_e32 vcc_lo, 2, v102
	s_delay_alu instid0(VALU_DEP_2) | instskip(SKIP_1) | instid1(VALU_DEP_2)
	v_cndmask_b32_e32 v54, v54, v36, vcc_lo
	v_cmp_eq_u32_e32 vcc_lo, 3, v102
	v_cndmask_b32_e32 v54, v54, v37, vcc_lo
	v_cmp_eq_u32_e32 vcc_lo, 4, v102
	s_delay_alu instid0(VALU_DEP_2) | instskip(SKIP_1) | instid1(VALU_DEP_2)
	v_cndmask_b32_e32 v54, v54, v38, vcc_lo
	v_cmp_eq_u32_e32 vcc_lo, 5, v102
	;; [unrolled: 5-line block ×7, first 2 shown]
	v_cndmask_b32_e32 v54, v54, v49, vcc_lo
	v_cmp_eq_u32_e32 vcc_lo, 16, v102
	s_delay_alu instid0(VALU_DEP_2) | instskip(SKIP_2) | instid1(VALU_DEP_3)
	v_cndmask_b32_e32 v54, v54, v50, vcc_lo
	v_cmp_eq_u32_e32 vcc_lo, 17, v102
	v_add_nc_u64_e32 v[102:103], 1, v[102:103]
	v_cndmask_b32_e32 v54, v54, v51, vcc_lo
	v_cmp_eq_u32_e32 vcc_lo, 0, v52
	s_wait_dscnt 0x0
	s_delay_alu instid0(VALU_DEP_2) | instskip(SKIP_1) | instid1(SALU_CYCLE_1)
	v_fmac_f32_e32 v106, v54, v55
	s_or_b32 s2, vcc_lo, s2
	s_and_not1_b32 exec_lo, exec_lo, s2
	s_cbranch_execnz .LBB81_93
; %bb.94:
	s_or_b32 exec_lo, exec_lo, s2
.LBB81_95:
	s_delay_alu instid0(SALU_CYCLE_1)
	s_or_b32 exec_lo, exec_lo, s1
.LBB81_96:
	s_delay_alu instid0(SALU_CYCLE_1)
	s_or_b32 exec_lo, exec_lo, s5
	v_mov_b32_e32 v44, 0
	ds_load_b32 v44, v44 offset:40
	s_wait_dscnt 0x0
	v_mul_f32_e32 v44, v106, v44
.LBB81_97:
	s_or_b32 exec_lo, exec_lo, s4
	v_cmp_lt_u32_e64 s1, 9, v0
	ds_store_b32 v105, v43
	s_wait_dscnt 0x0
	s_barrier_signal -1
	s_barrier_wait -1
	s_and_saveexec_b32 s4, s1
	s_cbranch_execz .LBB81_113
; %bb.98:
	s_and_not1_b32 vcc_lo, exec_lo, s22
	s_cbranch_vccnz .LBB81_100
; %bb.99:
	v_cmp_eq_u32_e32 vcc_lo, 1, v0
	ds_load_b32 v103, v105
	v_cndmask_b32_e32 v102, v34, v35, vcc_lo
	v_cmp_eq_u32_e32 vcc_lo, 2, v0
	s_delay_alu instid0(VALU_DEP_2) | instskip(SKIP_1) | instid1(VALU_DEP_2)
	v_cndmask_b32_e32 v102, v102, v36, vcc_lo
	v_cmp_eq_u32_e32 vcc_lo, 3, v0
	v_cndmask_b32_e32 v102, v102, v37, vcc_lo
	v_cmp_eq_u32_e32 vcc_lo, 4, v0
	s_delay_alu instid0(VALU_DEP_2) | instskip(SKIP_1) | instid1(VALU_DEP_2)
	v_cndmask_b32_e32 v102, v102, v38, vcc_lo
	v_cmp_eq_u32_e32 vcc_lo, 5, v0
	;; [unrolled: 5-line block ×8, first 2 shown]
	v_cndmask_b32_e32 v102, v102, v51, vcc_lo
	s_wait_dscnt 0x0
	s_delay_alu instid0(VALU_DEP_1)
	v_mul_f32_e32 v106, v102, v103
	s_cbranch_execz .LBB81_101
	s_branch .LBB81_102
.LBB81_100:
                                        ; implicit-def: $vgpr106
.LBB81_101:
	ds_load_b32 v106, v105
.LBB81_102:
	s_and_saveexec_b32 s5, s0
	s_cbranch_execz .LBB81_112
; %bb.103:
	v_dual_add_nc_u32 v102, -11, v0 :: v_dual_add_nc_u32 v103, -10, v0
	s_delay_alu instid0(VALU_DEP_1)
	v_cmp_lt_u32_e32 vcc_lo, 6, v102
	v_mov_b32_e32 v102, 10
	s_and_saveexec_b32 s0, vcc_lo
	s_cbranch_execz .LBB81_107
; %bb.104:
	v_and_b32_e32 v102, -8, v103
	s_mov_b32 s6, 0
	s_mov_b64 s[2:3], 17
	s_movk_i32 s7, 0x78
	s_delay_alu instid0(VALU_DEP_1)
	v_sub_nc_u32_e32 v104, 0, v102
.LBB81_105:                             ; =>This Inner Loop Header: Depth=1
	s_add_co_i32 m0, s2, -7
	v_movrels_b32_e32 v107, v34
	v_mov_b32_e32 v102, s7
	s_add_co_i32 m0, s2, -6
	s_add_co_i32 s7, s7, 32
	v_movrels_b32_e32 v116, v34
	s_add_co_i32 m0, s2, -5
	ds_load_2addr_b64 v[108:111], v102 offset1:1
	ds_load_2addr_b64 v[112:115], v102 offset0:2 offset1:3
	v_movrels_b32_e32 v102, v34
	s_add_co_i32 m0, s2, -4
	s_wait_dscnt 0x1
	v_fmac_f32_e32 v106, v107, v108
	v_movrels_b32_e32 v107, v34
	s_add_co_i32 m0, s2, -3
	s_delay_alu instid0(VALU_DEP_2) | instskip(NEXT) | instid1(VALU_DEP_1)
	v_fmac_f32_e32 v106, v116, v109
	v_fmac_f32_e32 v106, v102, v110
	v_movrels_b32_e32 v102, v34
	s_add_co_i32 m0, s2, -2
	s_delay_alu instid0(VALU_DEP_2) | instskip(SKIP_3) | instid1(VALU_DEP_2)
	v_fmac_f32_e32 v106, v107, v111
	v_movrels_b32_e32 v107, v34
	s_add_co_i32 m0, s2, -1
	s_wait_dscnt 0x0
	v_fmac_f32_e32 v106, v102, v112
	v_movrels_b32_e32 v102, v34
	s_mov_b32 m0, s2
	s_add_nc_u64 s[2:3], s[2:3], 8
	v_movrels_b32_e32 v108, v34
	v_dual_fmac_f32 v106, v107, v113 :: v_dual_add_nc_u32 v107, s2, v104
	s_add_co_i32 s8, s2, -7
	s_delay_alu instid0(VALU_DEP_1) | instskip(NEXT) | instid1(VALU_DEP_2)
	v_fmac_f32_e32 v106, v102, v114
	v_cmp_eq_u32_e32 vcc_lo, 17, v107
	s_delay_alu instid0(VALU_DEP_2) | instskip(SKIP_1) | instid1(SALU_CYCLE_1)
	v_dual_mov_b32 v102, s8 :: v_dual_fmac_f32 v106, v108, v115
	s_or_b32 s6, vcc_lo, s6
	s_and_not1_b32 exec_lo, exec_lo, s6
	s_cbranch_execnz .LBB81_105
; %bb.106:
	s_or_b32 exec_lo, exec_lo, s6
.LBB81_107:
	s_delay_alu instid0(SALU_CYCLE_1) | instskip(SKIP_3) | instid1(VALU_DEP_1)
	s_or_b32 exec_lo, exec_lo, s0
	v_and_b32_e32 v52, 7, v103
	s_mov_b32 s2, 0
	s_mov_b32 s0, exec_lo
	v_cmpx_ne_u32_e32 0, v52
	s_cbranch_execz .LBB81_111
; %bb.108:
	v_lshl_add_u32 v53, v102, 2, 0x50
	v_mov_b32_e32 v103, 0
.LBB81_109:                             ; =>This Inner Loop Header: Depth=1
	v_cmp_eq_u32_e32 vcc_lo, 1, v102
	ds_load_b32 v55, v53
	v_dual_add_nc_u32 v52, -1, v52 :: v_dual_add_nc_u32 v53, 4, v53
	v_cndmask_b32_e32 v54, v34, v35, vcc_lo
	v_cmp_eq_u32_e32 vcc_lo, 2, v102
	s_delay_alu instid0(VALU_DEP_2) | instskip(SKIP_1) | instid1(VALU_DEP_2)
	v_cndmask_b32_e32 v54, v54, v36, vcc_lo
	v_cmp_eq_u32_e32 vcc_lo, 3, v102
	v_cndmask_b32_e32 v54, v54, v37, vcc_lo
	v_cmp_eq_u32_e32 vcc_lo, 4, v102
	s_delay_alu instid0(VALU_DEP_2) | instskip(SKIP_1) | instid1(VALU_DEP_2)
	v_cndmask_b32_e32 v54, v54, v38, vcc_lo
	v_cmp_eq_u32_e32 vcc_lo, 5, v102
	;; [unrolled: 5-line block ×7, first 2 shown]
	v_cndmask_b32_e32 v54, v54, v49, vcc_lo
	v_cmp_eq_u32_e32 vcc_lo, 16, v102
	s_delay_alu instid0(VALU_DEP_2) | instskip(SKIP_2) | instid1(VALU_DEP_3)
	v_cndmask_b32_e32 v54, v54, v50, vcc_lo
	v_cmp_eq_u32_e32 vcc_lo, 17, v102
	v_add_nc_u64_e32 v[102:103], 1, v[102:103]
	v_cndmask_b32_e32 v54, v54, v51, vcc_lo
	v_cmp_eq_u32_e32 vcc_lo, 0, v52
	s_wait_dscnt 0x0
	s_delay_alu instid0(VALU_DEP_2) | instskip(SKIP_1) | instid1(SALU_CYCLE_1)
	v_fmac_f32_e32 v106, v54, v55
	s_or_b32 s2, vcc_lo, s2
	s_and_not1_b32 exec_lo, exec_lo, s2
	s_cbranch_execnz .LBB81_109
; %bb.110:
	s_or_b32 exec_lo, exec_lo, s2
.LBB81_111:
	s_delay_alu instid0(SALU_CYCLE_1)
	s_or_b32 exec_lo, exec_lo, s0
.LBB81_112:
	s_delay_alu instid0(SALU_CYCLE_1)
	s_or_b32 exec_lo, exec_lo, s5
	v_mov_b32_e32 v43, 0
	ds_load_b32 v43, v43 offset:36
	s_wait_dscnt 0x0
	v_mul_f32_e32 v43, v106, v43
.LBB81_113:
	s_or_b32 exec_lo, exec_lo, s4
	v_cmp_lt_u32_e64 s0, 8, v0
	ds_store_b32 v105, v42
	s_wait_dscnt 0x0
	s_barrier_signal -1
	s_barrier_wait -1
	s_and_saveexec_b32 s4, s0
	s_cbranch_execz .LBB81_129
; %bb.114:
	s_and_not1_b32 vcc_lo, exec_lo, s22
	s_cbranch_vccnz .LBB81_116
; %bb.115:
	v_cmp_eq_u32_e32 vcc_lo, 1, v0
	ds_load_b32 v103, v105
	v_cndmask_b32_e32 v102, v34, v35, vcc_lo
	v_cmp_eq_u32_e32 vcc_lo, 2, v0
	s_delay_alu instid0(VALU_DEP_2) | instskip(SKIP_1) | instid1(VALU_DEP_2)
	v_cndmask_b32_e32 v102, v102, v36, vcc_lo
	v_cmp_eq_u32_e32 vcc_lo, 3, v0
	v_cndmask_b32_e32 v102, v102, v37, vcc_lo
	v_cmp_eq_u32_e32 vcc_lo, 4, v0
	s_delay_alu instid0(VALU_DEP_2) | instskip(SKIP_1) | instid1(VALU_DEP_2)
	v_cndmask_b32_e32 v102, v102, v38, vcc_lo
	v_cmp_eq_u32_e32 vcc_lo, 5, v0
	;; [unrolled: 5-line block ×8, first 2 shown]
	v_cndmask_b32_e32 v102, v102, v51, vcc_lo
	s_wait_dscnt 0x0
	s_delay_alu instid0(VALU_DEP_1)
	v_mul_f32_e32 v106, v102, v103
	s_cbranch_execz .LBB81_117
	s_branch .LBB81_118
.LBB81_116:
                                        ; implicit-def: $vgpr106
.LBB81_117:
	ds_load_b32 v106, v105
.LBB81_118:
	s_and_saveexec_b32 s5, s1
	s_cbranch_execz .LBB81_128
; %bb.119:
	v_dual_add_nc_u32 v102, -10, v0 :: v_dual_add_nc_u32 v103, -9, v0
	s_delay_alu instid0(VALU_DEP_1)
	v_cmp_lt_u32_e32 vcc_lo, 6, v102
	v_mov_b32_e32 v102, 9
	s_and_saveexec_b32 s1, vcc_lo
	s_cbranch_execz .LBB81_123
; %bb.120:
	v_and_b32_e32 v102, -8, v103
	s_mov_b32 s6, 0
	s_mov_b64 s[2:3], 16
	s_movk_i32 s7, 0x74
	s_delay_alu instid0(VALU_DEP_1)
	v_sub_nc_u32_e32 v104, 0, v102
.LBB81_121:                             ; =>This Inner Loop Header: Depth=1
	s_add_co_i32 m0, s2, -7
	v_movrels_b32_e32 v107, v34
	v_mov_b32_e32 v102, s7
	s_add_co_i32 m0, s2, -6
	s_add_co_i32 s7, s7, 32
	v_movrels_b32_e32 v116, v34
	ds_load_2addr_b32 v[108:109], v102 offset1:1
	ds_load_2addr_b32 v[110:111], v102 offset0:2 offset1:3
	s_add_co_i32 m0, s2, -5
	s_wait_dscnt 0x1
	v_fmac_f32_e32 v106, v107, v108
	ds_load_2addr_b32 v[112:113], v102 offset0:4 offset1:5
	ds_load_2addr_b32 v[114:115], v102 offset0:6 offset1:7
	v_movrels_b32_e32 v102, v34
	s_add_co_i32 m0, s2, -4
	v_fmac_f32_e32 v106, v116, v109
	v_movrels_b32_e32 v107, v34
	s_add_co_i32 m0, s2, -3
	s_wait_dscnt 0x2
	s_delay_alu instid0(VALU_DEP_2) | instskip(SKIP_2) | instid1(VALU_DEP_2)
	v_fmac_f32_e32 v106, v102, v110
	v_movrels_b32_e32 v102, v34
	s_add_co_i32 m0, s2, -2
	v_fmac_f32_e32 v106, v107, v111
	v_movrels_b32_e32 v107, v34
	s_add_co_i32 m0, s2, -1
	s_wait_dscnt 0x1
	s_delay_alu instid0(VALU_DEP_2)
	v_fmac_f32_e32 v106, v102, v112
	v_movrels_b32_e32 v102, v34
	s_mov_b32 m0, s2
	s_add_nc_u64 s[2:3], s[2:3], 8
	v_movrels_b32_e32 v108, v34
	v_dual_fmac_f32 v106, v107, v113 :: v_dual_add_nc_u32 v107, s2, v104
	s_add_co_i32 s8, s2, -7
	s_wait_dscnt 0x0
	s_delay_alu instid0(VALU_DEP_1) | instskip(NEXT) | instid1(VALU_DEP_2)
	v_fmac_f32_e32 v106, v102, v114
	v_cmp_eq_u32_e32 vcc_lo, 16, v107
	s_delay_alu instid0(VALU_DEP_2) | instskip(SKIP_1) | instid1(SALU_CYCLE_1)
	v_dual_mov_b32 v102, s8 :: v_dual_fmac_f32 v106, v108, v115
	s_or_b32 s6, vcc_lo, s6
	s_and_not1_b32 exec_lo, exec_lo, s6
	s_cbranch_execnz .LBB81_121
; %bb.122:
	s_or_b32 exec_lo, exec_lo, s6
.LBB81_123:
	s_delay_alu instid0(SALU_CYCLE_1) | instskip(SKIP_3) | instid1(VALU_DEP_1)
	s_or_b32 exec_lo, exec_lo, s1
	v_and_b32_e32 v52, 7, v103
	s_mov_b32 s2, 0
	s_mov_b32 s1, exec_lo
	v_cmpx_ne_u32_e32 0, v52
	s_cbranch_execz .LBB81_127
; %bb.124:
	v_lshl_add_u32 v53, v102, 2, 0x50
	v_mov_b32_e32 v103, 0
.LBB81_125:                             ; =>This Inner Loop Header: Depth=1
	v_cmp_eq_u32_e32 vcc_lo, 1, v102
	ds_load_b32 v55, v53
	v_dual_add_nc_u32 v52, -1, v52 :: v_dual_add_nc_u32 v53, 4, v53
	v_cndmask_b32_e32 v54, v34, v35, vcc_lo
	v_cmp_eq_u32_e32 vcc_lo, 2, v102
	s_delay_alu instid0(VALU_DEP_2) | instskip(SKIP_1) | instid1(VALU_DEP_2)
	v_cndmask_b32_e32 v54, v54, v36, vcc_lo
	v_cmp_eq_u32_e32 vcc_lo, 3, v102
	v_cndmask_b32_e32 v54, v54, v37, vcc_lo
	v_cmp_eq_u32_e32 vcc_lo, 4, v102
	s_delay_alu instid0(VALU_DEP_2) | instskip(SKIP_1) | instid1(VALU_DEP_2)
	v_cndmask_b32_e32 v54, v54, v38, vcc_lo
	v_cmp_eq_u32_e32 vcc_lo, 5, v102
	;; [unrolled: 5-line block ×7, first 2 shown]
	v_cndmask_b32_e32 v54, v54, v49, vcc_lo
	v_cmp_eq_u32_e32 vcc_lo, 16, v102
	s_delay_alu instid0(VALU_DEP_2) | instskip(SKIP_2) | instid1(VALU_DEP_3)
	v_cndmask_b32_e32 v54, v54, v50, vcc_lo
	v_cmp_eq_u32_e32 vcc_lo, 17, v102
	v_add_nc_u64_e32 v[102:103], 1, v[102:103]
	v_cndmask_b32_e32 v54, v54, v51, vcc_lo
	v_cmp_eq_u32_e32 vcc_lo, 0, v52
	s_wait_dscnt 0x0
	s_delay_alu instid0(VALU_DEP_2) | instskip(SKIP_1) | instid1(SALU_CYCLE_1)
	v_fmac_f32_e32 v106, v54, v55
	s_or_b32 s2, vcc_lo, s2
	s_and_not1_b32 exec_lo, exec_lo, s2
	s_cbranch_execnz .LBB81_125
; %bb.126:
	s_or_b32 exec_lo, exec_lo, s2
.LBB81_127:
	s_delay_alu instid0(SALU_CYCLE_1)
	s_or_b32 exec_lo, exec_lo, s1
.LBB81_128:
	s_delay_alu instid0(SALU_CYCLE_1)
	s_or_b32 exec_lo, exec_lo, s5
	v_mov_b32_e32 v42, 0
	ds_load_b32 v42, v42 offset:32
	s_wait_dscnt 0x0
	v_mul_f32_e32 v42, v106, v42
.LBB81_129:
	s_or_b32 exec_lo, exec_lo, s4
	v_cmp_lt_u32_e64 s1, 7, v0
	ds_store_b32 v105, v41
	s_wait_dscnt 0x0
	s_barrier_signal -1
	s_barrier_wait -1
	s_and_saveexec_b32 s4, s1
	s_cbranch_execz .LBB81_145
; %bb.130:
	s_and_not1_b32 vcc_lo, exec_lo, s22
	s_cbranch_vccnz .LBB81_132
; %bb.131:
	v_cmp_eq_u32_e32 vcc_lo, 1, v0
	ds_load_b32 v103, v105
	v_cndmask_b32_e32 v102, v34, v35, vcc_lo
	v_cmp_eq_u32_e32 vcc_lo, 2, v0
	s_delay_alu instid0(VALU_DEP_2) | instskip(SKIP_1) | instid1(VALU_DEP_2)
	v_cndmask_b32_e32 v102, v102, v36, vcc_lo
	v_cmp_eq_u32_e32 vcc_lo, 3, v0
	v_cndmask_b32_e32 v102, v102, v37, vcc_lo
	v_cmp_eq_u32_e32 vcc_lo, 4, v0
	s_delay_alu instid0(VALU_DEP_2) | instskip(SKIP_1) | instid1(VALU_DEP_2)
	v_cndmask_b32_e32 v102, v102, v38, vcc_lo
	v_cmp_eq_u32_e32 vcc_lo, 5, v0
	;; [unrolled: 5-line block ×8, first 2 shown]
	v_cndmask_b32_e32 v102, v102, v51, vcc_lo
	s_wait_dscnt 0x0
	s_delay_alu instid0(VALU_DEP_1)
	v_mul_f32_e32 v106, v102, v103
	s_cbranch_execz .LBB81_133
	s_branch .LBB81_134
.LBB81_132:
                                        ; implicit-def: $vgpr106
.LBB81_133:
	ds_load_b32 v106, v105
.LBB81_134:
	s_and_saveexec_b32 s5, s0
	s_cbranch_execz .LBB81_144
; %bb.135:
	v_add_nc_u32_e32 v102, -9, v0
	s_delay_alu instid0(VALU_DEP_1)
	v_cmp_lt_u32_e32 vcc_lo, 6, v102
	v_mov_b32_e32 v102, 8
	s_and_saveexec_b32 s0, vcc_lo
	s_cbranch_execz .LBB81_139
; %bb.136:
	v_and_b32_e32 v102, 24, v0
	s_mov_b32 s6, 0
	s_mov_b64 s[2:3], 15
	s_movk_i32 s7, 0x70
	s_delay_alu instid0(VALU_DEP_1)
	v_sub_nc_u32_e32 v104, 0, v102
.LBB81_137:                             ; =>This Inner Loop Header: Depth=1
	s_add_co_i32 m0, s2, -7
	v_movrels_b32_e32 v103, v34
	v_mov_b32_e32 v102, s7
	s_add_co_i32 m0, s2, -6
	s_add_co_i32 s7, s7, 32
	v_movrels_b32_e32 v107, v34
	s_add_co_i32 m0, s2, -5
	ds_load_b128 v[108:111], v102
	ds_load_b128 v[112:115], v102 offset:16
	v_movrels_b32_e32 v102, v34
	s_add_co_i32 m0, s2, -4
	s_wait_dscnt 0x1
	v_fmac_f32_e32 v106, v103, v108
	v_movrels_b32_e32 v103, v34
	s_add_co_i32 m0, s2, -3
	s_delay_alu instid0(VALU_DEP_2) | instskip(NEXT) | instid1(VALU_DEP_1)
	v_fmac_f32_e32 v106, v107, v109
	v_fmac_f32_e32 v106, v102, v110
	v_movrels_b32_e32 v102, v34
	s_add_co_i32 m0, s2, -2
	s_delay_alu instid0(VALU_DEP_2) | instskip(SKIP_3) | instid1(VALU_DEP_2)
	v_fmac_f32_e32 v106, v103, v111
	v_movrels_b32_e32 v103, v34
	s_add_co_i32 m0, s2, -1
	s_wait_dscnt 0x0
	v_fmac_f32_e32 v106, v102, v112
	v_movrels_b32_e32 v102, v34
	s_mov_b32 m0, s2
	s_add_nc_u64 s[2:3], s[2:3], 8
	v_movrels_b32_e32 v107, v34
	v_dual_fmac_f32 v106, v103, v113 :: v_dual_add_nc_u32 v103, s2, v104
	s_add_co_i32 s8, s2, -7
	s_delay_alu instid0(VALU_DEP_1) | instskip(NEXT) | instid1(VALU_DEP_2)
	v_fmac_f32_e32 v106, v102, v114
	v_cmp_eq_u32_e32 vcc_lo, 7, v103
	s_delay_alu instid0(VALU_DEP_2) | instskip(SKIP_1) | instid1(SALU_CYCLE_1)
	v_dual_mov_b32 v102, s8 :: v_dual_fmac_f32 v106, v107, v115
	s_or_b32 s6, vcc_lo, s6
	s_and_not1_b32 exec_lo, exec_lo, s6
	s_cbranch_execnz .LBB81_137
; %bb.138:
	s_or_b32 exec_lo, exec_lo, s6
.LBB81_139:
	s_delay_alu instid0(SALU_CYCLE_1) | instskip(SKIP_3) | instid1(VALU_DEP_1)
	s_or_b32 exec_lo, exec_lo, s0
	v_and_b32_e32 v52, 7, v0
	s_mov_b32 s2, 0
	s_mov_b32 s0, exec_lo
	v_cmpx_ne_u32_e32 0, v52
	s_cbranch_execz .LBB81_143
; %bb.140:
	v_lshl_add_u32 v53, v102, 2, 0x50
	v_mov_b32_e32 v103, 0
.LBB81_141:                             ; =>This Inner Loop Header: Depth=1
	v_cmp_eq_u32_e32 vcc_lo, 1, v102
	ds_load_b32 v55, v53
	v_dual_add_nc_u32 v52, -1, v52 :: v_dual_add_nc_u32 v53, 4, v53
	v_cndmask_b32_e32 v54, v34, v35, vcc_lo
	v_cmp_eq_u32_e32 vcc_lo, 2, v102
	s_delay_alu instid0(VALU_DEP_2) | instskip(SKIP_1) | instid1(VALU_DEP_2)
	v_cndmask_b32_e32 v54, v54, v36, vcc_lo
	v_cmp_eq_u32_e32 vcc_lo, 3, v102
	v_cndmask_b32_e32 v54, v54, v37, vcc_lo
	v_cmp_eq_u32_e32 vcc_lo, 4, v102
	s_delay_alu instid0(VALU_DEP_2) | instskip(SKIP_1) | instid1(VALU_DEP_2)
	v_cndmask_b32_e32 v54, v54, v38, vcc_lo
	v_cmp_eq_u32_e32 vcc_lo, 5, v102
	v_cndmask_b32_e32 v54, v54, v39, vcc_lo
	v_cmp_eq_u32_e32 vcc_lo, 6, v102
	s_delay_alu instid0(VALU_DEP_2) | instskip(SKIP_1) | instid1(VALU_DEP_2)
	v_cndmask_b32_e32 v54, v54, v40, vcc_lo
	v_cmp_eq_u32_e32 vcc_lo, 7, v102
	v_cndmask_b32_e32 v54, v54, v41, vcc_lo
	v_cmp_eq_u32_e32 vcc_lo, 8, v102
	s_delay_alu instid0(VALU_DEP_2) | instskip(SKIP_1) | instid1(VALU_DEP_2)
	v_cndmask_b32_e32 v54, v54, v42, vcc_lo
	v_cmp_eq_u32_e32 vcc_lo, 9, v102
	v_cndmask_b32_e32 v54, v54, v43, vcc_lo
	v_cmp_eq_u32_e32 vcc_lo, 10, v102
	s_delay_alu instid0(VALU_DEP_2) | instskip(SKIP_1) | instid1(VALU_DEP_2)
	v_cndmask_b32_e32 v54, v54, v44, vcc_lo
	v_cmp_eq_u32_e32 vcc_lo, 11, v102
	v_cndmask_b32_e32 v54, v54, v45, vcc_lo
	v_cmp_eq_u32_e32 vcc_lo, 12, v102
	s_delay_alu instid0(VALU_DEP_2) | instskip(SKIP_1) | instid1(VALU_DEP_2)
	v_cndmask_b32_e32 v54, v54, v46, vcc_lo
	v_cmp_eq_u32_e32 vcc_lo, 13, v102
	v_cndmask_b32_e32 v54, v54, v47, vcc_lo
	v_cmp_eq_u32_e32 vcc_lo, 14, v102
	s_delay_alu instid0(VALU_DEP_2) | instskip(SKIP_1) | instid1(VALU_DEP_2)
	v_cndmask_b32_e32 v54, v54, v48, vcc_lo
	v_cmp_eq_u32_e32 vcc_lo, 15, v102
	v_cndmask_b32_e32 v54, v54, v49, vcc_lo
	v_cmp_eq_u32_e32 vcc_lo, 16, v102
	s_delay_alu instid0(VALU_DEP_2) | instskip(SKIP_2) | instid1(VALU_DEP_3)
	v_cndmask_b32_e32 v54, v54, v50, vcc_lo
	v_cmp_eq_u32_e32 vcc_lo, 17, v102
	v_add_nc_u64_e32 v[102:103], 1, v[102:103]
	v_cndmask_b32_e32 v54, v54, v51, vcc_lo
	v_cmp_eq_u32_e32 vcc_lo, 0, v52
	s_wait_dscnt 0x0
	s_delay_alu instid0(VALU_DEP_2) | instskip(SKIP_1) | instid1(SALU_CYCLE_1)
	v_fmac_f32_e32 v106, v54, v55
	s_or_b32 s2, vcc_lo, s2
	s_and_not1_b32 exec_lo, exec_lo, s2
	s_cbranch_execnz .LBB81_141
; %bb.142:
	s_or_b32 exec_lo, exec_lo, s2
.LBB81_143:
	s_delay_alu instid0(SALU_CYCLE_1)
	s_or_b32 exec_lo, exec_lo, s0
.LBB81_144:
	s_delay_alu instid0(SALU_CYCLE_1)
	s_or_b32 exec_lo, exec_lo, s5
	v_mov_b32_e32 v41, 0
	ds_load_b32 v41, v41 offset:28
	s_wait_dscnt 0x0
	v_mul_f32_e32 v41, v106, v41
.LBB81_145:
	s_or_b32 exec_lo, exec_lo, s4
	v_cmp_lt_u32_e64 s0, 6, v0
	ds_store_b32 v105, v40
	s_wait_dscnt 0x0
	s_barrier_signal -1
	s_barrier_wait -1
	s_and_saveexec_b32 s4, s0
	s_cbranch_execz .LBB81_161
; %bb.146:
	s_and_not1_b32 vcc_lo, exec_lo, s22
	s_cbranch_vccnz .LBB81_148
; %bb.147:
	v_cmp_eq_u32_e32 vcc_lo, 1, v0
	ds_load_b32 v103, v105
	v_cndmask_b32_e32 v102, v34, v35, vcc_lo
	v_cmp_eq_u32_e32 vcc_lo, 2, v0
	s_delay_alu instid0(VALU_DEP_2) | instskip(SKIP_1) | instid1(VALU_DEP_2)
	v_cndmask_b32_e32 v102, v102, v36, vcc_lo
	v_cmp_eq_u32_e32 vcc_lo, 3, v0
	v_cndmask_b32_e32 v102, v102, v37, vcc_lo
	v_cmp_eq_u32_e32 vcc_lo, 4, v0
	s_delay_alu instid0(VALU_DEP_2) | instskip(SKIP_1) | instid1(VALU_DEP_2)
	v_cndmask_b32_e32 v102, v102, v38, vcc_lo
	v_cmp_eq_u32_e32 vcc_lo, 5, v0
	;; [unrolled: 5-line block ×8, first 2 shown]
	v_cndmask_b32_e32 v102, v102, v51, vcc_lo
	s_wait_dscnt 0x0
	s_delay_alu instid0(VALU_DEP_1)
	v_mul_f32_e32 v106, v102, v103
	s_cbranch_execz .LBB81_149
	s_branch .LBB81_150
.LBB81_148:
                                        ; implicit-def: $vgpr106
.LBB81_149:
	ds_load_b32 v106, v105
.LBB81_150:
	s_and_saveexec_b32 s5, s1
	s_cbranch_execz .LBB81_160
; %bb.151:
	v_dual_add_nc_u32 v102, -8, v0 :: v_dual_add_nc_u32 v103, -7, v0
	s_delay_alu instid0(VALU_DEP_1)
	v_cmp_lt_u32_e32 vcc_lo, 6, v102
	v_mov_b32_e32 v102, 7
	s_and_saveexec_b32 s1, vcc_lo
	s_cbranch_execz .LBB81_155
; %bb.152:
	v_and_b32_e32 v102, -8, v103
	s_mov_b32 s6, 0
	s_mov_b64 s[2:3], 14
	s_movk_i32 s7, 0x6c
	s_delay_alu instid0(VALU_DEP_1)
	v_sub_nc_u32_e32 v104, 0, v102
.LBB81_153:                             ; =>This Inner Loop Header: Depth=1
	s_add_co_i32 m0, s2, -7
	v_movrels_b32_e32 v107, v34
	v_mov_b32_e32 v102, s7
	s_add_co_i32 m0, s2, -6
	s_add_co_i32 s7, s7, 32
	v_movrels_b32_e32 v116, v34
	ds_load_2addr_b32 v[108:109], v102 offset1:1
	ds_load_2addr_b32 v[110:111], v102 offset0:2 offset1:3
	s_add_co_i32 m0, s2, -5
	s_wait_dscnt 0x1
	v_fmac_f32_e32 v106, v107, v108
	ds_load_2addr_b32 v[112:113], v102 offset0:4 offset1:5
	ds_load_2addr_b32 v[114:115], v102 offset0:6 offset1:7
	v_movrels_b32_e32 v102, v34
	s_add_co_i32 m0, s2, -4
	v_fmac_f32_e32 v106, v116, v109
	v_movrels_b32_e32 v107, v34
	s_add_co_i32 m0, s2, -3
	s_wait_dscnt 0x2
	s_delay_alu instid0(VALU_DEP_2) | instskip(SKIP_2) | instid1(VALU_DEP_2)
	v_fmac_f32_e32 v106, v102, v110
	v_movrels_b32_e32 v102, v34
	s_add_co_i32 m0, s2, -2
	v_fmac_f32_e32 v106, v107, v111
	v_movrels_b32_e32 v107, v34
	s_add_co_i32 m0, s2, -1
	s_wait_dscnt 0x1
	s_delay_alu instid0(VALU_DEP_2)
	v_fmac_f32_e32 v106, v102, v112
	v_movrels_b32_e32 v102, v34
	s_mov_b32 m0, s2
	s_add_nc_u64 s[2:3], s[2:3], 8
	v_movrels_b32_e32 v108, v34
	v_dual_fmac_f32 v106, v107, v113 :: v_dual_add_nc_u32 v107, s2, v104
	s_add_co_i32 s8, s2, -7
	s_wait_dscnt 0x0
	s_delay_alu instid0(VALU_DEP_1) | instskip(NEXT) | instid1(VALU_DEP_2)
	v_fmac_f32_e32 v106, v102, v114
	v_cmp_eq_u32_e32 vcc_lo, 14, v107
	s_delay_alu instid0(VALU_DEP_2) | instskip(SKIP_1) | instid1(SALU_CYCLE_1)
	v_dual_mov_b32 v102, s8 :: v_dual_fmac_f32 v106, v108, v115
	s_or_b32 s6, vcc_lo, s6
	s_and_not1_b32 exec_lo, exec_lo, s6
	s_cbranch_execnz .LBB81_153
; %bb.154:
	s_or_b32 exec_lo, exec_lo, s6
.LBB81_155:
	s_delay_alu instid0(SALU_CYCLE_1) | instskip(SKIP_3) | instid1(VALU_DEP_1)
	s_or_b32 exec_lo, exec_lo, s1
	v_and_b32_e32 v52, 7, v103
	s_mov_b32 s2, 0
	s_mov_b32 s1, exec_lo
	v_cmpx_ne_u32_e32 0, v52
	s_cbranch_execz .LBB81_159
; %bb.156:
	v_lshl_add_u32 v53, v102, 2, 0x50
	v_mov_b32_e32 v103, 0
.LBB81_157:                             ; =>This Inner Loop Header: Depth=1
	v_cmp_eq_u32_e32 vcc_lo, 1, v102
	ds_load_b32 v55, v53
	v_dual_add_nc_u32 v52, -1, v52 :: v_dual_add_nc_u32 v53, 4, v53
	v_cndmask_b32_e32 v54, v34, v35, vcc_lo
	v_cmp_eq_u32_e32 vcc_lo, 2, v102
	s_delay_alu instid0(VALU_DEP_2) | instskip(SKIP_1) | instid1(VALU_DEP_2)
	v_cndmask_b32_e32 v54, v54, v36, vcc_lo
	v_cmp_eq_u32_e32 vcc_lo, 3, v102
	v_cndmask_b32_e32 v54, v54, v37, vcc_lo
	v_cmp_eq_u32_e32 vcc_lo, 4, v102
	s_delay_alu instid0(VALU_DEP_2) | instskip(SKIP_1) | instid1(VALU_DEP_2)
	v_cndmask_b32_e32 v54, v54, v38, vcc_lo
	v_cmp_eq_u32_e32 vcc_lo, 5, v102
	;; [unrolled: 5-line block ×7, first 2 shown]
	v_cndmask_b32_e32 v54, v54, v49, vcc_lo
	v_cmp_eq_u32_e32 vcc_lo, 16, v102
	s_delay_alu instid0(VALU_DEP_2) | instskip(SKIP_2) | instid1(VALU_DEP_3)
	v_cndmask_b32_e32 v54, v54, v50, vcc_lo
	v_cmp_eq_u32_e32 vcc_lo, 17, v102
	v_add_nc_u64_e32 v[102:103], 1, v[102:103]
	v_cndmask_b32_e32 v54, v54, v51, vcc_lo
	v_cmp_eq_u32_e32 vcc_lo, 0, v52
	s_wait_dscnt 0x0
	s_delay_alu instid0(VALU_DEP_2) | instskip(SKIP_1) | instid1(SALU_CYCLE_1)
	v_fmac_f32_e32 v106, v54, v55
	s_or_b32 s2, vcc_lo, s2
	s_and_not1_b32 exec_lo, exec_lo, s2
	s_cbranch_execnz .LBB81_157
; %bb.158:
	s_or_b32 exec_lo, exec_lo, s2
.LBB81_159:
	s_delay_alu instid0(SALU_CYCLE_1)
	s_or_b32 exec_lo, exec_lo, s1
.LBB81_160:
	s_delay_alu instid0(SALU_CYCLE_1)
	s_or_b32 exec_lo, exec_lo, s5
	v_mov_b32_e32 v40, 0
	ds_load_b32 v40, v40 offset:24
	s_wait_dscnt 0x0
	v_mul_f32_e32 v40, v106, v40
.LBB81_161:
	s_or_b32 exec_lo, exec_lo, s4
	v_cmp_lt_u32_e64 s1, 5, v0
	ds_store_b32 v105, v39
	s_wait_dscnt 0x0
	s_barrier_signal -1
	s_barrier_wait -1
	s_and_saveexec_b32 s4, s1
	s_cbranch_execz .LBB81_177
; %bb.162:
	s_and_not1_b32 vcc_lo, exec_lo, s22
	s_cbranch_vccnz .LBB81_164
; %bb.163:
	v_cmp_eq_u32_e32 vcc_lo, 1, v0
	ds_load_b32 v103, v105
	v_cndmask_b32_e32 v102, v34, v35, vcc_lo
	v_cmp_eq_u32_e32 vcc_lo, 2, v0
	s_delay_alu instid0(VALU_DEP_2) | instskip(SKIP_1) | instid1(VALU_DEP_2)
	v_cndmask_b32_e32 v102, v102, v36, vcc_lo
	v_cmp_eq_u32_e32 vcc_lo, 3, v0
	v_cndmask_b32_e32 v102, v102, v37, vcc_lo
	v_cmp_eq_u32_e32 vcc_lo, 4, v0
	s_delay_alu instid0(VALU_DEP_2) | instskip(SKIP_1) | instid1(VALU_DEP_2)
	v_cndmask_b32_e32 v102, v102, v38, vcc_lo
	v_cmp_eq_u32_e32 vcc_lo, 5, v0
	;; [unrolled: 5-line block ×8, first 2 shown]
	v_cndmask_b32_e32 v102, v102, v51, vcc_lo
	s_wait_dscnt 0x0
	s_delay_alu instid0(VALU_DEP_1)
	v_mul_f32_e32 v106, v102, v103
	s_cbranch_execz .LBB81_165
	s_branch .LBB81_166
.LBB81_164:
                                        ; implicit-def: $vgpr106
.LBB81_165:
	ds_load_b32 v106, v105
.LBB81_166:
	s_and_saveexec_b32 s5, s0
	s_cbranch_execz .LBB81_176
; %bb.167:
	v_dual_add_nc_u32 v104, -7, v0 :: v_dual_add_nc_u32 v103, -6, v0
	v_mov_b32_e32 v102, 6
	s_mov_b32 s0, exec_lo
	s_delay_alu instid0(VALU_DEP_2)
	v_cmpx_lt_u32_e32 6, v104
	s_cbranch_execz .LBB81_171
; %bb.168:
	v_and_b32_e32 v102, -8, v103
	s_mov_b32 s6, 0
	s_mov_b64 s[2:3], 13
	s_movk_i32 s7, 0x68
	s_delay_alu instid0(VALU_DEP_1)
	v_sub_nc_u32_e32 v104, 0, v102
.LBB81_169:                             ; =>This Inner Loop Header: Depth=1
	s_add_co_i32 m0, s2, -7
	v_movrels_b32_e32 v107, v34
	v_mov_b32_e32 v102, s7
	s_add_co_i32 m0, s2, -6
	s_add_co_i32 s7, s7, 32
	v_movrels_b32_e32 v116, v34
	s_add_co_i32 m0, s2, -5
	ds_load_2addr_b64 v[108:111], v102 offset1:1
	ds_load_2addr_b64 v[112:115], v102 offset0:2 offset1:3
	v_movrels_b32_e32 v102, v34
	s_add_co_i32 m0, s2, -4
	s_wait_dscnt 0x1
	v_fmac_f32_e32 v106, v107, v108
	v_movrels_b32_e32 v107, v34
	s_add_co_i32 m0, s2, -3
	s_delay_alu instid0(VALU_DEP_2) | instskip(NEXT) | instid1(VALU_DEP_1)
	v_fmac_f32_e32 v106, v116, v109
	v_fmac_f32_e32 v106, v102, v110
	v_movrels_b32_e32 v102, v34
	s_add_co_i32 m0, s2, -2
	s_delay_alu instid0(VALU_DEP_2) | instskip(SKIP_3) | instid1(VALU_DEP_2)
	v_fmac_f32_e32 v106, v107, v111
	v_movrels_b32_e32 v107, v34
	s_add_co_i32 m0, s2, -1
	s_wait_dscnt 0x0
	v_fmac_f32_e32 v106, v102, v112
	v_movrels_b32_e32 v102, v34
	s_mov_b32 m0, s2
	s_add_nc_u64 s[2:3], s[2:3], 8
	v_movrels_b32_e32 v108, v34
	v_dual_fmac_f32 v106, v107, v113 :: v_dual_add_nc_u32 v107, s2, v104
	s_add_co_i32 s8, s2, -7
	s_delay_alu instid0(VALU_DEP_1) | instskip(NEXT) | instid1(VALU_DEP_2)
	v_fmac_f32_e32 v106, v102, v114
	v_cmp_eq_u32_e32 vcc_lo, 13, v107
	s_delay_alu instid0(VALU_DEP_2) | instskip(SKIP_1) | instid1(SALU_CYCLE_1)
	v_dual_mov_b32 v102, s8 :: v_dual_fmac_f32 v106, v108, v115
	s_or_b32 s6, vcc_lo, s6
	s_and_not1_b32 exec_lo, exec_lo, s6
	s_cbranch_execnz .LBB81_169
; %bb.170:
	s_or_b32 exec_lo, exec_lo, s6
.LBB81_171:
	s_delay_alu instid0(SALU_CYCLE_1) | instskip(SKIP_3) | instid1(VALU_DEP_1)
	s_or_b32 exec_lo, exec_lo, s0
	v_and_b32_e32 v52, 7, v103
	s_mov_b32 s2, 0
	s_mov_b32 s0, exec_lo
	v_cmpx_ne_u32_e32 0, v52
	s_cbranch_execz .LBB81_175
; %bb.172:
	v_lshl_add_u32 v53, v102, 2, 0x50
	v_mov_b32_e32 v103, 0
.LBB81_173:                             ; =>This Inner Loop Header: Depth=1
	v_cmp_eq_u32_e32 vcc_lo, 1, v102
	ds_load_b32 v55, v53
	v_dual_add_nc_u32 v52, -1, v52 :: v_dual_add_nc_u32 v53, 4, v53
	v_cndmask_b32_e32 v54, v34, v35, vcc_lo
	v_cmp_eq_u32_e32 vcc_lo, 2, v102
	s_delay_alu instid0(VALU_DEP_2) | instskip(SKIP_1) | instid1(VALU_DEP_2)
	v_cndmask_b32_e32 v54, v54, v36, vcc_lo
	v_cmp_eq_u32_e32 vcc_lo, 3, v102
	v_cndmask_b32_e32 v54, v54, v37, vcc_lo
	v_cmp_eq_u32_e32 vcc_lo, 4, v102
	s_delay_alu instid0(VALU_DEP_2) | instskip(SKIP_1) | instid1(VALU_DEP_2)
	v_cndmask_b32_e32 v54, v54, v38, vcc_lo
	v_cmp_eq_u32_e32 vcc_lo, 5, v102
	;; [unrolled: 5-line block ×7, first 2 shown]
	v_cndmask_b32_e32 v54, v54, v49, vcc_lo
	v_cmp_eq_u32_e32 vcc_lo, 16, v102
	s_delay_alu instid0(VALU_DEP_2) | instskip(SKIP_2) | instid1(VALU_DEP_3)
	v_cndmask_b32_e32 v54, v54, v50, vcc_lo
	v_cmp_eq_u32_e32 vcc_lo, 17, v102
	v_add_nc_u64_e32 v[102:103], 1, v[102:103]
	v_cndmask_b32_e32 v54, v54, v51, vcc_lo
	v_cmp_eq_u32_e32 vcc_lo, 0, v52
	s_wait_dscnt 0x0
	s_delay_alu instid0(VALU_DEP_2) | instskip(SKIP_1) | instid1(SALU_CYCLE_1)
	v_fmac_f32_e32 v106, v54, v55
	s_or_b32 s2, vcc_lo, s2
	s_and_not1_b32 exec_lo, exec_lo, s2
	s_cbranch_execnz .LBB81_173
; %bb.174:
	s_or_b32 exec_lo, exec_lo, s2
.LBB81_175:
	s_delay_alu instid0(SALU_CYCLE_1)
	s_or_b32 exec_lo, exec_lo, s0
.LBB81_176:
	s_delay_alu instid0(SALU_CYCLE_1)
	s_or_b32 exec_lo, exec_lo, s5
	v_mov_b32_e32 v39, 0
	ds_load_b32 v39, v39 offset:20
	s_wait_dscnt 0x0
	v_mul_f32_e32 v39, v106, v39
.LBB81_177:
	s_or_b32 exec_lo, exec_lo, s4
	v_cmp_lt_u32_e64 s0, 4, v0
	ds_store_b32 v105, v38
	s_wait_dscnt 0x0
	s_barrier_signal -1
	s_barrier_wait -1
	s_and_saveexec_b32 s4, s0
	s_cbranch_execz .LBB81_193
; %bb.178:
	s_and_not1_b32 vcc_lo, exec_lo, s22
	s_cbranch_vccnz .LBB81_180
; %bb.179:
	v_cmp_eq_u32_e32 vcc_lo, 1, v0
	ds_load_b32 v103, v105
	v_cndmask_b32_e32 v102, v34, v35, vcc_lo
	v_cmp_eq_u32_e32 vcc_lo, 2, v0
	s_delay_alu instid0(VALU_DEP_2) | instskip(SKIP_1) | instid1(VALU_DEP_2)
	v_cndmask_b32_e32 v102, v102, v36, vcc_lo
	v_cmp_eq_u32_e32 vcc_lo, 3, v0
	v_cndmask_b32_e32 v102, v102, v37, vcc_lo
	v_cmp_eq_u32_e32 vcc_lo, 4, v0
	s_delay_alu instid0(VALU_DEP_2) | instskip(SKIP_1) | instid1(VALU_DEP_2)
	v_cndmask_b32_e32 v102, v102, v38, vcc_lo
	v_cmp_eq_u32_e32 vcc_lo, 5, v0
	;; [unrolled: 5-line block ×8, first 2 shown]
	v_cndmask_b32_e32 v102, v102, v51, vcc_lo
	s_wait_dscnt 0x0
	s_delay_alu instid0(VALU_DEP_1)
	v_mul_f32_e32 v106, v102, v103
	s_cbranch_execz .LBB81_181
	s_branch .LBB81_182
.LBB81_180:
                                        ; implicit-def: $vgpr106
.LBB81_181:
	ds_load_b32 v106, v105
.LBB81_182:
	s_and_saveexec_b32 s5, s1
	s_cbranch_execz .LBB81_192
; %bb.183:
	v_dual_add_nc_u32 v102, -6, v0 :: v_dual_add_nc_u32 v103, -5, v0
	s_delay_alu instid0(VALU_DEP_1)
	v_cmp_lt_u32_e32 vcc_lo, 6, v102
	v_mov_b32_e32 v102, 5
	s_and_saveexec_b32 s1, vcc_lo
	s_cbranch_execz .LBB81_187
; %bb.184:
	v_and_b32_e32 v102, -8, v103
	s_mov_b32 s6, 0
	s_mov_b64 s[2:3], 12
	s_movk_i32 s7, 0x64
	s_delay_alu instid0(VALU_DEP_1)
	v_sub_nc_u32_e32 v104, 0, v102
.LBB81_185:                             ; =>This Inner Loop Header: Depth=1
	s_add_co_i32 m0, s2, -7
	v_movrels_b32_e32 v107, v34
	v_mov_b32_e32 v102, s7
	s_add_co_i32 m0, s2, -6
	s_add_co_i32 s7, s7, 32
	v_movrels_b32_e32 v116, v34
	ds_load_2addr_b32 v[108:109], v102 offset1:1
	ds_load_2addr_b32 v[110:111], v102 offset0:2 offset1:3
	s_add_co_i32 m0, s2, -5
	s_wait_dscnt 0x1
	v_fmac_f32_e32 v106, v107, v108
	ds_load_2addr_b32 v[112:113], v102 offset0:4 offset1:5
	ds_load_2addr_b32 v[114:115], v102 offset0:6 offset1:7
	v_movrels_b32_e32 v102, v34
	s_add_co_i32 m0, s2, -4
	v_fmac_f32_e32 v106, v116, v109
	v_movrels_b32_e32 v107, v34
	s_add_co_i32 m0, s2, -3
	s_wait_dscnt 0x2
	s_delay_alu instid0(VALU_DEP_2) | instskip(SKIP_2) | instid1(VALU_DEP_2)
	v_fmac_f32_e32 v106, v102, v110
	v_movrels_b32_e32 v102, v34
	s_add_co_i32 m0, s2, -2
	v_fmac_f32_e32 v106, v107, v111
	v_movrels_b32_e32 v107, v34
	s_add_co_i32 m0, s2, -1
	s_wait_dscnt 0x1
	s_delay_alu instid0(VALU_DEP_2)
	v_fmac_f32_e32 v106, v102, v112
	v_movrels_b32_e32 v102, v34
	s_mov_b32 m0, s2
	s_add_nc_u64 s[2:3], s[2:3], 8
	v_movrels_b32_e32 v108, v34
	v_dual_fmac_f32 v106, v107, v113 :: v_dual_add_nc_u32 v107, s2, v104
	s_add_co_i32 s8, s2, -7
	s_wait_dscnt 0x0
	s_delay_alu instid0(VALU_DEP_1) | instskip(NEXT) | instid1(VALU_DEP_2)
	v_fmac_f32_e32 v106, v102, v114
	v_cmp_eq_u32_e32 vcc_lo, 12, v107
	s_delay_alu instid0(VALU_DEP_2) | instskip(SKIP_1) | instid1(SALU_CYCLE_1)
	v_dual_mov_b32 v102, s8 :: v_dual_fmac_f32 v106, v108, v115
	s_or_b32 s6, vcc_lo, s6
	s_and_not1_b32 exec_lo, exec_lo, s6
	s_cbranch_execnz .LBB81_185
; %bb.186:
	s_or_b32 exec_lo, exec_lo, s6
.LBB81_187:
	s_delay_alu instid0(SALU_CYCLE_1) | instskip(SKIP_3) | instid1(VALU_DEP_1)
	s_or_b32 exec_lo, exec_lo, s1
	v_and_b32_e32 v52, 7, v103
	s_mov_b32 s2, 0
	s_mov_b32 s1, exec_lo
	v_cmpx_ne_u32_e32 0, v52
	s_cbranch_execz .LBB81_191
; %bb.188:
	v_lshl_add_u32 v53, v102, 2, 0x50
	v_mov_b32_e32 v103, 0
.LBB81_189:                             ; =>This Inner Loop Header: Depth=1
	v_cmp_eq_u32_e32 vcc_lo, 1, v102
	ds_load_b32 v55, v53
	v_dual_add_nc_u32 v52, -1, v52 :: v_dual_add_nc_u32 v53, 4, v53
	v_cndmask_b32_e32 v54, v34, v35, vcc_lo
	v_cmp_eq_u32_e32 vcc_lo, 2, v102
	s_delay_alu instid0(VALU_DEP_2) | instskip(SKIP_1) | instid1(VALU_DEP_2)
	v_cndmask_b32_e32 v54, v54, v36, vcc_lo
	v_cmp_eq_u32_e32 vcc_lo, 3, v102
	v_cndmask_b32_e32 v54, v54, v37, vcc_lo
	v_cmp_eq_u32_e32 vcc_lo, 4, v102
	s_delay_alu instid0(VALU_DEP_2) | instskip(SKIP_1) | instid1(VALU_DEP_2)
	v_cndmask_b32_e32 v54, v54, v38, vcc_lo
	v_cmp_eq_u32_e32 vcc_lo, 5, v102
	v_cndmask_b32_e32 v54, v54, v39, vcc_lo
	v_cmp_eq_u32_e32 vcc_lo, 6, v102
	s_delay_alu instid0(VALU_DEP_2) | instskip(SKIP_1) | instid1(VALU_DEP_2)
	v_cndmask_b32_e32 v54, v54, v40, vcc_lo
	v_cmp_eq_u32_e32 vcc_lo, 7, v102
	v_cndmask_b32_e32 v54, v54, v41, vcc_lo
	v_cmp_eq_u32_e32 vcc_lo, 8, v102
	s_delay_alu instid0(VALU_DEP_2) | instskip(SKIP_1) | instid1(VALU_DEP_2)
	v_cndmask_b32_e32 v54, v54, v42, vcc_lo
	v_cmp_eq_u32_e32 vcc_lo, 9, v102
	v_cndmask_b32_e32 v54, v54, v43, vcc_lo
	v_cmp_eq_u32_e32 vcc_lo, 10, v102
	s_delay_alu instid0(VALU_DEP_2) | instskip(SKIP_1) | instid1(VALU_DEP_2)
	v_cndmask_b32_e32 v54, v54, v44, vcc_lo
	v_cmp_eq_u32_e32 vcc_lo, 11, v102
	v_cndmask_b32_e32 v54, v54, v45, vcc_lo
	v_cmp_eq_u32_e32 vcc_lo, 12, v102
	s_delay_alu instid0(VALU_DEP_2) | instskip(SKIP_1) | instid1(VALU_DEP_2)
	v_cndmask_b32_e32 v54, v54, v46, vcc_lo
	v_cmp_eq_u32_e32 vcc_lo, 13, v102
	v_cndmask_b32_e32 v54, v54, v47, vcc_lo
	v_cmp_eq_u32_e32 vcc_lo, 14, v102
	s_delay_alu instid0(VALU_DEP_2) | instskip(SKIP_1) | instid1(VALU_DEP_2)
	v_cndmask_b32_e32 v54, v54, v48, vcc_lo
	v_cmp_eq_u32_e32 vcc_lo, 15, v102
	v_cndmask_b32_e32 v54, v54, v49, vcc_lo
	v_cmp_eq_u32_e32 vcc_lo, 16, v102
	s_delay_alu instid0(VALU_DEP_2) | instskip(SKIP_2) | instid1(VALU_DEP_3)
	v_cndmask_b32_e32 v54, v54, v50, vcc_lo
	v_cmp_eq_u32_e32 vcc_lo, 17, v102
	v_add_nc_u64_e32 v[102:103], 1, v[102:103]
	v_cndmask_b32_e32 v54, v54, v51, vcc_lo
	v_cmp_eq_u32_e32 vcc_lo, 0, v52
	s_wait_dscnt 0x0
	s_delay_alu instid0(VALU_DEP_2) | instskip(SKIP_1) | instid1(SALU_CYCLE_1)
	v_fmac_f32_e32 v106, v54, v55
	s_or_b32 s2, vcc_lo, s2
	s_and_not1_b32 exec_lo, exec_lo, s2
	s_cbranch_execnz .LBB81_189
; %bb.190:
	s_or_b32 exec_lo, exec_lo, s2
.LBB81_191:
	s_delay_alu instid0(SALU_CYCLE_1)
	s_or_b32 exec_lo, exec_lo, s1
.LBB81_192:
	s_delay_alu instid0(SALU_CYCLE_1)
	s_or_b32 exec_lo, exec_lo, s5
	v_mov_b32_e32 v38, 0
	ds_load_b32 v38, v38 offset:16
	s_wait_dscnt 0x0
	v_mul_f32_e32 v38, v106, v38
.LBB81_193:
	s_or_b32 exec_lo, exec_lo, s4
	v_cmp_lt_u32_e64 s1, 3, v0
	ds_store_b32 v105, v37
	s_wait_dscnt 0x0
	s_barrier_signal -1
	s_barrier_wait -1
	s_and_saveexec_b32 s4, s1
	s_cbranch_execz .LBB81_209
; %bb.194:
	s_and_not1_b32 vcc_lo, exec_lo, s22
	s_cbranch_vccnz .LBB81_196
; %bb.195:
	v_cmp_eq_u32_e32 vcc_lo, 1, v0
	ds_load_b32 v103, v105
	v_cndmask_b32_e32 v102, v34, v35, vcc_lo
	v_cmp_eq_u32_e32 vcc_lo, 2, v0
	s_delay_alu instid0(VALU_DEP_2) | instskip(SKIP_1) | instid1(VALU_DEP_2)
	v_cndmask_b32_e32 v102, v102, v36, vcc_lo
	v_cmp_eq_u32_e32 vcc_lo, 3, v0
	v_cndmask_b32_e32 v102, v102, v37, vcc_lo
	v_cmp_eq_u32_e32 vcc_lo, 4, v0
	s_delay_alu instid0(VALU_DEP_2) | instskip(SKIP_1) | instid1(VALU_DEP_2)
	v_cndmask_b32_e32 v102, v102, v38, vcc_lo
	v_cmp_eq_u32_e32 vcc_lo, 5, v0
	;; [unrolled: 5-line block ×8, first 2 shown]
	v_cndmask_b32_e32 v102, v102, v51, vcc_lo
	s_wait_dscnt 0x0
	s_delay_alu instid0(VALU_DEP_1)
	v_mul_f32_e32 v106, v102, v103
	s_cbranch_execz .LBB81_197
	s_branch .LBB81_198
.LBB81_196:
                                        ; implicit-def: $vgpr106
.LBB81_197:
	ds_load_b32 v106, v105
.LBB81_198:
	s_and_saveexec_b32 s5, s0
	s_cbranch_execz .LBB81_208
; %bb.199:
	v_dual_add_nc_u32 v102, -5, v0 :: v_dual_add_nc_u32 v103, -4, v0
	s_delay_alu instid0(VALU_DEP_1)
	v_cmp_lt_u32_e32 vcc_lo, 6, v102
	v_mov_b32_e32 v102, 4
	s_and_saveexec_b32 s0, vcc_lo
	s_cbranch_execz .LBB81_203
; %bb.200:
	v_and_b32_e32 v102, -8, v103
	s_mov_b32 s6, 0
	s_mov_b64 s[2:3], 5
	s_movk_i32 s7, 0x60
	s_delay_alu instid0(VALU_DEP_1)
	v_sub_nc_u32_e32 v104, 0, v102
.LBB81_201:                             ; =>This Inner Loop Header: Depth=1
	s_add_co_i32 m0, s2, -1
	v_movrels_b32_e32 v107, v34
	v_mov_b32_e32 v102, s7
	s_mov_b32 m0, s2
	s_add_co_i32 s7, s7, 32
	v_movrels_b32_e32 v116, v34
	s_add_co_i32 m0, s2, 1
	ds_load_b128 v[108:111], v102
	ds_load_b128 v[112:115], v102 offset:16
	v_movrels_b32_e32 v102, v34
	s_add_co_i32 m0, s2, 2
	s_wait_dscnt 0x1
	v_fmac_f32_e32 v106, v107, v108
	v_movrels_b32_e32 v107, v34
	s_add_co_i32 m0, s2, 3
	s_delay_alu instid0(VALU_DEP_2) | instskip(NEXT) | instid1(VALU_DEP_1)
	v_fmac_f32_e32 v106, v116, v109
	v_fmac_f32_e32 v106, v102, v110
	v_movrels_b32_e32 v102, v34
	s_add_co_i32 m0, s2, 4
	s_delay_alu instid0(VALU_DEP_2) | instskip(SKIP_3) | instid1(VALU_DEP_2)
	v_fmac_f32_e32 v106, v107, v111
	v_movrels_b32_e32 v107, v34
	s_add_co_i32 m0, s2, 5
	s_wait_dscnt 0x0
	v_fmac_f32_e32 v106, v102, v112
	v_movrels_b32_e32 v102, v34
	s_add_co_i32 m0, s2, 6
	s_add_nc_u64 s[2:3], s[2:3], 8
	v_movrels_b32_e32 v108, v34
	v_dual_fmac_f32 v106, v107, v113 :: v_dual_add_nc_u32 v107, s2, v104
	s_add_co_i32 s8, s2, -1
	s_delay_alu instid0(VALU_DEP_1) | instskip(NEXT) | instid1(VALU_DEP_2)
	v_fmac_f32_e32 v106, v102, v114
	v_cmp_eq_u32_e32 vcc_lo, 5, v107
	s_delay_alu instid0(VALU_DEP_2) | instskip(SKIP_1) | instid1(SALU_CYCLE_1)
	v_dual_mov_b32 v102, s8 :: v_dual_fmac_f32 v106, v108, v115
	s_or_b32 s6, vcc_lo, s6
	s_and_not1_b32 exec_lo, exec_lo, s6
	s_cbranch_execnz .LBB81_201
; %bb.202:
	s_or_b32 exec_lo, exec_lo, s6
.LBB81_203:
	s_delay_alu instid0(SALU_CYCLE_1) | instskip(SKIP_3) | instid1(VALU_DEP_1)
	s_or_b32 exec_lo, exec_lo, s0
	v_and_b32_e32 v52, 7, v103
	s_mov_b32 s2, 0
	s_mov_b32 s0, exec_lo
	v_cmpx_ne_u32_e32 0, v52
	s_cbranch_execz .LBB81_207
; %bb.204:
	v_lshl_add_u32 v53, v102, 2, 0x50
	v_mov_b32_e32 v103, 0
.LBB81_205:                             ; =>This Inner Loop Header: Depth=1
	v_cmp_eq_u32_e32 vcc_lo, 1, v102
	ds_load_b32 v55, v53
	v_dual_add_nc_u32 v52, -1, v52 :: v_dual_add_nc_u32 v53, 4, v53
	v_cndmask_b32_e32 v54, v34, v35, vcc_lo
	v_cmp_eq_u32_e32 vcc_lo, 2, v102
	s_delay_alu instid0(VALU_DEP_2) | instskip(SKIP_1) | instid1(VALU_DEP_2)
	v_cndmask_b32_e32 v54, v54, v36, vcc_lo
	v_cmp_eq_u32_e32 vcc_lo, 3, v102
	v_cndmask_b32_e32 v54, v54, v37, vcc_lo
	v_cmp_eq_u32_e32 vcc_lo, 4, v102
	s_delay_alu instid0(VALU_DEP_2) | instskip(SKIP_1) | instid1(VALU_DEP_2)
	v_cndmask_b32_e32 v54, v54, v38, vcc_lo
	v_cmp_eq_u32_e32 vcc_lo, 5, v102
	v_cndmask_b32_e32 v54, v54, v39, vcc_lo
	v_cmp_eq_u32_e32 vcc_lo, 6, v102
	s_delay_alu instid0(VALU_DEP_2) | instskip(SKIP_1) | instid1(VALU_DEP_2)
	v_cndmask_b32_e32 v54, v54, v40, vcc_lo
	v_cmp_eq_u32_e32 vcc_lo, 7, v102
	v_cndmask_b32_e32 v54, v54, v41, vcc_lo
	v_cmp_eq_u32_e32 vcc_lo, 8, v102
	s_delay_alu instid0(VALU_DEP_2) | instskip(SKIP_1) | instid1(VALU_DEP_2)
	v_cndmask_b32_e32 v54, v54, v42, vcc_lo
	v_cmp_eq_u32_e32 vcc_lo, 9, v102
	v_cndmask_b32_e32 v54, v54, v43, vcc_lo
	v_cmp_eq_u32_e32 vcc_lo, 10, v102
	s_delay_alu instid0(VALU_DEP_2) | instskip(SKIP_1) | instid1(VALU_DEP_2)
	v_cndmask_b32_e32 v54, v54, v44, vcc_lo
	v_cmp_eq_u32_e32 vcc_lo, 11, v102
	v_cndmask_b32_e32 v54, v54, v45, vcc_lo
	v_cmp_eq_u32_e32 vcc_lo, 12, v102
	s_delay_alu instid0(VALU_DEP_2) | instskip(SKIP_1) | instid1(VALU_DEP_2)
	v_cndmask_b32_e32 v54, v54, v46, vcc_lo
	v_cmp_eq_u32_e32 vcc_lo, 13, v102
	v_cndmask_b32_e32 v54, v54, v47, vcc_lo
	v_cmp_eq_u32_e32 vcc_lo, 14, v102
	s_delay_alu instid0(VALU_DEP_2) | instskip(SKIP_1) | instid1(VALU_DEP_2)
	v_cndmask_b32_e32 v54, v54, v48, vcc_lo
	v_cmp_eq_u32_e32 vcc_lo, 15, v102
	v_cndmask_b32_e32 v54, v54, v49, vcc_lo
	v_cmp_eq_u32_e32 vcc_lo, 16, v102
	s_delay_alu instid0(VALU_DEP_2) | instskip(SKIP_2) | instid1(VALU_DEP_3)
	v_cndmask_b32_e32 v54, v54, v50, vcc_lo
	v_cmp_eq_u32_e32 vcc_lo, 17, v102
	v_add_nc_u64_e32 v[102:103], 1, v[102:103]
	v_cndmask_b32_e32 v54, v54, v51, vcc_lo
	v_cmp_eq_u32_e32 vcc_lo, 0, v52
	s_wait_dscnt 0x0
	s_delay_alu instid0(VALU_DEP_2) | instskip(SKIP_1) | instid1(SALU_CYCLE_1)
	v_fmac_f32_e32 v106, v54, v55
	s_or_b32 s2, vcc_lo, s2
	s_and_not1_b32 exec_lo, exec_lo, s2
	s_cbranch_execnz .LBB81_205
; %bb.206:
	s_or_b32 exec_lo, exec_lo, s2
.LBB81_207:
	s_delay_alu instid0(SALU_CYCLE_1)
	s_or_b32 exec_lo, exec_lo, s0
.LBB81_208:
	s_delay_alu instid0(SALU_CYCLE_1)
	s_or_b32 exec_lo, exec_lo, s5
	v_mov_b32_e32 v37, 0
	ds_load_b32 v37, v37 offset:12
	s_wait_dscnt 0x0
	v_mul_f32_e32 v37, v106, v37
.LBB81_209:
	s_or_b32 exec_lo, exec_lo, s4
	v_cmp_lt_u32_e64 s0, 2, v0
	ds_store_b32 v105, v36
	s_wait_dscnt 0x0
	s_barrier_signal -1
	s_barrier_wait -1
	s_and_saveexec_b32 s4, s0
	s_cbranch_execz .LBB81_225
; %bb.210:
	s_and_not1_b32 vcc_lo, exec_lo, s22
	s_cbranch_vccnz .LBB81_212
; %bb.211:
	v_cmp_eq_u32_e32 vcc_lo, 1, v0
	ds_load_b32 v103, v105
	v_cndmask_b32_e32 v102, v34, v35, vcc_lo
	v_cmp_eq_u32_e32 vcc_lo, 2, v0
	s_delay_alu instid0(VALU_DEP_2) | instskip(SKIP_1) | instid1(VALU_DEP_2)
	v_cndmask_b32_e32 v102, v102, v36, vcc_lo
	v_cmp_eq_u32_e32 vcc_lo, 3, v0
	v_cndmask_b32_e32 v102, v102, v37, vcc_lo
	v_cmp_eq_u32_e32 vcc_lo, 4, v0
	s_delay_alu instid0(VALU_DEP_2) | instskip(SKIP_1) | instid1(VALU_DEP_2)
	v_cndmask_b32_e32 v102, v102, v38, vcc_lo
	v_cmp_eq_u32_e32 vcc_lo, 5, v0
	;; [unrolled: 5-line block ×8, first 2 shown]
	v_cndmask_b32_e32 v102, v102, v51, vcc_lo
	s_wait_dscnt 0x0
	s_delay_alu instid0(VALU_DEP_1)
	v_mul_f32_e32 v106, v102, v103
	s_cbranch_execz .LBB81_213
	s_branch .LBB81_214
.LBB81_212:
                                        ; implicit-def: $vgpr106
.LBB81_213:
	ds_load_b32 v106, v105
.LBB81_214:
	s_and_saveexec_b32 s5, s1
	s_cbranch_execz .LBB81_224
; %bb.215:
	v_dual_add_nc_u32 v102, -4, v0 :: v_dual_add_nc_u32 v103, -3, v0
	s_delay_alu instid0(VALU_DEP_1)
	v_cmp_lt_u32_e32 vcc_lo, 6, v102
	v_mov_b32_e32 v102, 3
	s_and_saveexec_b32 s1, vcc_lo
	s_cbranch_execz .LBB81_219
; %bb.216:
	v_and_b32_e32 v102, -8, v103
	s_mov_b32 s6, 0
	s_mov_b64 s[2:3], 10
	s_movk_i32 s7, 0x5c
	s_delay_alu instid0(VALU_DEP_1)
	v_sub_nc_u32_e32 v104, 0, v102
.LBB81_217:                             ; =>This Inner Loop Header: Depth=1
	s_add_co_i32 m0, s2, -7
	v_movrels_b32_e32 v107, v34
	v_mov_b32_e32 v102, s7
	s_add_co_i32 m0, s2, -6
	s_add_co_i32 s7, s7, 32
	v_movrels_b32_e32 v116, v34
	ds_load_2addr_b32 v[108:109], v102 offset1:1
	ds_load_2addr_b32 v[110:111], v102 offset0:2 offset1:3
	s_add_co_i32 m0, s2, -5
	s_wait_dscnt 0x1
	v_fmac_f32_e32 v106, v107, v108
	ds_load_2addr_b32 v[112:113], v102 offset0:4 offset1:5
	ds_load_2addr_b32 v[114:115], v102 offset0:6 offset1:7
	v_movrels_b32_e32 v102, v34
	s_add_co_i32 m0, s2, -4
	v_fmac_f32_e32 v106, v116, v109
	v_movrels_b32_e32 v107, v34
	s_add_co_i32 m0, s2, -3
	s_wait_dscnt 0x2
	s_delay_alu instid0(VALU_DEP_2) | instskip(SKIP_2) | instid1(VALU_DEP_2)
	v_fmac_f32_e32 v106, v102, v110
	v_movrels_b32_e32 v102, v34
	s_add_co_i32 m0, s2, -2
	v_fmac_f32_e32 v106, v107, v111
	v_movrels_b32_e32 v107, v34
	s_add_co_i32 m0, s2, -1
	s_wait_dscnt 0x1
	s_delay_alu instid0(VALU_DEP_2)
	v_fmac_f32_e32 v106, v102, v112
	v_movrels_b32_e32 v102, v34
	s_mov_b32 m0, s2
	s_add_nc_u64 s[2:3], s[2:3], 8
	v_movrels_b32_e32 v108, v34
	v_dual_fmac_f32 v106, v107, v113 :: v_dual_add_nc_u32 v107, s2, v104
	s_add_co_i32 s8, s2, -7
	s_wait_dscnt 0x0
	s_delay_alu instid0(VALU_DEP_1) | instskip(NEXT) | instid1(VALU_DEP_2)
	v_fmac_f32_e32 v106, v102, v114
	v_cmp_eq_u32_e32 vcc_lo, 10, v107
	s_delay_alu instid0(VALU_DEP_2) | instskip(SKIP_1) | instid1(SALU_CYCLE_1)
	v_dual_mov_b32 v102, s8 :: v_dual_fmac_f32 v106, v108, v115
	s_or_b32 s6, vcc_lo, s6
	s_and_not1_b32 exec_lo, exec_lo, s6
	s_cbranch_execnz .LBB81_217
; %bb.218:
	s_or_b32 exec_lo, exec_lo, s6
.LBB81_219:
	s_delay_alu instid0(SALU_CYCLE_1) | instskip(SKIP_3) | instid1(VALU_DEP_1)
	s_or_b32 exec_lo, exec_lo, s1
	v_and_b32_e32 v52, 7, v103
	s_mov_b32 s2, 0
	s_mov_b32 s1, exec_lo
	v_cmpx_ne_u32_e32 0, v52
	s_cbranch_execz .LBB81_223
; %bb.220:
	v_lshl_add_u32 v53, v102, 2, 0x50
	v_mov_b32_e32 v103, 0
.LBB81_221:                             ; =>This Inner Loop Header: Depth=1
	v_cmp_eq_u32_e32 vcc_lo, 1, v102
	ds_load_b32 v55, v53
	v_dual_add_nc_u32 v52, -1, v52 :: v_dual_add_nc_u32 v53, 4, v53
	v_cndmask_b32_e32 v54, v34, v35, vcc_lo
	v_cmp_eq_u32_e32 vcc_lo, 2, v102
	s_delay_alu instid0(VALU_DEP_2) | instskip(SKIP_1) | instid1(VALU_DEP_2)
	v_cndmask_b32_e32 v54, v54, v36, vcc_lo
	v_cmp_eq_u32_e32 vcc_lo, 3, v102
	v_cndmask_b32_e32 v54, v54, v37, vcc_lo
	v_cmp_eq_u32_e32 vcc_lo, 4, v102
	s_delay_alu instid0(VALU_DEP_2) | instskip(SKIP_1) | instid1(VALU_DEP_2)
	v_cndmask_b32_e32 v54, v54, v38, vcc_lo
	v_cmp_eq_u32_e32 vcc_lo, 5, v102
	;; [unrolled: 5-line block ×7, first 2 shown]
	v_cndmask_b32_e32 v54, v54, v49, vcc_lo
	v_cmp_eq_u32_e32 vcc_lo, 16, v102
	s_delay_alu instid0(VALU_DEP_2) | instskip(SKIP_2) | instid1(VALU_DEP_3)
	v_cndmask_b32_e32 v54, v54, v50, vcc_lo
	v_cmp_eq_u32_e32 vcc_lo, 17, v102
	v_add_nc_u64_e32 v[102:103], 1, v[102:103]
	v_cndmask_b32_e32 v54, v54, v51, vcc_lo
	v_cmp_eq_u32_e32 vcc_lo, 0, v52
	s_wait_dscnt 0x0
	s_delay_alu instid0(VALU_DEP_2) | instskip(SKIP_1) | instid1(SALU_CYCLE_1)
	v_fmac_f32_e32 v106, v54, v55
	s_or_b32 s2, vcc_lo, s2
	s_and_not1_b32 exec_lo, exec_lo, s2
	s_cbranch_execnz .LBB81_221
; %bb.222:
	s_or_b32 exec_lo, exec_lo, s2
.LBB81_223:
	s_delay_alu instid0(SALU_CYCLE_1)
	s_or_b32 exec_lo, exec_lo, s1
.LBB81_224:
	s_delay_alu instid0(SALU_CYCLE_1)
	s_or_b32 exec_lo, exec_lo, s5
	v_mov_b32_e32 v36, 0
	ds_load_b32 v36, v36 offset:8
	s_wait_dscnt 0x0
	v_mul_f32_e32 v36, v106, v36
.LBB81_225:
	s_or_b32 exec_lo, exec_lo, s4
	v_cmp_lt_u32_e64 s1, 1, v0
	ds_store_b32 v105, v35
	s_wait_dscnt 0x0
	s_barrier_signal -1
	s_barrier_wait -1
	s_and_saveexec_b32 s4, s1
	s_cbranch_execz .LBB81_241
; %bb.226:
	s_and_not1_b32 vcc_lo, exec_lo, s22
	s_cbranch_vccnz .LBB81_228
; %bb.227:
	v_cmp_eq_u32_e32 vcc_lo, 1, v0
	ds_load_b32 v103, v105
	v_cndmask_b32_e32 v102, v34, v35, vcc_lo
	v_cmp_eq_u32_e32 vcc_lo, 2, v0
	s_delay_alu instid0(VALU_DEP_2) | instskip(SKIP_1) | instid1(VALU_DEP_2)
	v_cndmask_b32_e32 v102, v102, v36, vcc_lo
	v_cmp_eq_u32_e32 vcc_lo, 3, v0
	v_cndmask_b32_e32 v102, v102, v37, vcc_lo
	v_cmp_eq_u32_e32 vcc_lo, 4, v0
	s_delay_alu instid0(VALU_DEP_2) | instskip(SKIP_1) | instid1(VALU_DEP_2)
	v_cndmask_b32_e32 v102, v102, v38, vcc_lo
	v_cmp_eq_u32_e32 vcc_lo, 5, v0
	v_cndmask_b32_e32 v102, v102, v39, vcc_lo
	v_cmp_eq_u32_e32 vcc_lo, 6, v0
	s_delay_alu instid0(VALU_DEP_2) | instskip(SKIP_1) | instid1(VALU_DEP_2)
	v_cndmask_b32_e32 v102, v102, v40, vcc_lo
	v_cmp_eq_u32_e32 vcc_lo, 7, v0
	v_cndmask_b32_e32 v102, v102, v41, vcc_lo
	v_cmp_eq_u32_e32 vcc_lo, 8, v0
	s_delay_alu instid0(VALU_DEP_2) | instskip(SKIP_1) | instid1(VALU_DEP_2)
	v_cndmask_b32_e32 v102, v102, v42, vcc_lo
	v_cmp_eq_u32_e32 vcc_lo, 9, v0
	v_cndmask_b32_e32 v102, v102, v43, vcc_lo
	v_cmp_eq_u32_e32 vcc_lo, 10, v0
	s_delay_alu instid0(VALU_DEP_2) | instskip(SKIP_1) | instid1(VALU_DEP_2)
	v_cndmask_b32_e32 v102, v102, v44, vcc_lo
	v_cmp_eq_u32_e32 vcc_lo, 11, v0
	v_cndmask_b32_e32 v102, v102, v45, vcc_lo
	v_cmp_eq_u32_e32 vcc_lo, 12, v0
	s_delay_alu instid0(VALU_DEP_2) | instskip(SKIP_1) | instid1(VALU_DEP_2)
	v_cndmask_b32_e32 v102, v102, v46, vcc_lo
	v_cmp_eq_u32_e32 vcc_lo, 13, v0
	v_cndmask_b32_e32 v102, v102, v47, vcc_lo
	v_cmp_eq_u32_e32 vcc_lo, 14, v0
	s_delay_alu instid0(VALU_DEP_2) | instskip(SKIP_1) | instid1(VALU_DEP_2)
	v_cndmask_b32_e32 v102, v102, v48, vcc_lo
	v_cmp_eq_u32_e32 vcc_lo, 15, v0
	v_cndmask_b32_e32 v102, v102, v49, vcc_lo
	v_cmp_eq_u32_e32 vcc_lo, 16, v0
	s_delay_alu instid0(VALU_DEP_2) | instskip(SKIP_1) | instid1(VALU_DEP_2)
	v_cndmask_b32_e32 v102, v102, v50, vcc_lo
	v_cmp_eq_u32_e32 vcc_lo, 17, v0
	v_cndmask_b32_e32 v102, v102, v51, vcc_lo
	s_wait_dscnt 0x0
	s_delay_alu instid0(VALU_DEP_1)
	v_mul_f32_e32 v106, v102, v103
	s_cbranch_execz .LBB81_229
	s_branch .LBB81_230
.LBB81_228:
                                        ; implicit-def: $vgpr106
.LBB81_229:
	ds_load_b32 v106, v105
.LBB81_230:
	s_and_saveexec_b32 s5, s0
	s_cbranch_execz .LBB81_240
; %bb.231:
	v_dual_add_nc_u32 v102, -3, v0 :: v_dual_add_nc_u32 v103, -2, v0
	s_delay_alu instid0(VALU_DEP_1)
	v_cmp_lt_u32_e32 vcc_lo, 6, v102
	v_mov_b32_e32 v102, 2
	s_and_saveexec_b32 s0, vcc_lo
	s_cbranch_execz .LBB81_235
; %bb.232:
	v_and_b32_e32 v102, -8, v103
	s_mov_b32 s6, 0
	s_mov_b64 s[2:3], 9
	s_movk_i32 s7, 0x58
	s_delay_alu instid0(VALU_DEP_1)
	v_sub_nc_u32_e32 v104, 0, v102
.LBB81_233:                             ; =>This Inner Loop Header: Depth=1
	s_add_co_i32 m0, s2, -7
	v_movrels_b32_e32 v107, v34
	v_mov_b32_e32 v102, s7
	s_add_co_i32 m0, s2, -6
	s_add_co_i32 s7, s7, 32
	v_movrels_b32_e32 v116, v34
	s_add_co_i32 m0, s2, -5
	ds_load_2addr_b64 v[108:111], v102 offset1:1
	ds_load_2addr_b64 v[112:115], v102 offset0:2 offset1:3
	v_movrels_b32_e32 v102, v34
	s_add_co_i32 m0, s2, -4
	s_wait_dscnt 0x1
	v_fmac_f32_e32 v106, v107, v108
	v_movrels_b32_e32 v107, v34
	s_add_co_i32 m0, s2, -3
	s_delay_alu instid0(VALU_DEP_2) | instskip(NEXT) | instid1(VALU_DEP_1)
	v_fmac_f32_e32 v106, v116, v109
	v_fmac_f32_e32 v106, v102, v110
	v_movrels_b32_e32 v102, v34
	s_add_co_i32 m0, s2, -2
	s_delay_alu instid0(VALU_DEP_2) | instskip(SKIP_3) | instid1(VALU_DEP_2)
	v_fmac_f32_e32 v106, v107, v111
	v_movrels_b32_e32 v107, v34
	s_add_co_i32 m0, s2, -1
	s_wait_dscnt 0x0
	v_fmac_f32_e32 v106, v102, v112
	v_movrels_b32_e32 v102, v34
	s_mov_b32 m0, s2
	s_add_nc_u64 s[2:3], s[2:3], 8
	v_movrels_b32_e32 v108, v34
	v_dual_fmac_f32 v106, v107, v113 :: v_dual_add_nc_u32 v107, s2, v104
	s_add_co_i32 s8, s2, -7
	s_delay_alu instid0(VALU_DEP_1) | instskip(NEXT) | instid1(VALU_DEP_2)
	v_fmac_f32_e32 v106, v102, v114
	v_cmp_eq_u32_e32 vcc_lo, 9, v107
	s_delay_alu instid0(VALU_DEP_2) | instskip(SKIP_1) | instid1(SALU_CYCLE_1)
	v_dual_mov_b32 v102, s8 :: v_dual_fmac_f32 v106, v108, v115
	s_or_b32 s6, vcc_lo, s6
	s_and_not1_b32 exec_lo, exec_lo, s6
	s_cbranch_execnz .LBB81_233
; %bb.234:
	s_or_b32 exec_lo, exec_lo, s6
.LBB81_235:
	s_delay_alu instid0(SALU_CYCLE_1) | instskip(SKIP_3) | instid1(VALU_DEP_1)
	s_or_b32 exec_lo, exec_lo, s0
	v_and_b32_e32 v52, 7, v103
	s_mov_b32 s2, 0
	s_mov_b32 s0, exec_lo
	v_cmpx_ne_u32_e32 0, v52
	s_cbranch_execz .LBB81_239
; %bb.236:
	v_lshl_add_u32 v53, v102, 2, 0x50
	v_mov_b32_e32 v103, 0
.LBB81_237:                             ; =>This Inner Loop Header: Depth=1
	v_cmp_eq_u32_e32 vcc_lo, 1, v102
	ds_load_b32 v55, v53
	v_dual_add_nc_u32 v52, -1, v52 :: v_dual_add_nc_u32 v53, 4, v53
	v_cndmask_b32_e32 v54, v34, v35, vcc_lo
	v_cmp_eq_u32_e32 vcc_lo, 2, v102
	s_delay_alu instid0(VALU_DEP_2) | instskip(SKIP_1) | instid1(VALU_DEP_2)
	v_cndmask_b32_e32 v54, v54, v36, vcc_lo
	v_cmp_eq_u32_e32 vcc_lo, 3, v102
	v_cndmask_b32_e32 v54, v54, v37, vcc_lo
	v_cmp_eq_u32_e32 vcc_lo, 4, v102
	s_delay_alu instid0(VALU_DEP_2) | instskip(SKIP_1) | instid1(VALU_DEP_2)
	v_cndmask_b32_e32 v54, v54, v38, vcc_lo
	v_cmp_eq_u32_e32 vcc_lo, 5, v102
	;; [unrolled: 5-line block ×7, first 2 shown]
	v_cndmask_b32_e32 v54, v54, v49, vcc_lo
	v_cmp_eq_u32_e32 vcc_lo, 16, v102
	s_delay_alu instid0(VALU_DEP_2) | instskip(SKIP_2) | instid1(VALU_DEP_3)
	v_cndmask_b32_e32 v54, v54, v50, vcc_lo
	v_cmp_eq_u32_e32 vcc_lo, 17, v102
	v_add_nc_u64_e32 v[102:103], 1, v[102:103]
	v_cndmask_b32_e32 v54, v54, v51, vcc_lo
	v_cmp_eq_u32_e32 vcc_lo, 0, v52
	s_wait_dscnt 0x0
	s_delay_alu instid0(VALU_DEP_2) | instskip(SKIP_1) | instid1(SALU_CYCLE_1)
	v_fmac_f32_e32 v106, v54, v55
	s_or_b32 s2, vcc_lo, s2
	s_and_not1_b32 exec_lo, exec_lo, s2
	s_cbranch_execnz .LBB81_237
; %bb.238:
	s_or_b32 exec_lo, exec_lo, s2
.LBB81_239:
	s_delay_alu instid0(SALU_CYCLE_1)
	s_or_b32 exec_lo, exec_lo, s0
.LBB81_240:
	s_delay_alu instid0(SALU_CYCLE_1)
	s_or_b32 exec_lo, exec_lo, s5
	v_mov_b32_e32 v35, 0
	ds_load_b32 v35, v35 offset:4
	s_wait_dscnt 0x0
	v_mul_f32_e32 v35, v106, v35
.LBB81_241:
	s_or_b32 exec_lo, exec_lo, s4
	s_mov_b32 s2, 0
	s_mov_b32 s3, exec_lo
	ds_store_b32 v105, v34
	s_wait_dscnt 0x0
	s_barrier_signal -1
	s_barrier_wait -1
	v_cmpx_ne_u32_e32 0, v0
	s_cbranch_execz .LBB81_257
; %bb.242:
	s_and_not1_b32 vcc_lo, exec_lo, s22
	s_cbranch_vccnz .LBB81_244
; %bb.243:
	v_cmp_eq_u32_e32 vcc_lo, 1, v0
	ds_load_b32 v103, v105
	v_cndmask_b32_e32 v102, v34, v35, vcc_lo
	v_cmp_eq_u32_e32 vcc_lo, 2, v0
	s_delay_alu instid0(VALU_DEP_2) | instskip(SKIP_1) | instid1(VALU_DEP_2)
	v_cndmask_b32_e32 v102, v102, v36, vcc_lo
	v_cmp_eq_u32_e32 vcc_lo, 3, v0
	v_cndmask_b32_e32 v102, v102, v37, vcc_lo
	v_cmp_eq_u32_e32 vcc_lo, 4, v0
	s_delay_alu instid0(VALU_DEP_2) | instskip(SKIP_1) | instid1(VALU_DEP_2)
	v_cndmask_b32_e32 v102, v102, v38, vcc_lo
	v_cmp_eq_u32_e32 vcc_lo, 5, v0
	;; [unrolled: 5-line block ×8, first 2 shown]
	v_cndmask_b32_e32 v102, v102, v51, vcc_lo
	s_wait_dscnt 0x0
	s_delay_alu instid0(VALU_DEP_1)
	v_mul_f32_e32 v106, v102, v103
	s_cbranch_execz .LBB81_245
	s_branch .LBB81_246
.LBB81_244:
                                        ; implicit-def: $vgpr106
.LBB81_245:
	ds_load_b32 v106, v105
.LBB81_246:
	s_and_saveexec_b32 s4, s1
	s_cbranch_execz .LBB81_256
; %bb.247:
	v_dual_add_nc_u32 v102, -2, v0 :: v_dual_add_nc_u32 v103, -1, v0
	s_delay_alu instid0(VALU_DEP_1)
	v_cmp_lt_u32_e32 vcc_lo, 6, v102
	v_mov_b32_e32 v102, 1
	s_and_saveexec_b32 s5, vcc_lo
	s_cbranch_execz .LBB81_251
; %bb.248:
	v_and_b32_e32 v102, -8, v103
	s_mov_b32 s6, 0
	s_mov_b64 s[0:1], 8
	s_movk_i32 s7, 0x54
	s_delay_alu instid0(VALU_DEP_1)
	v_sub_nc_u32_e32 v104, 0, v102
.LBB81_249:                             ; =>This Inner Loop Header: Depth=1
	s_add_co_i32 m0, s0, -7
	v_movrels_b32_e32 v107, v34
	v_mov_b32_e32 v102, s7
	s_add_co_i32 m0, s0, -6
	s_add_co_i32 s7, s7, 32
	v_movrels_b32_e32 v116, v34
	ds_load_2addr_b32 v[108:109], v102 offset1:1
	ds_load_2addr_b32 v[110:111], v102 offset0:2 offset1:3
	s_add_co_i32 m0, s0, -5
	s_wait_dscnt 0x1
	v_fmac_f32_e32 v106, v107, v108
	ds_load_2addr_b32 v[112:113], v102 offset0:4 offset1:5
	ds_load_2addr_b32 v[114:115], v102 offset0:6 offset1:7
	v_movrels_b32_e32 v102, v34
	s_add_co_i32 m0, s0, -4
	v_fmac_f32_e32 v106, v116, v109
	v_movrels_b32_e32 v107, v34
	s_add_co_i32 m0, s0, -3
	s_wait_dscnt 0x2
	s_delay_alu instid0(VALU_DEP_2) | instskip(SKIP_2) | instid1(VALU_DEP_2)
	v_fmac_f32_e32 v106, v102, v110
	v_movrels_b32_e32 v102, v34
	s_add_co_i32 m0, s0, -2
	v_fmac_f32_e32 v106, v107, v111
	v_movrels_b32_e32 v107, v34
	s_add_co_i32 m0, s0, -1
	s_wait_dscnt 0x1
	s_delay_alu instid0(VALU_DEP_2)
	v_fmac_f32_e32 v106, v102, v112
	v_movrels_b32_e32 v102, v34
	s_mov_b32 m0, s0
	s_add_nc_u64 s[0:1], s[0:1], 8
	v_movrels_b32_e32 v108, v34
	v_dual_fmac_f32 v106, v107, v113 :: v_dual_add_nc_u32 v107, s0, v104
	s_add_co_i32 s8, s0, -7
	s_wait_dscnt 0x0
	s_delay_alu instid0(VALU_DEP_1) | instskip(NEXT) | instid1(VALU_DEP_2)
	v_fmac_f32_e32 v106, v102, v114
	v_cmp_eq_u32_e32 vcc_lo, 8, v107
	s_delay_alu instid0(VALU_DEP_2) | instskip(SKIP_1) | instid1(SALU_CYCLE_1)
	v_dual_mov_b32 v102, s8 :: v_dual_fmac_f32 v106, v108, v115
	s_or_b32 s6, vcc_lo, s6
	s_and_not1_b32 exec_lo, exec_lo, s6
	s_cbranch_execnz .LBB81_249
; %bb.250:
	s_or_b32 exec_lo, exec_lo, s6
.LBB81_251:
	s_delay_alu instid0(SALU_CYCLE_1) | instskip(SKIP_3) | instid1(VALU_DEP_1)
	s_or_b32 exec_lo, exec_lo, s5
	v_and_b32_e32 v52, 7, v103
	s_mov_b32 s1, 0
	s_mov_b32 s0, exec_lo
	v_cmpx_ne_u32_e32 0, v52
	s_cbranch_execz .LBB81_255
; %bb.252:
	v_lshl_add_u32 v53, v102, 2, 0x50
	v_mov_b32_e32 v103, 0
.LBB81_253:                             ; =>This Inner Loop Header: Depth=1
	v_cmp_eq_u32_e32 vcc_lo, 1, v102
	ds_load_b32 v55, v53
	v_dual_add_nc_u32 v52, -1, v52 :: v_dual_add_nc_u32 v53, 4, v53
	v_cndmask_b32_e32 v54, v34, v35, vcc_lo
	v_cmp_eq_u32_e32 vcc_lo, 2, v102
	s_delay_alu instid0(VALU_DEP_2) | instskip(SKIP_1) | instid1(VALU_DEP_2)
	v_cndmask_b32_e32 v54, v54, v36, vcc_lo
	v_cmp_eq_u32_e32 vcc_lo, 3, v102
	v_cndmask_b32_e32 v54, v54, v37, vcc_lo
	v_cmp_eq_u32_e32 vcc_lo, 4, v102
	s_delay_alu instid0(VALU_DEP_2) | instskip(SKIP_1) | instid1(VALU_DEP_2)
	v_cndmask_b32_e32 v54, v54, v38, vcc_lo
	v_cmp_eq_u32_e32 vcc_lo, 5, v102
	;; [unrolled: 5-line block ×7, first 2 shown]
	v_cndmask_b32_e32 v54, v54, v49, vcc_lo
	v_cmp_eq_u32_e32 vcc_lo, 16, v102
	s_delay_alu instid0(VALU_DEP_2) | instskip(SKIP_2) | instid1(VALU_DEP_3)
	v_cndmask_b32_e32 v54, v54, v50, vcc_lo
	v_cmp_eq_u32_e32 vcc_lo, 17, v102
	v_add_nc_u64_e32 v[102:103], 1, v[102:103]
	v_cndmask_b32_e32 v54, v54, v51, vcc_lo
	v_cmp_eq_u32_e32 vcc_lo, 0, v52
	s_wait_dscnt 0x0
	s_delay_alu instid0(VALU_DEP_2) | instskip(SKIP_1) | instid1(SALU_CYCLE_1)
	v_fmac_f32_e32 v106, v54, v55
	s_or_b32 s1, vcc_lo, s1
	s_and_not1_b32 exec_lo, exec_lo, s1
	s_cbranch_execnz .LBB81_253
; %bb.254:
	s_or_b32 exec_lo, exec_lo, s1
.LBB81_255:
	s_delay_alu instid0(SALU_CYCLE_1)
	s_or_b32 exec_lo, exec_lo, s0
.LBB81_256:
	s_delay_alu instid0(SALU_CYCLE_1)
	s_or_b32 exec_lo, exec_lo, s4
	v_mov_b32_e32 v34, 0
	ds_load_b32 v34, v34
	s_wait_dscnt 0x0
	v_mul_f32_e32 v34, v106, v34
.LBB81_257:
	s_or_b32 exec_lo, exec_lo, s3
	s_delay_alu instid0(SALU_CYCLE_1)
	s_and_b32 vcc_lo, exec_lo, s2
	s_cbranch_vccz .LBB81_431
.LBB81_258:
	v_cmp_eq_u32_e64 s0, 0, v0
	s_wait_loadcnt_dscnt 0x1112
	ds_store_b32 v105, v3
	s_wait_loadcnt_dscnt 0x0
	s_barrier_signal -1
	s_barrier_wait -1
	s_and_saveexec_b32 s1, s0
	s_cbranch_execz .LBB81_264
; %bb.259:
	s_and_b32 vcc_lo, exec_lo, s22
	s_cbranch_vccz .LBB81_261
; %bb.260:
	v_cmp_eq_u32_e32 vcc_lo, 1, v0
	ds_load_b32 v20, v105
	v_cndmask_b32_e32 v3, v2, v3, vcc_lo
	v_cmp_eq_u32_e32 vcc_lo, 2, v0
	s_delay_alu instid0(VALU_DEP_2) | instskip(SKIP_1) | instid1(VALU_DEP_2)
	v_cndmask_b32_e32 v3, v3, v4, vcc_lo
	v_cmp_eq_u32_e32 vcc_lo, 3, v0
	v_cndmask_b32_e32 v3, v3, v5, vcc_lo
	v_cmp_eq_u32_e32 vcc_lo, 4, v0
	s_delay_alu instid0(VALU_DEP_2) | instskip(SKIP_1) | instid1(VALU_DEP_2)
	v_cndmask_b32_e32 v3, v3, v6, vcc_lo
	v_cmp_eq_u32_e32 vcc_lo, 5, v0
	;; [unrolled: 5-line block ×8, first 2 shown]
	v_cndmask_b32_e32 v3, v3, v19, vcc_lo
	s_wait_dscnt 0x0
	s_delay_alu instid0(VALU_DEP_1)
	v_mul_f32_e32 v3, v3, v20
	s_cbranch_execz .LBB81_262
	s_branch .LBB81_263
.LBB81_261:
                                        ; implicit-def: $vgpr3
.LBB81_262:
	ds_load_b32 v3, v105
.LBB81_263:
	v_mov_b32_e32 v20, 0
	ds_load_b32 v20, v20 offset:4
	s_wait_dscnt 0x0
	v_mul_f32_e32 v3, v3, v20
.LBB81_264:
	s_or_b32 exec_lo, exec_lo, s1
	v_cndmask_b32_e64 v34, 0, 1, s22
	s_mov_b32 s1, exec_lo
	ds_store_b32 v105, v4
	s_wait_dscnt 0x0
	s_barrier_signal -1
	s_barrier_wait -1
	v_cmpx_gt_u32_e32 2, v0
	s_cbranch_execz .LBB81_270
; %bb.265:
	s_and_not1_b32 vcc_lo, exec_lo, s22
	s_cbranch_vccnz .LBB81_267
; %bb.266:
	v_cmp_eq_u32_e32 vcc_lo, 1, v0
	v_cndmask_b32_e32 v20, v2, v3, vcc_lo
	v_cmp_eq_u32_e32 vcc_lo, 2, v0
	s_delay_alu instid0(VALU_DEP_2) | instskip(SKIP_4) | instid1(VALU_DEP_2)
	v_cndmask_b32_e32 v4, v20, v4, vcc_lo
	v_cmp_eq_u32_e32 vcc_lo, 3, v0
	ds_load_b32 v20, v105
	v_cndmask_b32_e32 v4, v4, v5, vcc_lo
	v_cmp_eq_u32_e32 vcc_lo, 4, v0
	v_cndmask_b32_e32 v4, v4, v6, vcc_lo
	v_cmp_eq_u32_e32 vcc_lo, 5, v0
	s_delay_alu instid0(VALU_DEP_2) | instskip(SKIP_1) | instid1(VALU_DEP_2)
	v_cndmask_b32_e32 v4, v4, v7, vcc_lo
	v_cmp_eq_u32_e32 vcc_lo, 6, v0
	v_cndmask_b32_e32 v4, v4, v8, vcc_lo
	v_cmp_eq_u32_e32 vcc_lo, 7, v0
	s_delay_alu instid0(VALU_DEP_2) | instskip(SKIP_1) | instid1(VALU_DEP_2)
	;; [unrolled: 5-line block ×6, first 2 shown]
	v_cndmask_b32_e32 v4, v4, v17, vcc_lo
	v_cmp_eq_u32_e32 vcc_lo, 16, v0
	v_cndmask_b32_e32 v4, v4, v18, vcc_lo
	v_cmp_eq_u32_e32 vcc_lo, 17, v0
	s_delay_alu instid0(VALU_DEP_2) | instskip(SKIP_1) | instid1(VALU_DEP_1)
	v_cndmask_b32_e32 v4, v4, v19, vcc_lo
	s_wait_dscnt 0x0
	v_mul_f32_e32 v4, v4, v20
	s_cbranch_execz .LBB81_268
	s_branch .LBB81_269
.LBB81_267:
                                        ; implicit-def: $vgpr4
.LBB81_268:
	ds_load_b32 v4, v105
.LBB81_269:
	v_mov_b32_e32 v20, 0
	ds_load_2addr_b32 v[20:21], v20 offset0:2 offset1:21
	s_wait_dscnt 0x0
	v_fma_f32 v21, v3, v21, v4
	s_delay_alu instid0(VALU_DEP_1) | instskip(NEXT) | instid1(VALU_DEP_1)
	v_cndmask_b32_e64 v4, v4, v21, s0
	v_mul_f32_e32 v4, v4, v20
.LBB81_270:
	s_or_b32 exec_lo, exec_lo, s1
	v_add_nc_u32_e32 v35, 1, v0
	v_cmp_gt_u32_e64 s1, 3, v0
	ds_store_b32 v105, v5
	s_wait_dscnt 0x0
	s_barrier_signal -1
	s_barrier_wait -1
	s_and_saveexec_b32 s2, s1
	s_cbranch_execz .LBB81_278
; %bb.271:
	v_cmp_ne_u32_e32 vcc_lo, 1, v34
	s_cbranch_vccnz .LBB81_273
; %bb.272:
	v_cmp_eq_u32_e32 vcc_lo, 1, v0
	ds_load_b32 v21, v105
	v_cndmask_b32_e32 v20, v2, v3, vcc_lo
	v_cmp_eq_u32_e32 vcc_lo, 2, v0
	s_delay_alu instid0(VALU_DEP_2) | instskip(SKIP_1) | instid1(VALU_DEP_2)
	v_cndmask_b32_e32 v20, v20, v4, vcc_lo
	v_cmp_eq_u32_e32 vcc_lo, 3, v0
	v_cndmask_b32_e32 v20, v20, v5, vcc_lo
	v_cmp_eq_u32_e32 vcc_lo, 4, v0
	s_delay_alu instid0(VALU_DEP_2) | instskip(SKIP_1) | instid1(VALU_DEP_2)
	v_cndmask_b32_e32 v20, v20, v6, vcc_lo
	v_cmp_eq_u32_e32 vcc_lo, 5, v0
	;; [unrolled: 5-line block ×8, first 2 shown]
	v_cndmask_b32_e32 v20, v20, v19, vcc_lo
	s_wait_dscnt 0x0
	s_delay_alu instid0(VALU_DEP_1)
	v_mul_f32_e32 v20, v20, v21
	s_cbranch_execz .LBB81_274
	s_branch .LBB81_275
.LBB81_273:
                                        ; implicit-def: $vgpr20
.LBB81_274:
	ds_load_b32 v20, v105
.LBB81_275:
	s_mov_b32 s3, exec_lo
	v_cmpx_ne_u32_e32 2, v0
	s_cbranch_execz .LBB81_277
; %bb.276:
	v_cmp_eq_u32_e32 vcc_lo, 1, v35
	v_dual_mov_b32 v22, 0 :: v_dual_cndmask_b32 v21, v2, v3
	v_cmp_eq_u32_e32 vcc_lo, 2, v35
	ds_load_b32 v22, v22 offset:88
	v_cndmask_b32_e32 v21, v21, v4, vcc_lo
	v_cmp_eq_u32_e32 vcc_lo, 3, v35
	s_delay_alu instid0(VALU_DEP_2) | instskip(SKIP_4) | instid1(VALU_DEP_2)
	v_cndmask_b32_e32 v5, v21, v5, vcc_lo
	v_cmp_eq_u32_e32 vcc_lo, 4, v35
	ds_load_b32 v21, v105 offset:4
	v_cndmask_b32_e32 v5, v5, v6, vcc_lo
	v_cmp_eq_u32_e32 vcc_lo, 5, v35
	v_cndmask_b32_e32 v5, v5, v7, vcc_lo
	v_cmp_eq_u32_e32 vcc_lo, 6, v35
	s_delay_alu instid0(VALU_DEP_2) | instskip(SKIP_1) | instid1(VALU_DEP_2)
	v_cndmask_b32_e32 v5, v5, v8, vcc_lo
	v_cmp_eq_u32_e32 vcc_lo, 7, v35
	v_cndmask_b32_e32 v5, v5, v9, vcc_lo
	v_cmp_eq_u32_e32 vcc_lo, 8, v35
	s_delay_alu instid0(VALU_DEP_2) | instskip(SKIP_1) | instid1(VALU_DEP_2)
	;; [unrolled: 5-line block ×6, first 2 shown]
	v_cndmask_b32_e32 v5, v5, v18, vcc_lo
	v_cmp_eq_u32_e32 vcc_lo, 17, v35
	v_cndmask_b32_e32 v5, v5, v19, vcc_lo
	s_wait_dscnt 0x0
	s_delay_alu instid0(VALU_DEP_1) | instskip(NEXT) | instid1(VALU_DEP_1)
	v_fmac_f32_e32 v20, v5, v21
	v_fma_f32 v5, v4, v22, v20
	s_delay_alu instid0(VALU_DEP_1)
	v_cndmask_b32_e64 v20, v20, v5, s0
.LBB81_277:
	s_or_b32 exec_lo, exec_lo, s3
	v_mov_b32_e32 v5, 0
	ds_load_b32 v5, v5 offset:12
	s_wait_dscnt 0x0
	v_mul_f32_e32 v5, v20, v5
.LBB81_278:
	s_or_b32 exec_lo, exec_lo, s2
	s_delay_alu instid0(SALU_CYCLE_1)
	s_mov_b32 s2, exec_lo
	ds_store_b32 v105, v6
	s_wait_dscnt 0x0
	s_barrier_signal -1
	s_barrier_wait -1
	v_cmpx_gt_u32_e32 4, v0
	s_cbranch_execz .LBB81_288
; %bb.279:
	v_cmp_ne_u32_e32 vcc_lo, 1, v34
	s_cbranch_vccnz .LBB81_281
; %bb.280:
	v_cmp_eq_u32_e32 vcc_lo, 1, v0
	ds_load_b32 v21, v105
	v_cndmask_b32_e32 v20, v2, v3, vcc_lo
	v_cmp_eq_u32_e32 vcc_lo, 2, v0
	s_delay_alu instid0(VALU_DEP_2) | instskip(SKIP_1) | instid1(VALU_DEP_2)
	v_cndmask_b32_e32 v20, v20, v4, vcc_lo
	v_cmp_eq_u32_e32 vcc_lo, 3, v0
	v_cndmask_b32_e32 v20, v20, v5, vcc_lo
	v_cmp_eq_u32_e32 vcc_lo, 4, v0
	s_delay_alu instid0(VALU_DEP_2) | instskip(SKIP_1) | instid1(VALU_DEP_2)
	v_cndmask_b32_e32 v20, v20, v6, vcc_lo
	v_cmp_eq_u32_e32 vcc_lo, 5, v0
	;; [unrolled: 5-line block ×8, first 2 shown]
	v_cndmask_b32_e32 v20, v20, v19, vcc_lo
	s_wait_dscnt 0x0
	s_delay_alu instid0(VALU_DEP_1)
	v_mul_f32_e32 v22, v20, v21
	s_cbranch_execz .LBB81_282
	s_branch .LBB81_283
.LBB81_281:
                                        ; implicit-def: $vgpr22
.LBB81_282:
	ds_load_b32 v22, v105
.LBB81_283:
	s_mov_b32 s3, exec_lo
	v_cmpx_ne_u32_e32 3, v0
	s_cbranch_execz .LBB81_287
; %bb.284:
	v_mov_b64_e32 v[20:21], v[0:1]
	v_lshl_add_u32 v23, v0, 2, 0x54
	s_mov_b32 s4, 0
.LBB81_285:                             ; =>This Inner Loop Header: Depth=1
	s_delay_alu instid0(VALU_DEP_2)
	v_add_nc_u64_e32 v[20:21], 1, v[20:21]
	ds_load_b32 v25, v23
	v_add_nc_u32_e32 v23, 4, v23
	v_cmp_eq_u32_e32 vcc_lo, 1, v20
	v_cndmask_b32_e32 v24, v2, v3, vcc_lo
	v_cmp_eq_u32_e32 vcc_lo, 2, v20
	s_delay_alu instid0(VALU_DEP_2) | instskip(SKIP_1) | instid1(VALU_DEP_2)
	v_cndmask_b32_e32 v24, v24, v4, vcc_lo
	v_cmp_eq_u32_e32 vcc_lo, 3, v20
	v_cndmask_b32_e32 v24, v24, v5, vcc_lo
	v_cmp_eq_u32_e32 vcc_lo, 4, v20
	s_delay_alu instid0(VALU_DEP_2) | instskip(SKIP_1) | instid1(VALU_DEP_2)
	v_cndmask_b32_e32 v24, v24, v6, vcc_lo
	v_cmp_eq_u32_e32 vcc_lo, 5, v20
	v_cndmask_b32_e32 v24, v24, v7, vcc_lo
	v_cmp_eq_u32_e32 vcc_lo, 6, v20
	s_delay_alu instid0(VALU_DEP_2) | instskip(SKIP_1) | instid1(VALU_DEP_2)
	v_cndmask_b32_e32 v24, v24, v8, vcc_lo
	v_cmp_eq_u32_e32 vcc_lo, 7, v20
	v_cndmask_b32_e32 v24, v24, v9, vcc_lo
	v_cmp_eq_u32_e32 vcc_lo, 8, v20
	s_delay_alu instid0(VALU_DEP_2) | instskip(SKIP_1) | instid1(VALU_DEP_2)
	v_cndmask_b32_e32 v24, v24, v10, vcc_lo
	v_cmp_eq_u32_e32 vcc_lo, 9, v20
	v_cndmask_b32_e32 v24, v24, v11, vcc_lo
	v_cmp_eq_u32_e32 vcc_lo, 10, v20
	s_delay_alu instid0(VALU_DEP_2) | instskip(SKIP_1) | instid1(VALU_DEP_2)
	v_cndmask_b32_e32 v24, v24, v12, vcc_lo
	v_cmp_eq_u32_e32 vcc_lo, 11, v20
	v_cndmask_b32_e32 v24, v24, v13, vcc_lo
	v_cmp_eq_u32_e32 vcc_lo, 12, v20
	s_delay_alu instid0(VALU_DEP_2) | instskip(SKIP_1) | instid1(VALU_DEP_2)
	v_cndmask_b32_e32 v24, v24, v14, vcc_lo
	v_cmp_eq_u32_e32 vcc_lo, 13, v20
	v_cndmask_b32_e32 v24, v24, v15, vcc_lo
	v_cmp_eq_u32_e32 vcc_lo, 14, v20
	s_delay_alu instid0(VALU_DEP_2) | instskip(SKIP_1) | instid1(VALU_DEP_2)
	v_cndmask_b32_e32 v24, v24, v16, vcc_lo
	v_cmp_eq_u32_e32 vcc_lo, 15, v20
	v_cndmask_b32_e32 v24, v24, v17, vcc_lo
	v_cmp_eq_u32_e32 vcc_lo, 16, v20
	s_delay_alu instid0(VALU_DEP_2) | instskip(SKIP_1) | instid1(VALU_DEP_2)
	v_cndmask_b32_e32 v24, v24, v18, vcc_lo
	v_cmp_eq_u32_e32 vcc_lo, 17, v20
	v_cndmask_b32_e32 v24, v24, v19, vcc_lo
	v_cmp_lt_u32_e32 vcc_lo, 2, v20
	s_wait_dscnt 0x0
	s_delay_alu instid0(VALU_DEP_2) | instskip(SKIP_1) | instid1(SALU_CYCLE_1)
	v_fmac_f32_e32 v22, v24, v25
	s_or_b32 s4, vcc_lo, s4
	s_and_not1_b32 exec_lo, exec_lo, s4
	s_cbranch_execnz .LBB81_285
; %bb.286:
	s_or_b32 exec_lo, exec_lo, s4
.LBB81_287:
	s_delay_alu instid0(SALU_CYCLE_1)
	s_or_b32 exec_lo, exec_lo, s3
	v_mov_b32_e32 v6, 0
	ds_load_b32 v6, v6 offset:16
	s_wait_dscnt 0x0
	v_mul_f32_e32 v6, v22, v6
.LBB81_288:
	s_or_b32 exec_lo, exec_lo, s2
	v_cmp_gt_u32_e64 s2, 5, v0
	ds_store_b32 v105, v7
	s_wait_dscnt 0x0
	s_barrier_signal -1
	s_barrier_wait -1
	s_and_saveexec_b32 s3, s2
	s_cbranch_execz .LBB81_298
; %bb.289:
	v_cmp_ne_u32_e32 vcc_lo, 1, v34
	s_cbranch_vccnz .LBB81_291
; %bb.290:
	v_cmp_eq_u32_e32 vcc_lo, 1, v0
	ds_load_b32 v21, v105
	v_cndmask_b32_e32 v20, v2, v3, vcc_lo
	v_cmp_eq_u32_e32 vcc_lo, 2, v0
	s_delay_alu instid0(VALU_DEP_2) | instskip(SKIP_1) | instid1(VALU_DEP_2)
	v_cndmask_b32_e32 v20, v20, v4, vcc_lo
	v_cmp_eq_u32_e32 vcc_lo, 3, v0
	v_cndmask_b32_e32 v20, v20, v5, vcc_lo
	v_cmp_eq_u32_e32 vcc_lo, 4, v0
	s_delay_alu instid0(VALU_DEP_2) | instskip(SKIP_1) | instid1(VALU_DEP_2)
	v_cndmask_b32_e32 v20, v20, v6, vcc_lo
	v_cmp_eq_u32_e32 vcc_lo, 5, v0
	;; [unrolled: 5-line block ×8, first 2 shown]
	v_cndmask_b32_e32 v20, v20, v19, vcc_lo
	s_wait_dscnt 0x0
	s_delay_alu instid0(VALU_DEP_1)
	v_mul_f32_e32 v22, v20, v21
	s_cbranch_execz .LBB81_292
	s_branch .LBB81_293
.LBB81_291:
                                        ; implicit-def: $vgpr22
.LBB81_292:
	ds_load_b32 v22, v105
.LBB81_293:
	s_mov_b32 s4, exec_lo
	v_cmpx_ne_u32_e32 4, v0
	s_cbranch_execz .LBB81_297
; %bb.294:
	v_mov_b64_e32 v[20:21], v[0:1]
	v_lshl_add_u32 v23, v0, 2, 0x54
	s_mov_b32 s5, 0
.LBB81_295:                             ; =>This Inner Loop Header: Depth=1
	s_delay_alu instid0(VALU_DEP_2)
	v_add_nc_u64_e32 v[20:21], 1, v[20:21]
	ds_load_b32 v25, v23
	v_add_nc_u32_e32 v23, 4, v23
	v_cmp_eq_u32_e32 vcc_lo, 1, v20
	v_cndmask_b32_e32 v24, v2, v3, vcc_lo
	v_cmp_eq_u32_e32 vcc_lo, 2, v20
	s_delay_alu instid0(VALU_DEP_2) | instskip(SKIP_1) | instid1(VALU_DEP_2)
	v_cndmask_b32_e32 v24, v24, v4, vcc_lo
	v_cmp_eq_u32_e32 vcc_lo, 3, v20
	v_cndmask_b32_e32 v24, v24, v5, vcc_lo
	v_cmp_eq_u32_e32 vcc_lo, 4, v20
	s_delay_alu instid0(VALU_DEP_2) | instskip(SKIP_1) | instid1(VALU_DEP_2)
	v_cndmask_b32_e32 v24, v24, v6, vcc_lo
	;; [unrolled: 5-line block ×8, first 2 shown]
	v_cmp_eq_u32_e32 vcc_lo, 17, v20
	v_cndmask_b32_e32 v24, v24, v19, vcc_lo
	v_cmp_lt_u32_e32 vcc_lo, 3, v20
	s_wait_dscnt 0x0
	s_delay_alu instid0(VALU_DEP_2) | instskip(SKIP_1) | instid1(SALU_CYCLE_1)
	v_fmac_f32_e32 v22, v24, v25
	s_or_b32 s5, vcc_lo, s5
	s_and_not1_b32 exec_lo, exec_lo, s5
	s_cbranch_execnz .LBB81_295
; %bb.296:
	s_or_b32 exec_lo, exec_lo, s5
.LBB81_297:
	s_delay_alu instid0(SALU_CYCLE_1)
	s_or_b32 exec_lo, exec_lo, s4
	v_mov_b32_e32 v7, 0
	ds_load_b32 v7, v7 offset:20
	s_wait_dscnt 0x0
	v_mul_f32_e32 v7, v22, v7
.LBB81_298:
	s_or_b32 exec_lo, exec_lo, s3
	s_delay_alu instid0(SALU_CYCLE_1)
	s_mov_b32 s3, exec_lo
	ds_store_b32 v105, v8
	s_wait_dscnt 0x0
	s_barrier_signal -1
	s_barrier_wait -1
	v_cmpx_gt_u32_e32 6, v0
	s_cbranch_execz .LBB81_308
; %bb.299:
	v_cmp_ne_u32_e32 vcc_lo, 1, v34
	s_cbranch_vccnz .LBB81_301
; %bb.300:
	v_cmp_eq_u32_e32 vcc_lo, 1, v0
	ds_load_b32 v21, v105
	v_cndmask_b32_e32 v20, v2, v3, vcc_lo
	v_cmp_eq_u32_e32 vcc_lo, 2, v0
	s_delay_alu instid0(VALU_DEP_2) | instskip(SKIP_1) | instid1(VALU_DEP_2)
	v_cndmask_b32_e32 v20, v20, v4, vcc_lo
	v_cmp_eq_u32_e32 vcc_lo, 3, v0
	v_cndmask_b32_e32 v20, v20, v5, vcc_lo
	v_cmp_eq_u32_e32 vcc_lo, 4, v0
	s_delay_alu instid0(VALU_DEP_2) | instskip(SKIP_1) | instid1(VALU_DEP_2)
	v_cndmask_b32_e32 v20, v20, v6, vcc_lo
	v_cmp_eq_u32_e32 vcc_lo, 5, v0
	;; [unrolled: 5-line block ×8, first 2 shown]
	v_cndmask_b32_e32 v20, v20, v19, vcc_lo
	s_wait_dscnt 0x0
	s_delay_alu instid0(VALU_DEP_1)
	v_mul_f32_e32 v22, v20, v21
	s_cbranch_execz .LBB81_302
	s_branch .LBB81_303
.LBB81_301:
                                        ; implicit-def: $vgpr22
.LBB81_302:
	ds_load_b32 v22, v105
.LBB81_303:
	s_mov_b32 s4, exec_lo
	v_cmpx_ne_u32_e32 5, v0
	s_cbranch_execz .LBB81_307
; %bb.304:
	v_mov_b64_e32 v[20:21], v[0:1]
	v_lshl_add_u32 v23, v0, 2, 0x54
	s_mov_b32 s5, 0
.LBB81_305:                             ; =>This Inner Loop Header: Depth=1
	s_delay_alu instid0(VALU_DEP_2)
	v_add_nc_u64_e32 v[20:21], 1, v[20:21]
	ds_load_b32 v25, v23
	v_add_nc_u32_e32 v23, 4, v23
	v_cmp_eq_u32_e32 vcc_lo, 1, v20
	v_cndmask_b32_e32 v24, v2, v3, vcc_lo
	v_cmp_eq_u32_e32 vcc_lo, 2, v20
	s_delay_alu instid0(VALU_DEP_2) | instskip(SKIP_1) | instid1(VALU_DEP_2)
	v_cndmask_b32_e32 v24, v24, v4, vcc_lo
	v_cmp_eq_u32_e32 vcc_lo, 3, v20
	v_cndmask_b32_e32 v24, v24, v5, vcc_lo
	v_cmp_eq_u32_e32 vcc_lo, 4, v20
	s_delay_alu instid0(VALU_DEP_2) | instskip(SKIP_1) | instid1(VALU_DEP_2)
	v_cndmask_b32_e32 v24, v24, v6, vcc_lo
	;; [unrolled: 5-line block ×8, first 2 shown]
	v_cmp_eq_u32_e32 vcc_lo, 17, v20
	v_cndmask_b32_e32 v24, v24, v19, vcc_lo
	v_cmp_lt_u32_e32 vcc_lo, 4, v20
	s_wait_dscnt 0x0
	s_delay_alu instid0(VALU_DEP_2) | instskip(SKIP_1) | instid1(SALU_CYCLE_1)
	v_fmac_f32_e32 v22, v24, v25
	s_or_b32 s5, vcc_lo, s5
	s_and_not1_b32 exec_lo, exec_lo, s5
	s_cbranch_execnz .LBB81_305
; %bb.306:
	s_or_b32 exec_lo, exec_lo, s5
.LBB81_307:
	s_delay_alu instid0(SALU_CYCLE_1)
	s_or_b32 exec_lo, exec_lo, s4
	v_mov_b32_e32 v8, 0
	ds_load_b32 v8, v8 offset:24
	s_wait_dscnt 0x0
	v_mul_f32_e32 v8, v22, v8
.LBB81_308:
	s_or_b32 exec_lo, exec_lo, s3
	v_cmp_gt_u32_e64 s3, 7, v0
	ds_store_b32 v105, v9
	s_wait_dscnt 0x0
	s_barrier_signal -1
	s_barrier_wait -1
	s_and_saveexec_b32 s4, s3
	s_cbranch_execz .LBB81_318
; %bb.309:
	v_cmp_ne_u32_e32 vcc_lo, 1, v34
	s_cbranch_vccnz .LBB81_311
; %bb.310:
	v_cmp_eq_u32_e32 vcc_lo, 1, v0
	ds_load_b32 v21, v105
	v_cndmask_b32_e32 v20, v2, v3, vcc_lo
	v_cmp_eq_u32_e32 vcc_lo, 2, v0
	s_delay_alu instid0(VALU_DEP_2) | instskip(SKIP_1) | instid1(VALU_DEP_2)
	v_cndmask_b32_e32 v20, v20, v4, vcc_lo
	v_cmp_eq_u32_e32 vcc_lo, 3, v0
	v_cndmask_b32_e32 v20, v20, v5, vcc_lo
	v_cmp_eq_u32_e32 vcc_lo, 4, v0
	s_delay_alu instid0(VALU_DEP_2) | instskip(SKIP_1) | instid1(VALU_DEP_2)
	v_cndmask_b32_e32 v20, v20, v6, vcc_lo
	v_cmp_eq_u32_e32 vcc_lo, 5, v0
	;; [unrolled: 5-line block ×8, first 2 shown]
	v_cndmask_b32_e32 v20, v20, v19, vcc_lo
	s_wait_dscnt 0x0
	s_delay_alu instid0(VALU_DEP_1)
	v_mul_f32_e32 v22, v20, v21
	s_cbranch_execz .LBB81_312
	s_branch .LBB81_313
.LBB81_311:
                                        ; implicit-def: $vgpr22
.LBB81_312:
	ds_load_b32 v22, v105
.LBB81_313:
	s_mov_b32 s5, exec_lo
	v_cmpx_ne_u32_e32 6, v0
	s_cbranch_execz .LBB81_317
; %bb.314:
	v_mov_b64_e32 v[20:21], v[0:1]
	v_lshl_add_u32 v23, v0, 2, 0x54
	s_mov_b32 s6, 0
.LBB81_315:                             ; =>This Inner Loop Header: Depth=1
	s_delay_alu instid0(VALU_DEP_2)
	v_add_nc_u64_e32 v[20:21], 1, v[20:21]
	ds_load_b32 v25, v23
	v_add_nc_u32_e32 v23, 4, v23
	v_cmp_eq_u32_e32 vcc_lo, 1, v20
	v_cndmask_b32_e32 v24, v2, v3, vcc_lo
	v_cmp_eq_u32_e32 vcc_lo, 2, v20
	s_delay_alu instid0(VALU_DEP_2) | instskip(SKIP_1) | instid1(VALU_DEP_2)
	v_cndmask_b32_e32 v24, v24, v4, vcc_lo
	v_cmp_eq_u32_e32 vcc_lo, 3, v20
	v_cndmask_b32_e32 v24, v24, v5, vcc_lo
	v_cmp_eq_u32_e32 vcc_lo, 4, v20
	s_delay_alu instid0(VALU_DEP_2) | instskip(SKIP_1) | instid1(VALU_DEP_2)
	v_cndmask_b32_e32 v24, v24, v6, vcc_lo
	;; [unrolled: 5-line block ×8, first 2 shown]
	v_cmp_eq_u32_e32 vcc_lo, 17, v20
	v_cndmask_b32_e32 v24, v24, v19, vcc_lo
	v_cmp_lt_u32_e32 vcc_lo, 5, v20
	s_wait_dscnt 0x0
	s_delay_alu instid0(VALU_DEP_2) | instskip(SKIP_1) | instid1(SALU_CYCLE_1)
	v_fmac_f32_e32 v22, v24, v25
	s_or_b32 s6, vcc_lo, s6
	s_and_not1_b32 exec_lo, exec_lo, s6
	s_cbranch_execnz .LBB81_315
; %bb.316:
	s_or_b32 exec_lo, exec_lo, s6
.LBB81_317:
	s_delay_alu instid0(SALU_CYCLE_1)
	s_or_b32 exec_lo, exec_lo, s5
	v_mov_b32_e32 v9, 0
	ds_load_b32 v9, v9 offset:28
	s_wait_dscnt 0x0
	v_mul_f32_e32 v9, v22, v9
.LBB81_318:
	s_or_b32 exec_lo, exec_lo, s4
	s_delay_alu instid0(SALU_CYCLE_1)
	s_mov_b32 s4, exec_lo
	ds_store_b32 v105, v10
	s_wait_dscnt 0x0
	s_barrier_signal -1
	s_barrier_wait -1
	v_cmpx_gt_u32_e32 8, v0
	s_cbranch_execz .LBB81_328
; %bb.319:
	v_cmp_ne_u32_e32 vcc_lo, 1, v34
	s_cbranch_vccnz .LBB81_321
; %bb.320:
	v_cmp_eq_u32_e32 vcc_lo, 1, v0
	ds_load_b32 v21, v105
	v_cndmask_b32_e32 v20, v2, v3, vcc_lo
	v_cmp_eq_u32_e32 vcc_lo, 2, v0
	s_delay_alu instid0(VALU_DEP_2) | instskip(SKIP_1) | instid1(VALU_DEP_2)
	v_cndmask_b32_e32 v20, v20, v4, vcc_lo
	v_cmp_eq_u32_e32 vcc_lo, 3, v0
	v_cndmask_b32_e32 v20, v20, v5, vcc_lo
	v_cmp_eq_u32_e32 vcc_lo, 4, v0
	s_delay_alu instid0(VALU_DEP_2) | instskip(SKIP_1) | instid1(VALU_DEP_2)
	v_cndmask_b32_e32 v20, v20, v6, vcc_lo
	v_cmp_eq_u32_e32 vcc_lo, 5, v0
	;; [unrolled: 5-line block ×8, first 2 shown]
	v_cndmask_b32_e32 v20, v20, v19, vcc_lo
	s_wait_dscnt 0x0
	s_delay_alu instid0(VALU_DEP_1)
	v_mul_f32_e32 v22, v20, v21
	s_cbranch_execz .LBB81_322
	s_branch .LBB81_323
.LBB81_321:
                                        ; implicit-def: $vgpr22
.LBB81_322:
	ds_load_b32 v22, v105
.LBB81_323:
	s_mov_b32 s5, exec_lo
	v_cmpx_ne_u32_e32 7, v0
	s_cbranch_execz .LBB81_327
; %bb.324:
	v_mov_b64_e32 v[20:21], v[0:1]
	v_lshl_add_u32 v23, v0, 2, 0x54
	s_mov_b32 s6, 0
.LBB81_325:                             ; =>This Inner Loop Header: Depth=1
	s_delay_alu instid0(VALU_DEP_2)
	v_add_nc_u64_e32 v[20:21], 1, v[20:21]
	ds_load_b32 v25, v23
	v_add_nc_u32_e32 v23, 4, v23
	v_cmp_eq_u32_e32 vcc_lo, 1, v20
	v_cndmask_b32_e32 v24, v2, v3, vcc_lo
	v_cmp_eq_u32_e32 vcc_lo, 2, v20
	s_delay_alu instid0(VALU_DEP_2) | instskip(SKIP_1) | instid1(VALU_DEP_2)
	v_cndmask_b32_e32 v24, v24, v4, vcc_lo
	v_cmp_eq_u32_e32 vcc_lo, 3, v20
	v_cndmask_b32_e32 v24, v24, v5, vcc_lo
	v_cmp_eq_u32_e32 vcc_lo, 4, v20
	s_delay_alu instid0(VALU_DEP_2) | instskip(SKIP_1) | instid1(VALU_DEP_2)
	v_cndmask_b32_e32 v24, v24, v6, vcc_lo
	;; [unrolled: 5-line block ×8, first 2 shown]
	v_cmp_eq_u32_e32 vcc_lo, 17, v20
	v_cndmask_b32_e32 v24, v24, v19, vcc_lo
	v_cmp_lt_u32_e32 vcc_lo, 6, v20
	s_wait_dscnt 0x0
	s_delay_alu instid0(VALU_DEP_2) | instskip(SKIP_1) | instid1(SALU_CYCLE_1)
	v_fmac_f32_e32 v22, v24, v25
	s_or_b32 s6, vcc_lo, s6
	s_and_not1_b32 exec_lo, exec_lo, s6
	s_cbranch_execnz .LBB81_325
; %bb.326:
	s_or_b32 exec_lo, exec_lo, s6
.LBB81_327:
	s_delay_alu instid0(SALU_CYCLE_1)
	s_or_b32 exec_lo, exec_lo, s5
	v_mov_b32_e32 v10, 0
	ds_load_b32 v10, v10 offset:32
	s_wait_dscnt 0x0
	v_mul_f32_e32 v10, v22, v10
.LBB81_328:
	s_or_b32 exec_lo, exec_lo, s4
	s_delay_alu instid0(SALU_CYCLE_1)
	s_mov_b32 s4, exec_lo
	ds_store_b32 v105, v11
	s_wait_dscnt 0x0
	s_barrier_signal -1
	s_barrier_wait -1
	v_cmpx_gt_u32_e32 9, v0
	s_cbranch_execz .LBB81_350
; %bb.329:
	v_cmp_ne_u32_e32 vcc_lo, 1, v34
	s_cbranch_vccnz .LBB81_331
; %bb.330:
	v_cmp_eq_u32_e32 vcc_lo, 1, v0
	ds_load_b32 v21, v105
	v_cndmask_b32_e32 v20, v2, v3, vcc_lo
	v_cmp_eq_u32_e32 vcc_lo, 2, v0
	s_delay_alu instid0(VALU_DEP_2) | instskip(SKIP_1) | instid1(VALU_DEP_2)
	v_cndmask_b32_e32 v20, v20, v4, vcc_lo
	v_cmp_eq_u32_e32 vcc_lo, 3, v0
	v_cndmask_b32_e32 v20, v20, v5, vcc_lo
	v_cmp_eq_u32_e32 vcc_lo, 4, v0
	s_delay_alu instid0(VALU_DEP_2) | instskip(SKIP_1) | instid1(VALU_DEP_2)
	v_cndmask_b32_e32 v20, v20, v6, vcc_lo
	v_cmp_eq_u32_e32 vcc_lo, 5, v0
	;; [unrolled: 5-line block ×8, first 2 shown]
	v_cndmask_b32_e32 v20, v20, v19, vcc_lo
	s_wait_dscnt 0x0
	s_delay_alu instid0(VALU_DEP_1)
	v_mul_f32_e32 v20, v20, v21
	s_cbranch_execz .LBB81_332
	s_branch .LBB81_333
.LBB81_331:
                                        ; implicit-def: $vgpr20
.LBB81_332:
	ds_load_b32 v20, v105
.LBB81_333:
	s_mov_b32 s5, exec_lo
	v_cmpx_ne_u32_e32 8, v0
	s_cbranch_execz .LBB81_349
; %bb.334:
	v_cmp_eq_u32_e32 vcc_lo, 1, v35
	ds_load_b32 v22, v105 offset:4
	v_cndmask_b32_e32 v21, v2, v3, vcc_lo
	v_cmp_eq_u32_e32 vcc_lo, 2, v35
	s_delay_alu instid0(VALU_DEP_2) | instskip(SKIP_1) | instid1(VALU_DEP_2)
	v_cndmask_b32_e32 v21, v21, v4, vcc_lo
	v_cmp_eq_u32_e32 vcc_lo, 3, v35
	v_cndmask_b32_e32 v21, v21, v5, vcc_lo
	v_cmp_eq_u32_e32 vcc_lo, 4, v35
	s_delay_alu instid0(VALU_DEP_2) | instskip(SKIP_1) | instid1(VALU_DEP_2)
	v_cndmask_b32_e32 v21, v21, v6, vcc_lo
	v_cmp_eq_u32_e32 vcc_lo, 5, v35
	;; [unrolled: 5-line block ×8, first 2 shown]
	v_cndmask_b32_e32 v21, v21, v19, vcc_lo
	s_wait_dscnt 0x0
	s_delay_alu instid0(VALU_DEP_1)
	v_fmac_f32_e32 v20, v21, v22
	s_and_saveexec_b32 s6, s3
	s_cbranch_execz .LBB81_348
; %bb.335:
	v_add_nc_u32_e32 v21, 2, v0
	ds_load_b32 v23, v105 offset:8
	s_mov_b32 s3, exec_lo
	v_cmp_eq_u32_e32 vcc_lo, 1, v21
	v_cndmask_b32_e32 v22, v2, v3, vcc_lo
	v_cmp_eq_u32_e32 vcc_lo, 2, v21
	s_delay_alu instid0(VALU_DEP_2) | instskip(SKIP_1) | instid1(VALU_DEP_2)
	v_cndmask_b32_e32 v22, v22, v4, vcc_lo
	v_cmp_eq_u32_e32 vcc_lo, 3, v21
	v_cndmask_b32_e32 v22, v22, v5, vcc_lo
	v_cmp_eq_u32_e32 vcc_lo, 4, v21
	s_delay_alu instid0(VALU_DEP_2) | instskip(SKIP_1) | instid1(VALU_DEP_2)
	v_cndmask_b32_e32 v22, v22, v6, vcc_lo
	;; [unrolled: 5-line block ×8, first 2 shown]
	v_cmp_eq_u32_e32 vcc_lo, 17, v21
	v_cndmask_b32_e32 v21, v22, v19, vcc_lo
	s_wait_dscnt 0x0
	s_delay_alu instid0(VALU_DEP_1)
	v_fmac_f32_e32 v20, v21, v23
	v_cmpx_ne_u32_e32 6, v0
	s_cbranch_execz .LBB81_347
; %bb.336:
	v_add_nc_u32_e32 v21, 3, v0
	ds_load_b32 v23, v105 offset:12
	v_cmp_eq_u32_e32 vcc_lo, 1, v21
	v_cndmask_b32_e32 v22, v2, v3, vcc_lo
	v_cmp_eq_u32_e32 vcc_lo, 2, v21
	s_delay_alu instid0(VALU_DEP_2) | instskip(SKIP_1) | instid1(VALU_DEP_2)
	v_cndmask_b32_e32 v22, v22, v4, vcc_lo
	v_cmp_eq_u32_e32 vcc_lo, 3, v21
	v_cndmask_b32_e32 v22, v22, v5, vcc_lo
	v_cmp_eq_u32_e32 vcc_lo, 4, v21
	s_delay_alu instid0(VALU_DEP_2) | instskip(SKIP_1) | instid1(VALU_DEP_2)
	v_cndmask_b32_e32 v22, v22, v6, vcc_lo
	v_cmp_eq_u32_e32 vcc_lo, 5, v21
	v_cndmask_b32_e32 v22, v22, v7, vcc_lo
	v_cmp_eq_u32_e32 vcc_lo, 6, v21
	s_delay_alu instid0(VALU_DEP_2) | instskip(SKIP_1) | instid1(VALU_DEP_2)
	v_cndmask_b32_e32 v22, v22, v8, vcc_lo
	v_cmp_eq_u32_e32 vcc_lo, 7, v21
	v_cndmask_b32_e32 v22, v22, v9, vcc_lo
	v_cmp_eq_u32_e32 vcc_lo, 8, v21
	s_delay_alu instid0(VALU_DEP_2) | instskip(SKIP_1) | instid1(VALU_DEP_2)
	v_cndmask_b32_e32 v22, v22, v10, vcc_lo
	v_cmp_eq_u32_e32 vcc_lo, 9, v21
	v_cndmask_b32_e32 v22, v22, v11, vcc_lo
	v_cmp_eq_u32_e32 vcc_lo, 10, v21
	s_delay_alu instid0(VALU_DEP_2) | instskip(SKIP_1) | instid1(VALU_DEP_2)
	v_cndmask_b32_e32 v22, v22, v12, vcc_lo
	v_cmp_eq_u32_e32 vcc_lo, 11, v21
	v_cndmask_b32_e32 v22, v22, v13, vcc_lo
	v_cmp_eq_u32_e32 vcc_lo, 12, v21
	s_delay_alu instid0(VALU_DEP_2) | instskip(SKIP_1) | instid1(VALU_DEP_2)
	v_cndmask_b32_e32 v22, v22, v14, vcc_lo
	v_cmp_eq_u32_e32 vcc_lo, 13, v21
	v_cndmask_b32_e32 v22, v22, v15, vcc_lo
	v_cmp_eq_u32_e32 vcc_lo, 14, v21
	s_delay_alu instid0(VALU_DEP_2) | instskip(SKIP_1) | instid1(VALU_DEP_2)
	v_cndmask_b32_e32 v22, v22, v16, vcc_lo
	v_cmp_eq_u32_e32 vcc_lo, 15, v21
	v_cndmask_b32_e32 v22, v22, v17, vcc_lo
	v_cmp_eq_u32_e32 vcc_lo, 16, v21
	s_delay_alu instid0(VALU_DEP_2) | instskip(SKIP_1) | instid1(VALU_DEP_2)
	v_cndmask_b32_e32 v22, v22, v18, vcc_lo
	v_cmp_eq_u32_e32 vcc_lo, 17, v21
	v_cndmask_b32_e32 v21, v22, v19, vcc_lo
	s_wait_dscnt 0x0
	s_delay_alu instid0(VALU_DEP_1)
	v_fmac_f32_e32 v20, v21, v23
	s_and_saveexec_b32 s7, s2
	s_cbranch_execz .LBB81_346
; %bb.337:
	v_add_nc_u32_e32 v21, 4, v0
	ds_load_b32 v23, v105 offset:16
	s_mov_b32 s2, exec_lo
	v_cmp_eq_u32_e32 vcc_lo, 1, v21
	v_cndmask_b32_e32 v22, v2, v3, vcc_lo
	v_cmp_eq_u32_e32 vcc_lo, 2, v21
	s_delay_alu instid0(VALU_DEP_2) | instskip(SKIP_1) | instid1(VALU_DEP_2)
	v_cndmask_b32_e32 v22, v22, v4, vcc_lo
	v_cmp_eq_u32_e32 vcc_lo, 3, v21
	v_cndmask_b32_e32 v22, v22, v5, vcc_lo
	v_cmp_eq_u32_e32 vcc_lo, 4, v21
	s_delay_alu instid0(VALU_DEP_2) | instskip(SKIP_1) | instid1(VALU_DEP_2)
	v_cndmask_b32_e32 v22, v22, v6, vcc_lo
	;; [unrolled: 5-line block ×8, first 2 shown]
	v_cmp_eq_u32_e32 vcc_lo, 17, v21
	v_cndmask_b32_e32 v21, v22, v19, vcc_lo
	s_wait_dscnt 0x0
	s_delay_alu instid0(VALU_DEP_1)
	v_fmac_f32_e32 v20, v21, v23
	v_cmpx_ne_u32_e32 4, v0
	s_cbranch_execz .LBB81_345
; %bb.338:
	v_add_nc_u32_e32 v21, 5, v0
	ds_load_b32 v23, v105 offset:20
	v_cmp_eq_u32_e32 vcc_lo, 1, v21
	v_cndmask_b32_e32 v22, v2, v3, vcc_lo
	v_cmp_eq_u32_e32 vcc_lo, 2, v21
	s_delay_alu instid0(VALU_DEP_2) | instskip(SKIP_1) | instid1(VALU_DEP_2)
	v_cndmask_b32_e32 v22, v22, v4, vcc_lo
	v_cmp_eq_u32_e32 vcc_lo, 3, v21
	v_cndmask_b32_e32 v22, v22, v5, vcc_lo
	v_cmp_eq_u32_e32 vcc_lo, 4, v21
	s_delay_alu instid0(VALU_DEP_2) | instskip(SKIP_1) | instid1(VALU_DEP_2)
	v_cndmask_b32_e32 v22, v22, v6, vcc_lo
	v_cmp_eq_u32_e32 vcc_lo, 5, v21
	v_cndmask_b32_e32 v22, v22, v7, vcc_lo
	v_cmp_eq_u32_e32 vcc_lo, 6, v21
	s_delay_alu instid0(VALU_DEP_2) | instskip(SKIP_1) | instid1(VALU_DEP_2)
	v_cndmask_b32_e32 v22, v22, v8, vcc_lo
	v_cmp_eq_u32_e32 vcc_lo, 7, v21
	v_cndmask_b32_e32 v22, v22, v9, vcc_lo
	v_cmp_eq_u32_e32 vcc_lo, 8, v21
	s_delay_alu instid0(VALU_DEP_2) | instskip(SKIP_1) | instid1(VALU_DEP_2)
	v_cndmask_b32_e32 v22, v22, v10, vcc_lo
	v_cmp_eq_u32_e32 vcc_lo, 9, v21
	v_cndmask_b32_e32 v22, v22, v11, vcc_lo
	v_cmp_eq_u32_e32 vcc_lo, 10, v21
	s_delay_alu instid0(VALU_DEP_2) | instskip(SKIP_1) | instid1(VALU_DEP_2)
	v_cndmask_b32_e32 v22, v22, v12, vcc_lo
	v_cmp_eq_u32_e32 vcc_lo, 11, v21
	v_cndmask_b32_e32 v22, v22, v13, vcc_lo
	v_cmp_eq_u32_e32 vcc_lo, 12, v21
	s_delay_alu instid0(VALU_DEP_2) | instskip(SKIP_1) | instid1(VALU_DEP_2)
	v_cndmask_b32_e32 v22, v22, v14, vcc_lo
	v_cmp_eq_u32_e32 vcc_lo, 13, v21
	v_cndmask_b32_e32 v22, v22, v15, vcc_lo
	v_cmp_eq_u32_e32 vcc_lo, 14, v21
	s_delay_alu instid0(VALU_DEP_2) | instskip(SKIP_1) | instid1(VALU_DEP_2)
	v_cndmask_b32_e32 v22, v22, v16, vcc_lo
	v_cmp_eq_u32_e32 vcc_lo, 15, v21
	v_cndmask_b32_e32 v22, v22, v17, vcc_lo
	v_cmp_eq_u32_e32 vcc_lo, 16, v21
	s_delay_alu instid0(VALU_DEP_2) | instskip(SKIP_1) | instid1(VALU_DEP_2)
	v_cndmask_b32_e32 v22, v22, v18, vcc_lo
	v_cmp_eq_u32_e32 vcc_lo, 17, v21
	v_cndmask_b32_e32 v21, v22, v19, vcc_lo
	s_wait_dscnt 0x0
	s_delay_alu instid0(VALU_DEP_1)
	v_fmac_f32_e32 v20, v21, v23
	s_and_saveexec_b32 s8, s1
	s_cbranch_execz .LBB81_344
; %bb.339:
	v_add_nc_u32_e32 v21, 6, v0
	ds_load_b32 v23, v105 offset:24
	s_mov_b32 s1, exec_lo
	v_cmp_eq_u32_e32 vcc_lo, 1, v21
	v_cndmask_b32_e32 v22, v2, v3, vcc_lo
	v_cmp_eq_u32_e32 vcc_lo, 2, v21
	s_delay_alu instid0(VALU_DEP_2) | instskip(SKIP_1) | instid1(VALU_DEP_2)
	v_cndmask_b32_e32 v22, v22, v4, vcc_lo
	v_cmp_eq_u32_e32 vcc_lo, 3, v21
	v_cndmask_b32_e32 v22, v22, v5, vcc_lo
	v_cmp_eq_u32_e32 vcc_lo, 4, v21
	s_delay_alu instid0(VALU_DEP_2) | instskip(SKIP_1) | instid1(VALU_DEP_2)
	v_cndmask_b32_e32 v22, v22, v6, vcc_lo
	;; [unrolled: 5-line block ×8, first 2 shown]
	v_cmp_eq_u32_e32 vcc_lo, 17, v21
	v_cndmask_b32_e32 v21, v22, v19, vcc_lo
	s_wait_dscnt 0x0
	s_delay_alu instid0(VALU_DEP_1)
	v_fmac_f32_e32 v20, v21, v23
	v_cmpx_ne_u32_e32 2, v0
	s_cbranch_execz .LBB81_343
; %bb.340:
	v_add_nc_u32_e32 v21, 7, v0
	s_delay_alu instid0(VALU_DEP_1) | instskip(SKIP_2) | instid1(VALU_DEP_2)
	v_cmp_eq_u32_e32 vcc_lo, 1, v21
	v_cndmask_b32_e32 v22, v2, v3, vcc_lo
	v_cmp_eq_u32_e32 vcc_lo, 2, v21
	v_cndmask_b32_e32 v22, v22, v4, vcc_lo
	v_cmp_eq_u32_e32 vcc_lo, 3, v21
	s_delay_alu instid0(VALU_DEP_2) | instskip(SKIP_1) | instid1(VALU_DEP_2)
	v_cndmask_b32_e32 v22, v22, v5, vcc_lo
	v_cmp_eq_u32_e32 vcc_lo, 4, v21
	v_cndmask_b32_e32 v22, v22, v6, vcc_lo
	v_cmp_eq_u32_e32 vcc_lo, 5, v21
	s_delay_alu instid0(VALU_DEP_2) | instskip(SKIP_1) | instid1(VALU_DEP_2)
	;; [unrolled: 5-line block ×3, first 2 shown]
	v_cndmask_b32_e32 v22, v22, v9, vcc_lo
	v_cmp_eq_u32_e32 vcc_lo, 8, v21
	v_cndmask_b32_e32 v22, v22, v10, vcc_lo
	v_cmp_eq_u32_e32 vcc_lo, 9, v21
	s_delay_alu instid0(VALU_DEP_2) | instskip(SKIP_4) | instid1(VALU_DEP_2)
	v_cndmask_b32_e32 v11, v22, v11, vcc_lo
	v_cmp_eq_u32_e32 vcc_lo, 10, v21
	ds_load_b32 v22, v105 offset:28
	v_cndmask_b32_e32 v11, v11, v12, vcc_lo
	v_cmp_eq_u32_e32 vcc_lo, 11, v21
	v_cndmask_b32_e32 v11, v11, v13, vcc_lo
	v_cmp_eq_u32_e32 vcc_lo, 12, v21
	s_delay_alu instid0(VALU_DEP_2) | instskip(SKIP_1) | instid1(VALU_DEP_2)
	v_cndmask_b32_e32 v11, v11, v14, vcc_lo
	v_cmp_eq_u32_e32 vcc_lo, 13, v21
	v_cndmask_b32_e32 v11, v11, v15, vcc_lo
	v_cmp_eq_u32_e32 vcc_lo, 14, v21
	s_delay_alu instid0(VALU_DEP_2) | instskip(SKIP_1) | instid1(VALU_DEP_2)
	;; [unrolled: 5-line block ×3, first 2 shown]
	v_cndmask_b32_e32 v11, v11, v18, vcc_lo
	v_cmp_eq_u32_e32 vcc_lo, 17, v21
	v_cndmask_b32_e32 v11, v11, v19, vcc_lo
	s_wait_dscnt 0x0
	s_delay_alu instid0(VALU_DEP_1)
	v_fmac_f32_e32 v20, v11, v22
	s_and_saveexec_b32 s9, s0
	s_cbranch_execz .LBB81_342
; %bb.341:
	ds_load_b32 v11, v105 offset:32
	s_wait_dscnt 0x0
	v_fmac_f32_e32 v20, v10, v11
.LBB81_342:
	s_or_b32 exec_lo, exec_lo, s9
.LBB81_343:
	s_delay_alu instid0(SALU_CYCLE_1)
	s_or_b32 exec_lo, exec_lo, s1
.LBB81_344:
	s_delay_alu instid0(SALU_CYCLE_1)
	s_or_b32 exec_lo, exec_lo, s8
.LBB81_345:
	s_delay_alu instid0(SALU_CYCLE_1)
	s_or_b32 exec_lo, exec_lo, s2
.LBB81_346:
	s_delay_alu instid0(SALU_CYCLE_1)
	s_or_b32 exec_lo, exec_lo, s7
.LBB81_347:
	s_delay_alu instid0(SALU_CYCLE_1)
	s_or_b32 exec_lo, exec_lo, s3
.LBB81_348:
	s_delay_alu instid0(SALU_CYCLE_1)
	s_or_b32 exec_lo, exec_lo, s6
.LBB81_349:
	s_delay_alu instid0(SALU_CYCLE_1)
	s_or_b32 exec_lo, exec_lo, s5
	v_mov_b32_e32 v11, 0
	ds_load_b32 v11, v11 offset:36
	s_wait_dscnt 0x0
	v_mul_f32_e32 v11, v20, v11
.LBB81_350:
	s_or_b32 exec_lo, exec_lo, s4
	s_delay_alu instid0(SALU_CYCLE_1)
	s_mov_b32 s0, exec_lo
	ds_store_b32 v105, v12
	s_wait_dscnt 0x0
	s_barrier_signal -1
	s_barrier_wait -1
	v_cmpx_gt_u32_e32 10, v0
	s_cbranch_execz .LBB81_360
; %bb.351:
	v_cmp_ne_u32_e32 vcc_lo, 1, v34
	s_cbranch_vccnz .LBB81_353
; %bb.352:
	v_cmp_eq_u32_e32 vcc_lo, 1, v0
	ds_load_b32 v21, v105
	v_cndmask_b32_e32 v20, v2, v3, vcc_lo
	v_cmp_eq_u32_e32 vcc_lo, 2, v0
	s_delay_alu instid0(VALU_DEP_2) | instskip(SKIP_1) | instid1(VALU_DEP_2)
	v_cndmask_b32_e32 v20, v20, v4, vcc_lo
	v_cmp_eq_u32_e32 vcc_lo, 3, v0
	v_cndmask_b32_e32 v20, v20, v5, vcc_lo
	v_cmp_eq_u32_e32 vcc_lo, 4, v0
	s_delay_alu instid0(VALU_DEP_2) | instskip(SKIP_1) | instid1(VALU_DEP_2)
	v_cndmask_b32_e32 v20, v20, v6, vcc_lo
	v_cmp_eq_u32_e32 vcc_lo, 5, v0
	;; [unrolled: 5-line block ×8, first 2 shown]
	v_cndmask_b32_e32 v20, v20, v19, vcc_lo
	s_wait_dscnt 0x0
	s_delay_alu instid0(VALU_DEP_1)
	v_mul_f32_e32 v22, v20, v21
	s_cbranch_execz .LBB81_354
	s_branch .LBB81_355
.LBB81_353:
                                        ; implicit-def: $vgpr22
.LBB81_354:
	ds_load_b32 v22, v105
.LBB81_355:
	s_mov_b32 s1, exec_lo
	v_cmpx_ne_u32_e32 9, v0
	s_cbranch_execz .LBB81_359
; %bb.356:
	v_mov_b64_e32 v[20:21], v[0:1]
	v_lshl_add_u32 v23, v0, 2, 0x54
	s_mov_b32 s2, 0
.LBB81_357:                             ; =>This Inner Loop Header: Depth=1
	s_delay_alu instid0(VALU_DEP_2)
	v_add_nc_u64_e32 v[20:21], 1, v[20:21]
	ds_load_b32 v25, v23
	v_add_nc_u32_e32 v23, 4, v23
	v_cmp_eq_u32_e32 vcc_lo, 1, v20
	v_cndmask_b32_e32 v24, v2, v3, vcc_lo
	v_cmp_eq_u32_e32 vcc_lo, 2, v20
	s_delay_alu instid0(VALU_DEP_2) | instskip(SKIP_1) | instid1(VALU_DEP_2)
	v_cndmask_b32_e32 v24, v24, v4, vcc_lo
	v_cmp_eq_u32_e32 vcc_lo, 3, v20
	v_cndmask_b32_e32 v24, v24, v5, vcc_lo
	v_cmp_eq_u32_e32 vcc_lo, 4, v20
	s_delay_alu instid0(VALU_DEP_2) | instskip(SKIP_1) | instid1(VALU_DEP_2)
	v_cndmask_b32_e32 v24, v24, v6, vcc_lo
	;; [unrolled: 5-line block ×8, first 2 shown]
	v_cmp_eq_u32_e32 vcc_lo, 17, v20
	v_cndmask_b32_e32 v24, v24, v19, vcc_lo
	v_cmp_lt_u32_e32 vcc_lo, 8, v20
	s_wait_dscnt 0x0
	s_delay_alu instid0(VALU_DEP_2) | instskip(SKIP_1) | instid1(SALU_CYCLE_1)
	v_fmac_f32_e32 v22, v24, v25
	s_or_b32 s2, vcc_lo, s2
	s_and_not1_b32 exec_lo, exec_lo, s2
	s_cbranch_execnz .LBB81_357
; %bb.358:
	s_or_b32 exec_lo, exec_lo, s2
.LBB81_359:
	s_delay_alu instid0(SALU_CYCLE_1)
	s_or_b32 exec_lo, exec_lo, s1
	v_mov_b32_e32 v12, 0
	ds_load_b32 v12, v12 offset:40
	s_wait_dscnt 0x0
	v_mul_f32_e32 v12, v22, v12
.LBB81_360:
	s_or_b32 exec_lo, exec_lo, s0
	s_delay_alu instid0(SALU_CYCLE_1)
	s_mov_b32 s0, exec_lo
	ds_store_b32 v105, v13
	s_wait_dscnt 0x0
	s_barrier_signal -1
	s_barrier_wait -1
	v_cmpx_gt_u32_e32 11, v0
	s_cbranch_execz .LBB81_370
; %bb.361:
	v_cmp_ne_u32_e32 vcc_lo, 1, v34
	s_cbranch_vccnz .LBB81_363
; %bb.362:
	v_cmp_eq_u32_e32 vcc_lo, 1, v0
	ds_load_b32 v21, v105
	v_cndmask_b32_e32 v20, v2, v3, vcc_lo
	v_cmp_eq_u32_e32 vcc_lo, 2, v0
	s_delay_alu instid0(VALU_DEP_2) | instskip(SKIP_1) | instid1(VALU_DEP_2)
	v_cndmask_b32_e32 v20, v20, v4, vcc_lo
	v_cmp_eq_u32_e32 vcc_lo, 3, v0
	v_cndmask_b32_e32 v20, v20, v5, vcc_lo
	v_cmp_eq_u32_e32 vcc_lo, 4, v0
	s_delay_alu instid0(VALU_DEP_2) | instskip(SKIP_1) | instid1(VALU_DEP_2)
	v_cndmask_b32_e32 v20, v20, v6, vcc_lo
	v_cmp_eq_u32_e32 vcc_lo, 5, v0
	v_cndmask_b32_e32 v20, v20, v7, vcc_lo
	v_cmp_eq_u32_e32 vcc_lo, 6, v0
	s_delay_alu instid0(VALU_DEP_2) | instskip(SKIP_1) | instid1(VALU_DEP_2)
	v_cndmask_b32_e32 v20, v20, v8, vcc_lo
	v_cmp_eq_u32_e32 vcc_lo, 7, v0
	v_cndmask_b32_e32 v20, v20, v9, vcc_lo
	v_cmp_eq_u32_e32 vcc_lo, 8, v0
	s_delay_alu instid0(VALU_DEP_2) | instskip(SKIP_1) | instid1(VALU_DEP_2)
	v_cndmask_b32_e32 v20, v20, v10, vcc_lo
	v_cmp_eq_u32_e32 vcc_lo, 9, v0
	v_cndmask_b32_e32 v20, v20, v11, vcc_lo
	v_cmp_eq_u32_e32 vcc_lo, 10, v0
	s_delay_alu instid0(VALU_DEP_2) | instskip(SKIP_1) | instid1(VALU_DEP_2)
	v_cndmask_b32_e32 v20, v20, v12, vcc_lo
	v_cmp_eq_u32_e32 vcc_lo, 11, v0
	v_cndmask_b32_e32 v20, v20, v13, vcc_lo
	v_cmp_eq_u32_e32 vcc_lo, 12, v0
	s_delay_alu instid0(VALU_DEP_2) | instskip(SKIP_1) | instid1(VALU_DEP_2)
	v_cndmask_b32_e32 v20, v20, v14, vcc_lo
	v_cmp_eq_u32_e32 vcc_lo, 13, v0
	v_cndmask_b32_e32 v20, v20, v15, vcc_lo
	v_cmp_eq_u32_e32 vcc_lo, 14, v0
	s_delay_alu instid0(VALU_DEP_2) | instskip(SKIP_1) | instid1(VALU_DEP_2)
	v_cndmask_b32_e32 v20, v20, v16, vcc_lo
	v_cmp_eq_u32_e32 vcc_lo, 15, v0
	v_cndmask_b32_e32 v20, v20, v17, vcc_lo
	v_cmp_eq_u32_e32 vcc_lo, 16, v0
	s_delay_alu instid0(VALU_DEP_2) | instskip(SKIP_1) | instid1(VALU_DEP_2)
	v_cndmask_b32_e32 v20, v20, v18, vcc_lo
	v_cmp_eq_u32_e32 vcc_lo, 17, v0
	v_cndmask_b32_e32 v20, v20, v19, vcc_lo
	s_wait_dscnt 0x0
	s_delay_alu instid0(VALU_DEP_1)
	v_mul_f32_e32 v22, v20, v21
	s_cbranch_execz .LBB81_364
	s_branch .LBB81_365
.LBB81_363:
                                        ; implicit-def: $vgpr22
.LBB81_364:
	ds_load_b32 v22, v105
.LBB81_365:
	s_mov_b32 s1, exec_lo
	v_cmpx_ne_u32_e32 10, v0
	s_cbranch_execz .LBB81_369
; %bb.366:
	v_mov_b64_e32 v[20:21], v[0:1]
	v_lshl_add_u32 v23, v0, 2, 0x54
	s_mov_b32 s2, 0
.LBB81_367:                             ; =>This Inner Loop Header: Depth=1
	s_delay_alu instid0(VALU_DEP_2)
	v_add_nc_u64_e32 v[20:21], 1, v[20:21]
	ds_load_b32 v25, v23
	v_add_nc_u32_e32 v23, 4, v23
	v_cmp_eq_u32_e32 vcc_lo, 1, v20
	v_cndmask_b32_e32 v24, v2, v3, vcc_lo
	v_cmp_eq_u32_e32 vcc_lo, 2, v20
	s_delay_alu instid0(VALU_DEP_2) | instskip(SKIP_1) | instid1(VALU_DEP_2)
	v_cndmask_b32_e32 v24, v24, v4, vcc_lo
	v_cmp_eq_u32_e32 vcc_lo, 3, v20
	v_cndmask_b32_e32 v24, v24, v5, vcc_lo
	v_cmp_eq_u32_e32 vcc_lo, 4, v20
	s_delay_alu instid0(VALU_DEP_2) | instskip(SKIP_1) | instid1(VALU_DEP_2)
	v_cndmask_b32_e32 v24, v24, v6, vcc_lo
	;; [unrolled: 5-line block ×8, first 2 shown]
	v_cmp_eq_u32_e32 vcc_lo, 17, v20
	v_cndmask_b32_e32 v24, v24, v19, vcc_lo
	v_cmp_lt_u32_e32 vcc_lo, 9, v20
	s_wait_dscnt 0x0
	s_delay_alu instid0(VALU_DEP_2) | instskip(SKIP_1) | instid1(SALU_CYCLE_1)
	v_fmac_f32_e32 v22, v24, v25
	s_or_b32 s2, vcc_lo, s2
	s_and_not1_b32 exec_lo, exec_lo, s2
	s_cbranch_execnz .LBB81_367
; %bb.368:
	s_or_b32 exec_lo, exec_lo, s2
.LBB81_369:
	s_delay_alu instid0(SALU_CYCLE_1)
	s_or_b32 exec_lo, exec_lo, s1
	v_mov_b32_e32 v13, 0
	ds_load_b32 v13, v13 offset:44
	s_wait_dscnt 0x0
	v_mul_f32_e32 v13, v22, v13
.LBB81_370:
	s_or_b32 exec_lo, exec_lo, s0
	s_delay_alu instid0(SALU_CYCLE_1)
	s_mov_b32 s0, exec_lo
	ds_store_b32 v105, v14
	s_wait_dscnt 0x0
	s_barrier_signal -1
	s_barrier_wait -1
	v_cmpx_gt_u32_e32 12, v0
	s_cbranch_execz .LBB81_380
; %bb.371:
	v_cmp_ne_u32_e32 vcc_lo, 1, v34
	s_cbranch_vccnz .LBB81_373
; %bb.372:
	v_cmp_eq_u32_e32 vcc_lo, 1, v0
	ds_load_b32 v21, v105
	v_cndmask_b32_e32 v20, v2, v3, vcc_lo
	v_cmp_eq_u32_e32 vcc_lo, 2, v0
	s_delay_alu instid0(VALU_DEP_2) | instskip(SKIP_1) | instid1(VALU_DEP_2)
	v_cndmask_b32_e32 v20, v20, v4, vcc_lo
	v_cmp_eq_u32_e32 vcc_lo, 3, v0
	v_cndmask_b32_e32 v20, v20, v5, vcc_lo
	v_cmp_eq_u32_e32 vcc_lo, 4, v0
	s_delay_alu instid0(VALU_DEP_2) | instskip(SKIP_1) | instid1(VALU_DEP_2)
	v_cndmask_b32_e32 v20, v20, v6, vcc_lo
	v_cmp_eq_u32_e32 vcc_lo, 5, v0
	;; [unrolled: 5-line block ×8, first 2 shown]
	v_cndmask_b32_e32 v20, v20, v19, vcc_lo
	s_wait_dscnt 0x0
	s_delay_alu instid0(VALU_DEP_1)
	v_mul_f32_e32 v22, v20, v21
	s_cbranch_execz .LBB81_374
	s_branch .LBB81_375
.LBB81_373:
                                        ; implicit-def: $vgpr22
.LBB81_374:
	ds_load_b32 v22, v105
.LBB81_375:
	s_mov_b32 s1, exec_lo
	v_cmpx_ne_u32_e32 11, v0
	s_cbranch_execz .LBB81_379
; %bb.376:
	v_mov_b64_e32 v[20:21], v[0:1]
	v_lshl_add_u32 v23, v0, 2, 0x54
	s_mov_b32 s2, 0
.LBB81_377:                             ; =>This Inner Loop Header: Depth=1
	s_delay_alu instid0(VALU_DEP_2)
	v_add_nc_u64_e32 v[20:21], 1, v[20:21]
	ds_load_b32 v25, v23
	v_add_nc_u32_e32 v23, 4, v23
	v_cmp_eq_u32_e32 vcc_lo, 1, v20
	v_cndmask_b32_e32 v24, v2, v3, vcc_lo
	v_cmp_eq_u32_e32 vcc_lo, 2, v20
	s_delay_alu instid0(VALU_DEP_2) | instskip(SKIP_1) | instid1(VALU_DEP_2)
	v_cndmask_b32_e32 v24, v24, v4, vcc_lo
	v_cmp_eq_u32_e32 vcc_lo, 3, v20
	v_cndmask_b32_e32 v24, v24, v5, vcc_lo
	v_cmp_eq_u32_e32 vcc_lo, 4, v20
	s_delay_alu instid0(VALU_DEP_2) | instskip(SKIP_1) | instid1(VALU_DEP_2)
	v_cndmask_b32_e32 v24, v24, v6, vcc_lo
	;; [unrolled: 5-line block ×8, first 2 shown]
	v_cmp_eq_u32_e32 vcc_lo, 17, v20
	v_cndmask_b32_e32 v24, v24, v19, vcc_lo
	v_cmp_lt_u32_e32 vcc_lo, 10, v20
	s_wait_dscnt 0x0
	s_delay_alu instid0(VALU_DEP_2) | instskip(SKIP_1) | instid1(SALU_CYCLE_1)
	v_fmac_f32_e32 v22, v24, v25
	s_or_b32 s2, vcc_lo, s2
	s_and_not1_b32 exec_lo, exec_lo, s2
	s_cbranch_execnz .LBB81_377
; %bb.378:
	s_or_b32 exec_lo, exec_lo, s2
.LBB81_379:
	s_delay_alu instid0(SALU_CYCLE_1)
	s_or_b32 exec_lo, exec_lo, s1
	v_mov_b32_e32 v14, 0
	ds_load_b32 v14, v14 offset:48
	s_wait_dscnt 0x0
	v_mul_f32_e32 v14, v22, v14
.LBB81_380:
	s_or_b32 exec_lo, exec_lo, s0
	s_delay_alu instid0(SALU_CYCLE_1)
	s_mov_b32 s0, exec_lo
	ds_store_b32 v105, v15
	s_wait_dscnt 0x0
	s_barrier_signal -1
	s_barrier_wait -1
	v_cmpx_gt_u32_e32 13, v0
	s_cbranch_execz .LBB81_390
; %bb.381:
	v_cmp_ne_u32_e32 vcc_lo, 1, v34
	s_cbranch_vccnz .LBB81_383
; %bb.382:
	v_cmp_eq_u32_e32 vcc_lo, 1, v0
	ds_load_b32 v21, v105
	v_cndmask_b32_e32 v20, v2, v3, vcc_lo
	v_cmp_eq_u32_e32 vcc_lo, 2, v0
	s_delay_alu instid0(VALU_DEP_2) | instskip(SKIP_1) | instid1(VALU_DEP_2)
	v_cndmask_b32_e32 v20, v20, v4, vcc_lo
	v_cmp_eq_u32_e32 vcc_lo, 3, v0
	v_cndmask_b32_e32 v20, v20, v5, vcc_lo
	v_cmp_eq_u32_e32 vcc_lo, 4, v0
	s_delay_alu instid0(VALU_DEP_2) | instskip(SKIP_1) | instid1(VALU_DEP_2)
	v_cndmask_b32_e32 v20, v20, v6, vcc_lo
	v_cmp_eq_u32_e32 vcc_lo, 5, v0
	v_cndmask_b32_e32 v20, v20, v7, vcc_lo
	v_cmp_eq_u32_e32 vcc_lo, 6, v0
	s_delay_alu instid0(VALU_DEP_2) | instskip(SKIP_1) | instid1(VALU_DEP_2)
	v_cndmask_b32_e32 v20, v20, v8, vcc_lo
	v_cmp_eq_u32_e32 vcc_lo, 7, v0
	v_cndmask_b32_e32 v20, v20, v9, vcc_lo
	v_cmp_eq_u32_e32 vcc_lo, 8, v0
	s_delay_alu instid0(VALU_DEP_2) | instskip(SKIP_1) | instid1(VALU_DEP_2)
	v_cndmask_b32_e32 v20, v20, v10, vcc_lo
	v_cmp_eq_u32_e32 vcc_lo, 9, v0
	v_cndmask_b32_e32 v20, v20, v11, vcc_lo
	v_cmp_eq_u32_e32 vcc_lo, 10, v0
	s_delay_alu instid0(VALU_DEP_2) | instskip(SKIP_1) | instid1(VALU_DEP_2)
	v_cndmask_b32_e32 v20, v20, v12, vcc_lo
	v_cmp_eq_u32_e32 vcc_lo, 11, v0
	v_cndmask_b32_e32 v20, v20, v13, vcc_lo
	v_cmp_eq_u32_e32 vcc_lo, 12, v0
	s_delay_alu instid0(VALU_DEP_2) | instskip(SKIP_1) | instid1(VALU_DEP_2)
	v_cndmask_b32_e32 v20, v20, v14, vcc_lo
	v_cmp_eq_u32_e32 vcc_lo, 13, v0
	v_cndmask_b32_e32 v20, v20, v15, vcc_lo
	v_cmp_eq_u32_e32 vcc_lo, 14, v0
	s_delay_alu instid0(VALU_DEP_2) | instskip(SKIP_1) | instid1(VALU_DEP_2)
	v_cndmask_b32_e32 v20, v20, v16, vcc_lo
	v_cmp_eq_u32_e32 vcc_lo, 15, v0
	v_cndmask_b32_e32 v20, v20, v17, vcc_lo
	v_cmp_eq_u32_e32 vcc_lo, 16, v0
	s_delay_alu instid0(VALU_DEP_2) | instskip(SKIP_1) | instid1(VALU_DEP_2)
	v_cndmask_b32_e32 v20, v20, v18, vcc_lo
	v_cmp_eq_u32_e32 vcc_lo, 17, v0
	v_cndmask_b32_e32 v20, v20, v19, vcc_lo
	s_wait_dscnt 0x0
	s_delay_alu instid0(VALU_DEP_1)
	v_mul_f32_e32 v22, v20, v21
	s_cbranch_execz .LBB81_384
	s_branch .LBB81_385
.LBB81_383:
                                        ; implicit-def: $vgpr22
.LBB81_384:
	ds_load_b32 v22, v105
.LBB81_385:
	s_mov_b32 s1, exec_lo
	v_cmpx_ne_u32_e32 12, v0
	s_cbranch_execz .LBB81_389
; %bb.386:
	v_mov_b64_e32 v[20:21], v[0:1]
	v_lshl_add_u32 v23, v0, 2, 0x54
	s_mov_b32 s2, 0
.LBB81_387:                             ; =>This Inner Loop Header: Depth=1
	s_delay_alu instid0(VALU_DEP_2)
	v_add_nc_u64_e32 v[20:21], 1, v[20:21]
	ds_load_b32 v25, v23
	v_add_nc_u32_e32 v23, 4, v23
	v_cmp_eq_u32_e32 vcc_lo, 1, v20
	v_cndmask_b32_e32 v24, v2, v3, vcc_lo
	v_cmp_eq_u32_e32 vcc_lo, 2, v20
	s_delay_alu instid0(VALU_DEP_2) | instskip(SKIP_1) | instid1(VALU_DEP_2)
	v_cndmask_b32_e32 v24, v24, v4, vcc_lo
	v_cmp_eq_u32_e32 vcc_lo, 3, v20
	v_cndmask_b32_e32 v24, v24, v5, vcc_lo
	v_cmp_eq_u32_e32 vcc_lo, 4, v20
	s_delay_alu instid0(VALU_DEP_2) | instskip(SKIP_1) | instid1(VALU_DEP_2)
	v_cndmask_b32_e32 v24, v24, v6, vcc_lo
	;; [unrolled: 5-line block ×8, first 2 shown]
	v_cmp_eq_u32_e32 vcc_lo, 17, v20
	v_cndmask_b32_e32 v24, v24, v19, vcc_lo
	v_cmp_lt_u32_e32 vcc_lo, 11, v20
	s_wait_dscnt 0x0
	s_delay_alu instid0(VALU_DEP_2) | instskip(SKIP_1) | instid1(SALU_CYCLE_1)
	v_fmac_f32_e32 v22, v24, v25
	s_or_b32 s2, vcc_lo, s2
	s_and_not1_b32 exec_lo, exec_lo, s2
	s_cbranch_execnz .LBB81_387
; %bb.388:
	s_or_b32 exec_lo, exec_lo, s2
.LBB81_389:
	s_delay_alu instid0(SALU_CYCLE_1)
	s_or_b32 exec_lo, exec_lo, s1
	v_mov_b32_e32 v15, 0
	ds_load_b32 v15, v15 offset:52
	s_wait_dscnt 0x0
	v_mul_f32_e32 v15, v22, v15
.LBB81_390:
	s_or_b32 exec_lo, exec_lo, s0
	s_delay_alu instid0(SALU_CYCLE_1)
	s_mov_b32 s0, exec_lo
	ds_store_b32 v105, v16
	s_wait_dscnt 0x0
	s_barrier_signal -1
	s_barrier_wait -1
	v_cmpx_gt_u32_e32 14, v0
	s_cbranch_execz .LBB81_400
; %bb.391:
	v_cmp_ne_u32_e32 vcc_lo, 1, v34
	s_cbranch_vccnz .LBB81_393
; %bb.392:
	v_cmp_eq_u32_e32 vcc_lo, 1, v0
	ds_load_b32 v21, v105
	v_cndmask_b32_e32 v20, v2, v3, vcc_lo
	v_cmp_eq_u32_e32 vcc_lo, 2, v0
	s_delay_alu instid0(VALU_DEP_2) | instskip(SKIP_1) | instid1(VALU_DEP_2)
	v_cndmask_b32_e32 v20, v20, v4, vcc_lo
	v_cmp_eq_u32_e32 vcc_lo, 3, v0
	v_cndmask_b32_e32 v20, v20, v5, vcc_lo
	v_cmp_eq_u32_e32 vcc_lo, 4, v0
	s_delay_alu instid0(VALU_DEP_2) | instskip(SKIP_1) | instid1(VALU_DEP_2)
	v_cndmask_b32_e32 v20, v20, v6, vcc_lo
	v_cmp_eq_u32_e32 vcc_lo, 5, v0
	v_cndmask_b32_e32 v20, v20, v7, vcc_lo
	v_cmp_eq_u32_e32 vcc_lo, 6, v0
	s_delay_alu instid0(VALU_DEP_2) | instskip(SKIP_1) | instid1(VALU_DEP_2)
	v_cndmask_b32_e32 v20, v20, v8, vcc_lo
	v_cmp_eq_u32_e32 vcc_lo, 7, v0
	v_cndmask_b32_e32 v20, v20, v9, vcc_lo
	v_cmp_eq_u32_e32 vcc_lo, 8, v0
	s_delay_alu instid0(VALU_DEP_2) | instskip(SKIP_1) | instid1(VALU_DEP_2)
	v_cndmask_b32_e32 v20, v20, v10, vcc_lo
	v_cmp_eq_u32_e32 vcc_lo, 9, v0
	v_cndmask_b32_e32 v20, v20, v11, vcc_lo
	v_cmp_eq_u32_e32 vcc_lo, 10, v0
	s_delay_alu instid0(VALU_DEP_2) | instskip(SKIP_1) | instid1(VALU_DEP_2)
	v_cndmask_b32_e32 v20, v20, v12, vcc_lo
	v_cmp_eq_u32_e32 vcc_lo, 11, v0
	v_cndmask_b32_e32 v20, v20, v13, vcc_lo
	v_cmp_eq_u32_e32 vcc_lo, 12, v0
	s_delay_alu instid0(VALU_DEP_2) | instskip(SKIP_1) | instid1(VALU_DEP_2)
	v_cndmask_b32_e32 v20, v20, v14, vcc_lo
	v_cmp_eq_u32_e32 vcc_lo, 13, v0
	v_cndmask_b32_e32 v20, v20, v15, vcc_lo
	v_cmp_eq_u32_e32 vcc_lo, 14, v0
	s_delay_alu instid0(VALU_DEP_2) | instskip(SKIP_1) | instid1(VALU_DEP_2)
	v_cndmask_b32_e32 v20, v20, v16, vcc_lo
	v_cmp_eq_u32_e32 vcc_lo, 15, v0
	v_cndmask_b32_e32 v20, v20, v17, vcc_lo
	v_cmp_eq_u32_e32 vcc_lo, 16, v0
	s_delay_alu instid0(VALU_DEP_2) | instskip(SKIP_1) | instid1(VALU_DEP_2)
	v_cndmask_b32_e32 v20, v20, v18, vcc_lo
	v_cmp_eq_u32_e32 vcc_lo, 17, v0
	v_cndmask_b32_e32 v20, v20, v19, vcc_lo
	s_wait_dscnt 0x0
	s_delay_alu instid0(VALU_DEP_1)
	v_mul_f32_e32 v22, v20, v21
	s_cbranch_execz .LBB81_394
	s_branch .LBB81_395
.LBB81_393:
                                        ; implicit-def: $vgpr22
.LBB81_394:
	ds_load_b32 v22, v105
.LBB81_395:
	s_mov_b32 s1, exec_lo
	v_cmpx_ne_u32_e32 13, v0
	s_cbranch_execz .LBB81_399
; %bb.396:
	v_mov_b64_e32 v[20:21], v[0:1]
	v_lshl_add_u32 v23, v0, 2, 0x54
	s_mov_b32 s2, 0
.LBB81_397:                             ; =>This Inner Loop Header: Depth=1
	s_delay_alu instid0(VALU_DEP_2)
	v_add_nc_u64_e32 v[20:21], 1, v[20:21]
	ds_load_b32 v25, v23
	v_add_nc_u32_e32 v23, 4, v23
	v_cmp_eq_u32_e32 vcc_lo, 1, v20
	v_cndmask_b32_e32 v24, v2, v3, vcc_lo
	v_cmp_eq_u32_e32 vcc_lo, 2, v20
	s_delay_alu instid0(VALU_DEP_2) | instskip(SKIP_1) | instid1(VALU_DEP_2)
	v_cndmask_b32_e32 v24, v24, v4, vcc_lo
	v_cmp_eq_u32_e32 vcc_lo, 3, v20
	v_cndmask_b32_e32 v24, v24, v5, vcc_lo
	v_cmp_eq_u32_e32 vcc_lo, 4, v20
	s_delay_alu instid0(VALU_DEP_2) | instskip(SKIP_1) | instid1(VALU_DEP_2)
	v_cndmask_b32_e32 v24, v24, v6, vcc_lo
	;; [unrolled: 5-line block ×8, first 2 shown]
	v_cmp_eq_u32_e32 vcc_lo, 17, v20
	v_cndmask_b32_e32 v24, v24, v19, vcc_lo
	v_cmp_lt_u32_e32 vcc_lo, 12, v20
	s_wait_dscnt 0x0
	s_delay_alu instid0(VALU_DEP_2) | instskip(SKIP_1) | instid1(SALU_CYCLE_1)
	v_fmac_f32_e32 v22, v24, v25
	s_or_b32 s2, vcc_lo, s2
	s_and_not1_b32 exec_lo, exec_lo, s2
	s_cbranch_execnz .LBB81_397
; %bb.398:
	s_or_b32 exec_lo, exec_lo, s2
.LBB81_399:
	s_delay_alu instid0(SALU_CYCLE_1)
	s_or_b32 exec_lo, exec_lo, s1
	v_mov_b32_e32 v16, 0
	ds_load_b32 v16, v16 offset:56
	s_wait_dscnt 0x0
	v_mul_f32_e32 v16, v22, v16
.LBB81_400:
	s_or_b32 exec_lo, exec_lo, s0
	s_delay_alu instid0(SALU_CYCLE_1)
	s_mov_b32 s0, exec_lo
	ds_store_b32 v105, v17
	s_wait_dscnt 0x0
	s_barrier_signal -1
	s_barrier_wait -1
	v_cmpx_gt_u32_e32 15, v0
	s_cbranch_execz .LBB81_410
; %bb.401:
	v_cmp_ne_u32_e32 vcc_lo, 1, v34
	s_cbranch_vccnz .LBB81_403
; %bb.402:
	v_cmp_eq_u32_e32 vcc_lo, 1, v0
	ds_load_b32 v21, v105
	v_cndmask_b32_e32 v20, v2, v3, vcc_lo
	v_cmp_eq_u32_e32 vcc_lo, 2, v0
	s_delay_alu instid0(VALU_DEP_2) | instskip(SKIP_1) | instid1(VALU_DEP_2)
	v_cndmask_b32_e32 v20, v20, v4, vcc_lo
	v_cmp_eq_u32_e32 vcc_lo, 3, v0
	v_cndmask_b32_e32 v20, v20, v5, vcc_lo
	v_cmp_eq_u32_e32 vcc_lo, 4, v0
	s_delay_alu instid0(VALU_DEP_2) | instskip(SKIP_1) | instid1(VALU_DEP_2)
	v_cndmask_b32_e32 v20, v20, v6, vcc_lo
	v_cmp_eq_u32_e32 vcc_lo, 5, v0
	;; [unrolled: 5-line block ×8, first 2 shown]
	v_cndmask_b32_e32 v20, v20, v19, vcc_lo
	s_wait_dscnt 0x0
	s_delay_alu instid0(VALU_DEP_1)
	v_mul_f32_e32 v22, v20, v21
	s_cbranch_execz .LBB81_404
	s_branch .LBB81_405
.LBB81_403:
                                        ; implicit-def: $vgpr22
.LBB81_404:
	ds_load_b32 v22, v105
.LBB81_405:
	s_mov_b32 s1, exec_lo
	v_cmpx_ne_u32_e32 14, v0
	s_cbranch_execz .LBB81_409
; %bb.406:
	v_mov_b64_e32 v[20:21], v[0:1]
	v_lshl_add_u32 v23, v0, 2, 0x54
	s_mov_b32 s2, 0
.LBB81_407:                             ; =>This Inner Loop Header: Depth=1
	s_delay_alu instid0(VALU_DEP_2)
	v_add_nc_u64_e32 v[20:21], 1, v[20:21]
	ds_load_b32 v25, v23
	v_add_nc_u32_e32 v23, 4, v23
	v_cmp_eq_u32_e32 vcc_lo, 1, v20
	v_cndmask_b32_e32 v24, v2, v3, vcc_lo
	v_cmp_eq_u32_e32 vcc_lo, 2, v20
	s_delay_alu instid0(VALU_DEP_2) | instskip(SKIP_1) | instid1(VALU_DEP_2)
	v_cndmask_b32_e32 v24, v24, v4, vcc_lo
	v_cmp_eq_u32_e32 vcc_lo, 3, v20
	v_cndmask_b32_e32 v24, v24, v5, vcc_lo
	v_cmp_eq_u32_e32 vcc_lo, 4, v20
	s_delay_alu instid0(VALU_DEP_2) | instskip(SKIP_1) | instid1(VALU_DEP_2)
	v_cndmask_b32_e32 v24, v24, v6, vcc_lo
	;; [unrolled: 5-line block ×8, first 2 shown]
	v_cmp_eq_u32_e32 vcc_lo, 17, v20
	v_cndmask_b32_e32 v24, v24, v19, vcc_lo
	v_cmp_lt_u32_e32 vcc_lo, 13, v20
	s_wait_dscnt 0x0
	s_delay_alu instid0(VALU_DEP_2) | instskip(SKIP_1) | instid1(SALU_CYCLE_1)
	v_fmac_f32_e32 v22, v24, v25
	s_or_b32 s2, vcc_lo, s2
	s_and_not1_b32 exec_lo, exec_lo, s2
	s_cbranch_execnz .LBB81_407
; %bb.408:
	s_or_b32 exec_lo, exec_lo, s2
.LBB81_409:
	s_delay_alu instid0(SALU_CYCLE_1)
	s_or_b32 exec_lo, exec_lo, s1
	v_mov_b32_e32 v17, 0
	ds_load_b32 v17, v17 offset:60
	s_wait_dscnt 0x0
	v_mul_f32_e32 v17, v22, v17
.LBB81_410:
	s_or_b32 exec_lo, exec_lo, s0
	v_cmp_gt_u32_e64 s0, 16, v0
	ds_store_b32 v105, v18
	s_wait_dscnt 0x0
	s_barrier_signal -1
	s_barrier_wait -1
	s_and_saveexec_b32 s1, s0
	s_cbranch_execz .LBB81_420
; %bb.411:
	v_cmp_ne_u32_e32 vcc_lo, 1, v34
	s_cbranch_vccnz .LBB81_413
; %bb.412:
	v_cmp_eq_u32_e32 vcc_lo, 1, v0
	ds_load_b32 v21, v105
	v_cndmask_b32_e32 v20, v2, v3, vcc_lo
	v_cmp_eq_u32_e32 vcc_lo, 2, v0
	s_delay_alu instid0(VALU_DEP_2) | instskip(SKIP_1) | instid1(VALU_DEP_2)
	v_cndmask_b32_e32 v20, v20, v4, vcc_lo
	v_cmp_eq_u32_e32 vcc_lo, 3, v0
	v_cndmask_b32_e32 v20, v20, v5, vcc_lo
	v_cmp_eq_u32_e32 vcc_lo, 4, v0
	s_delay_alu instid0(VALU_DEP_2) | instskip(SKIP_1) | instid1(VALU_DEP_2)
	v_cndmask_b32_e32 v20, v20, v6, vcc_lo
	v_cmp_eq_u32_e32 vcc_lo, 5, v0
	;; [unrolled: 5-line block ×8, first 2 shown]
	v_cndmask_b32_e32 v20, v20, v19, vcc_lo
	s_wait_dscnt 0x0
	s_delay_alu instid0(VALU_DEP_1)
	v_mul_f32_e32 v22, v20, v21
	s_cbranch_execz .LBB81_414
	s_branch .LBB81_415
.LBB81_413:
                                        ; implicit-def: $vgpr22
.LBB81_414:
	ds_load_b32 v22, v105
.LBB81_415:
	s_mov_b32 s2, exec_lo
	v_cmpx_ne_u32_e32 15, v0
	s_cbranch_execz .LBB81_419
; %bb.416:
	v_mov_b64_e32 v[20:21], v[0:1]
	v_lshl_add_u32 v23, v0, 2, 0x54
	s_mov_b32 s3, 0
.LBB81_417:                             ; =>This Inner Loop Header: Depth=1
	s_delay_alu instid0(VALU_DEP_2)
	v_add_nc_u64_e32 v[20:21], 1, v[20:21]
	ds_load_b32 v25, v23
	v_add_nc_u32_e32 v23, 4, v23
	v_cmp_eq_u32_e32 vcc_lo, 1, v20
	v_cndmask_b32_e32 v24, v2, v3, vcc_lo
	v_cmp_eq_u32_e32 vcc_lo, 2, v20
	s_delay_alu instid0(VALU_DEP_2) | instskip(SKIP_1) | instid1(VALU_DEP_2)
	v_cndmask_b32_e32 v24, v24, v4, vcc_lo
	v_cmp_eq_u32_e32 vcc_lo, 3, v20
	v_cndmask_b32_e32 v24, v24, v5, vcc_lo
	v_cmp_eq_u32_e32 vcc_lo, 4, v20
	s_delay_alu instid0(VALU_DEP_2) | instskip(SKIP_1) | instid1(VALU_DEP_2)
	v_cndmask_b32_e32 v24, v24, v6, vcc_lo
	;; [unrolled: 5-line block ×8, first 2 shown]
	v_cmp_eq_u32_e32 vcc_lo, 17, v20
	v_cndmask_b32_e32 v24, v24, v19, vcc_lo
	v_cmp_lt_u32_e32 vcc_lo, 14, v20
	s_wait_dscnt 0x0
	s_delay_alu instid0(VALU_DEP_2) | instskip(SKIP_1) | instid1(SALU_CYCLE_1)
	v_fmac_f32_e32 v22, v24, v25
	s_or_b32 s3, vcc_lo, s3
	s_and_not1_b32 exec_lo, exec_lo, s3
	s_cbranch_execnz .LBB81_417
; %bb.418:
	s_or_b32 exec_lo, exec_lo, s3
.LBB81_419:
	s_delay_alu instid0(SALU_CYCLE_1)
	s_or_b32 exec_lo, exec_lo, s2
	v_mov_b32_e32 v18, 0
	ds_load_b32 v18, v18 offset:64
	s_wait_dscnt 0x0
	v_mul_f32_e32 v18, v22, v18
.LBB81_420:
	s_or_b32 exec_lo, exec_lo, s1
	s_delay_alu instid0(SALU_CYCLE_1)
	s_mov_b32 s1, exec_lo
	ds_store_b32 v105, v19
	s_wait_dscnt 0x0
	s_barrier_signal -1
	s_barrier_wait -1
	v_cmpx_ne_u32_e32 17, v0
	s_cbranch_execz .LBB81_430
; %bb.421:
	v_cmp_ne_u32_e32 vcc_lo, 1, v34
	s_cbranch_vccnz .LBB81_423
; %bb.422:
	v_cmp_eq_u32_e32 vcc_lo, 1, v0
	ds_load_b32 v21, v105
	v_cndmask_b32_e32 v20, v2, v3, vcc_lo
	v_cmp_eq_u32_e32 vcc_lo, 2, v0
	s_delay_alu instid0(VALU_DEP_2) | instskip(SKIP_1) | instid1(VALU_DEP_2)
	v_cndmask_b32_e32 v20, v20, v4, vcc_lo
	v_cmp_eq_u32_e32 vcc_lo, 3, v0
	v_cndmask_b32_e32 v20, v20, v5, vcc_lo
	v_cmp_eq_u32_e32 vcc_lo, 4, v0
	s_delay_alu instid0(VALU_DEP_2) | instskip(SKIP_1) | instid1(VALU_DEP_2)
	v_cndmask_b32_e32 v20, v20, v6, vcc_lo
	v_cmp_eq_u32_e32 vcc_lo, 5, v0
	;; [unrolled: 5-line block ×8, first 2 shown]
	v_cndmask_b32_e32 v20, v20, v19, vcc_lo
	s_wait_dscnt 0x0
	s_delay_alu instid0(VALU_DEP_1)
	v_mul_f32_e32 v20, v20, v21
	s_cbranch_execz .LBB81_424
	s_branch .LBB81_425
.LBB81_423:
                                        ; implicit-def: $vgpr20
.LBB81_424:
	ds_load_b32 v20, v105
.LBB81_425:
	s_and_saveexec_b32 s2, s0
	s_cbranch_execz .LBB81_429
; %bb.426:
	v_lshl_add_u32 v21, v0, 2, 0x54
	s_mov_b32 s0, 0
.LBB81_427:                             ; =>This Inner Loop Header: Depth=1
	v_add_nc_u64_e32 v[0:1], 1, v[0:1]
	ds_load_b32 v23, v21
	v_add_nc_u32_e32 v21, 4, v21
	v_cmp_eq_u32_e32 vcc_lo, 1, v0
	v_cndmask_b32_e32 v22, v2, v3, vcc_lo
	v_cmp_eq_u32_e32 vcc_lo, 2, v0
	s_delay_alu instid0(VALU_DEP_2) | instskip(SKIP_1) | instid1(VALU_DEP_2)
	v_cndmask_b32_e32 v22, v22, v4, vcc_lo
	v_cmp_eq_u32_e32 vcc_lo, 3, v0
	v_cndmask_b32_e32 v22, v22, v5, vcc_lo
	v_cmp_eq_u32_e32 vcc_lo, 4, v0
	s_delay_alu instid0(VALU_DEP_2) | instskip(SKIP_1) | instid1(VALU_DEP_2)
	v_cndmask_b32_e32 v22, v22, v6, vcc_lo
	;; [unrolled: 5-line block ×8, first 2 shown]
	v_cmp_eq_u32_e32 vcc_lo, 17, v0
	v_cndmask_b32_e32 v22, v22, v19, vcc_lo
	v_cmp_lt_u32_e32 vcc_lo, 15, v0
	s_wait_dscnt 0x0
	s_delay_alu instid0(VALU_DEP_2) | instskip(SKIP_1) | instid1(SALU_CYCLE_1)
	v_fmac_f32_e32 v20, v22, v23
	s_or_b32 s0, vcc_lo, s0
	s_and_not1_b32 exec_lo, exec_lo, s0
	s_cbranch_execnz .LBB81_427
; %bb.428:
	s_or_b32 exec_lo, exec_lo, s0
.LBB81_429:
	s_delay_alu instid0(SALU_CYCLE_1)
	s_or_b32 exec_lo, exec_lo, s2
	v_mov_b32_e32 v0, 0
	ds_load_b32 v0, v0 offset:68
	s_wait_dscnt 0x0
	v_mul_f32_e32 v19, v20, v0
.LBB81_430:
	s_or_b32 exec_lo, exec_lo, s1
	v_mov_b64_e32 v[64:65], v[32:33]
	s_delay_alu instid0(VALU_DEP_2)
	v_mov_b64_e32 v[50:51], v[18:19]
	v_mov_b64_e32 v[48:49], v[16:17]
	;; [unrolled: 1-line block ×15, first 2 shown]
.LBB81_431:
	s_wait_xcnt 0x1
	v_lshl_add_u64 v[0:1], v[66:67], 2, s[18:19]
	s_wait_loadcnt_dscnt 0x102
	v_lshl_add_u64 v[2:3], v[68:69], 2, s[18:19]
	v_lshl_add_u64 v[4:5], v[70:71], 2, s[18:19]
	;; [unrolled: 1-line block ×8, first 2 shown]
	s_wait_loadcnt_dscnt 0x1
	v_lshl_add_u64 v[18:19], v[84:85], 2, s[18:19]
	v_lshl_add_u64 v[20:21], v[88:89], 2, s[18:19]
	;; [unrolled: 1-line block ×7, first 2 shown]
	s_clause 0x11
	flat_store_b32 v[86:87], v34
	flat_store_b32 v[92:93], v35
	;; [unrolled: 1-line block ×18, first 2 shown]
.LBB81_432:
	s_sendmsg sendmsg(MSG_DEALLOC_VGPRS)
	s_endpgm
	.section	.rodata,"a",@progbits
	.p2align	6, 0x0
	.amdhsa_kernel _ZN9rocsolver6v33100L18trti2_kernel_smallILi18EfPKPfEEv13rocblas_fill_17rocblas_diagonal_T1_iil
		.amdhsa_group_segment_fixed_size 152
		.amdhsa_private_segment_fixed_size 0
		.amdhsa_kernarg_size 32
		.amdhsa_user_sgpr_count 2
		.amdhsa_user_sgpr_dispatch_ptr 0
		.amdhsa_user_sgpr_queue_ptr 0
		.amdhsa_user_sgpr_kernarg_segment_ptr 1
		.amdhsa_user_sgpr_dispatch_id 0
		.amdhsa_user_sgpr_kernarg_preload_length 0
		.amdhsa_user_sgpr_kernarg_preload_offset 0
		.amdhsa_user_sgpr_private_segment_size 0
		.amdhsa_wavefront_size32 1
		.amdhsa_uses_dynamic_stack 0
		.amdhsa_enable_private_segment 0
		.amdhsa_system_sgpr_workgroup_id_x 1
		.amdhsa_system_sgpr_workgroup_id_y 0
		.amdhsa_system_sgpr_workgroup_id_z 0
		.amdhsa_system_sgpr_workgroup_info 0
		.amdhsa_system_vgpr_workitem_id 0
		.amdhsa_next_free_vgpr 117
		.amdhsa_next_free_sgpr 24
		.amdhsa_named_barrier_count 0
		.amdhsa_reserve_vcc 1
		.amdhsa_float_round_mode_32 0
		.amdhsa_float_round_mode_16_64 0
		.amdhsa_float_denorm_mode_32 3
		.amdhsa_float_denorm_mode_16_64 3
		.amdhsa_fp16_overflow 0
		.amdhsa_memory_ordered 1
		.amdhsa_forward_progress 1
		.amdhsa_inst_pref_size 190
		.amdhsa_round_robin_scheduling 0
		.amdhsa_exception_fp_ieee_invalid_op 0
		.amdhsa_exception_fp_denorm_src 0
		.amdhsa_exception_fp_ieee_div_zero 0
		.amdhsa_exception_fp_ieee_overflow 0
		.amdhsa_exception_fp_ieee_underflow 0
		.amdhsa_exception_fp_ieee_inexact 0
		.amdhsa_exception_int_div_zero 0
	.end_amdhsa_kernel
	.section	.text._ZN9rocsolver6v33100L18trti2_kernel_smallILi18EfPKPfEEv13rocblas_fill_17rocblas_diagonal_T1_iil,"axG",@progbits,_ZN9rocsolver6v33100L18trti2_kernel_smallILi18EfPKPfEEv13rocblas_fill_17rocblas_diagonal_T1_iil,comdat
.Lfunc_end81:
	.size	_ZN9rocsolver6v33100L18trti2_kernel_smallILi18EfPKPfEEv13rocblas_fill_17rocblas_diagonal_T1_iil, .Lfunc_end81-_ZN9rocsolver6v33100L18trti2_kernel_smallILi18EfPKPfEEv13rocblas_fill_17rocblas_diagonal_T1_iil
                                        ; -- End function
	.set _ZN9rocsolver6v33100L18trti2_kernel_smallILi18EfPKPfEEv13rocblas_fill_17rocblas_diagonal_T1_iil.num_vgpr, 117
	.set _ZN9rocsolver6v33100L18trti2_kernel_smallILi18EfPKPfEEv13rocblas_fill_17rocblas_diagonal_T1_iil.num_agpr, 0
	.set _ZN9rocsolver6v33100L18trti2_kernel_smallILi18EfPKPfEEv13rocblas_fill_17rocblas_diagonal_T1_iil.numbered_sgpr, 24
	.set _ZN9rocsolver6v33100L18trti2_kernel_smallILi18EfPKPfEEv13rocblas_fill_17rocblas_diagonal_T1_iil.num_named_barrier, 0
	.set _ZN9rocsolver6v33100L18trti2_kernel_smallILi18EfPKPfEEv13rocblas_fill_17rocblas_diagonal_T1_iil.private_seg_size, 0
	.set _ZN9rocsolver6v33100L18trti2_kernel_smallILi18EfPKPfEEv13rocblas_fill_17rocblas_diagonal_T1_iil.uses_vcc, 1
	.set _ZN9rocsolver6v33100L18trti2_kernel_smallILi18EfPKPfEEv13rocblas_fill_17rocblas_diagonal_T1_iil.uses_flat_scratch, 1
	.set _ZN9rocsolver6v33100L18trti2_kernel_smallILi18EfPKPfEEv13rocblas_fill_17rocblas_diagonal_T1_iil.has_dyn_sized_stack, 0
	.set _ZN9rocsolver6v33100L18trti2_kernel_smallILi18EfPKPfEEv13rocblas_fill_17rocblas_diagonal_T1_iil.has_recursion, 0
	.set _ZN9rocsolver6v33100L18trti2_kernel_smallILi18EfPKPfEEv13rocblas_fill_17rocblas_diagonal_T1_iil.has_indirect_call, 0
	.section	.AMDGPU.csdata,"",@progbits
; Kernel info:
; codeLenInByte = 24308
; TotalNumSgprs: 26
; NumVgprs: 117
; ScratchSize: 0
; MemoryBound: 0
; FloatMode: 240
; IeeeMode: 1
; LDSByteSize: 152 bytes/workgroup (compile time only)
; SGPRBlocks: 0
; VGPRBlocks: 7
; NumSGPRsForWavesPerEU: 26
; NumVGPRsForWavesPerEU: 117
; NamedBarCnt: 0
; Occupancy: 8
; WaveLimiterHint : 1
; COMPUTE_PGM_RSRC2:SCRATCH_EN: 0
; COMPUTE_PGM_RSRC2:USER_SGPR: 2
; COMPUTE_PGM_RSRC2:TRAP_HANDLER: 0
; COMPUTE_PGM_RSRC2:TGID_X_EN: 1
; COMPUTE_PGM_RSRC2:TGID_Y_EN: 0
; COMPUTE_PGM_RSRC2:TGID_Z_EN: 0
; COMPUTE_PGM_RSRC2:TIDIG_COMP_CNT: 0
	.section	.text._ZN9rocsolver6v33100L18trti2_kernel_smallILi19EfPKPfEEv13rocblas_fill_17rocblas_diagonal_T1_iil,"axG",@progbits,_ZN9rocsolver6v33100L18trti2_kernel_smallILi19EfPKPfEEv13rocblas_fill_17rocblas_diagonal_T1_iil,comdat
	.globl	_ZN9rocsolver6v33100L18trti2_kernel_smallILi19EfPKPfEEv13rocblas_fill_17rocblas_diagonal_T1_iil ; -- Begin function _ZN9rocsolver6v33100L18trti2_kernel_smallILi19EfPKPfEEv13rocblas_fill_17rocblas_diagonal_T1_iil
	.p2align	8
	.type	_ZN9rocsolver6v33100L18trti2_kernel_smallILi19EfPKPfEEv13rocblas_fill_17rocblas_diagonal_T1_iil,@function
_ZN9rocsolver6v33100L18trti2_kernel_smallILi19EfPKPfEEv13rocblas_fill_17rocblas_diagonal_T1_iil: ; @_ZN9rocsolver6v33100L18trti2_kernel_smallILi19EfPKPfEEv13rocblas_fill_17rocblas_diagonal_T1_iil
; %bb.0:
	s_mov_b32 s2, exec_lo
	v_cmpx_gt_u32_e32 19, v0
	s_cbranch_execz .LBB82_458
; %bb.1:
	s_clause 0x1
	s_load_b64 s[2:3], s[0:1], 0x10
	s_load_b128 s[20:23], s[0:1], 0x0
	s_wait_xcnt 0x0
	s_bfe_u32 s0, ttmp6, 0x4000c
	s_and_b32 s1, ttmp6, 15
	s_add_co_i32 s0, s0, 1
	s_getreg_b32 s4, hwreg(HW_REG_IB_STS2, 6, 4)
	s_mul_i32 s0, ttmp9, s0
	v_mov_b32_e32 v1, 0
	s_add_co_i32 s0, s1, s0
	s_delay_alu instid0(VALU_DEP_1)
	v_dual_mov_b32 v35, v1 :: v_dual_lshlrev_b32 v34, 2, v0
	s_wait_kmcnt 0x0
	v_add3_u32 v66, s3, s3, v0
	s_ashr_i32 s1, s2, 31
	s_cmp_eq_u32 s4, 0
	s_cselect_b32 s4, ttmp9, s0
	s_delay_alu instid0(VALU_DEP_1)
	v_add_nc_u32_e32 v68, s3, v66
	s_ashr_i32 s5, s4, 31
	s_mov_b32 s0, s2
	s_lshl_b64 s[4:5], s[4:5], 3
	s_lshl_b64 s[0:1], s[0:1], 2
	v_add_nc_u32_e32 v70, s3, v68
	s_add_nc_u64 s[4:5], s[22:23], s[4:5]
	s_load_b64 s[4:5], s[4:5], 0x0
	s_delay_alu instid0(VALU_DEP_1) | instskip(NEXT) | instid1(VALU_DEP_1)
	v_add_nc_u32_e32 v72, s3, v70
	v_add_nc_u32_e32 v74, s3, v72
	s_delay_alu instid0(VALU_DEP_1) | instskip(NEXT) | instid1(VALU_DEP_1)
	v_add_nc_u32_e32 v76, s3, v74
	v_add_nc_u32_e32 v78, s3, v76
	s_wait_kmcnt 0x0
	s_add_nc_u64 s[22:23], s[4:5], s[0:1]
	s_mov_b32 s0, s3
	s_delay_alu instid0(VALU_DEP_1)
	v_add_nc_u32_e32 v80, s3, v78
	s_ashr_i32 s1, s3, 31
	s_cmp_lg_u32 s21, 0x84
	v_add_nc_u64_e32 v[88:89], s[22:23], v[34:35]
	s_cselect_b32 s19, -1, 0
	v_add_nc_u32_e32 v82, s3, v80
	s_cmp_eq_u32 s21, 0x84
	s_delay_alu instid0(VALU_DEP_1) | instskip(NEXT) | instid1(VALU_DEP_3)
	v_dual_mov_b32 v35, -1.0 :: v_dual_add_nc_u32 v84, s3, v82
	v_lshl_add_u64 v[94:95], s[0:1], 2, v[88:89]
	s_clause 0x7
	flat_load_b32 v3, v[94:95]
	flat_load_b32 v4, v66, s[22:23] scale_offset
	flat_load_b32 v5, v68, s[22:23] scale_offset
	;; [unrolled: 1-line block ×7, first 2 shown]
	v_add_nc_u32_e32 v86, s3, v84
	v_cmp_eq_u32_e64 s0, 0, v0
	s_delay_alu instid0(VALU_DEP_2) | instskip(NEXT) | instid1(VALU_DEP_1)
	v_add_nc_u32_e32 v90, s3, v86
	v_add_nc_u32_e32 v92, s3, v90
	s_delay_alu instid0(VALU_DEP_1) | instskip(NEXT) | instid1(VALU_DEP_1)
	v_add_nc_u32_e32 v96, s3, v92
	v_add_nc_u32_e32 v98, s3, v96
	s_delay_alu instid0(VALU_DEP_1) | instskip(NEXT) | instid1(VALU_DEP_1)
	v_add_nc_u32_e32 v100, s3, v98
	v_add_nc_u32_e32 v102, s3, v100
	s_clause 0xa
	flat_load_b32 v11, v80, s[22:23] scale_offset
	flat_load_b32 v12, v82, s[22:23] scale_offset
	;; [unrolled: 1-line block ×11, first 2 shown]
	s_cbranch_scc1 .LBB82_3
; %bb.2:
	v_cmp_eq_u32_e64 s1, 1, v0
	v_cmp_eq_u32_e64 s2, 2, v0
	;; [unrolled: 1-line block ×5, first 2 shown]
	s_wait_loadcnt_dscnt 0x202
	v_cndmask_b32_e64 v21, v2, v3, s1
	v_cmp_eq_u32_e64 s6, 6, v0
	v_cmp_eq_u32_e64 s7, 7, v0
	v_cmp_eq_u32_e64 s8, 8, v0
	v_cmp_eq_u32_e64 s9, 9, v0
	v_cndmask_b32_e64 v21, v21, v4, s2
	v_cmp_eq_u32_e64 s10, 10, v0
	v_cmp_eq_u32_e64 s11, 11, v0
	v_cmp_eq_u32_e64 s12, 12, v0
	v_cmp_eq_u32_e64 s13, 13, v0
	;; [unrolled: 5-line block ×3, first 2 shown]
	v_cndmask_b32_e64 v21, v21, v6, s4
	v_cmp_eq_u32_e64 s18, 18, v0
	s_delay_alu instid0(VALU_DEP_2) | instskip(NEXT) | instid1(VALU_DEP_1)
	v_cndmask_b32_e64 v21, v21, v7, s5
	v_cndmask_b32_e64 v21, v21, v8, s6
	s_delay_alu instid0(VALU_DEP_1) | instskip(NEXT) | instid1(VALU_DEP_1)
	v_cndmask_b32_e64 v21, v21, v9, s7
	v_cndmask_b32_e64 v21, v21, v10, s8
	s_delay_alu instid0(VALU_DEP_1) | instskip(NEXT) | instid1(VALU_DEP_1)
	;; [unrolled: 3-line block ×5, first 2 shown]
	v_cndmask_b32_e64 v21, v21, v17, s15
	v_cndmask_b32_e64 v21, v21, v18, s16
	s_wait_loadcnt_dscnt 0x101
	s_delay_alu instid0(VALU_DEP_1) | instskip(SKIP_1) | instid1(VALU_DEP_1)
	v_cndmask_b32_e64 v21, v21, v19, s17
	s_wait_loadcnt_dscnt 0x0
	v_cndmask_b32_e64 v21, v21, v20, s18
	s_delay_alu instid0(VALU_DEP_1) | instskip(SKIP_1) | instid1(VALU_DEP_2)
	v_div_scale_f32 v22, null, v21, v21, 1.0
	v_div_scale_f32 v25, vcc_lo, 1.0, v21, 1.0
	v_rcp_f32_e32 v23, v22
	v_nop
	s_delay_alu instid0(TRANS32_DEP_1) | instskip(NEXT) | instid1(VALU_DEP_1)
	v_fma_f32 v24, -v22, v23, 1.0
	v_fmac_f32_e32 v23, v24, v23
	s_delay_alu instid0(VALU_DEP_1) | instskip(NEXT) | instid1(VALU_DEP_1)
	v_mul_f32_e32 v24, v25, v23
	v_fma_f32 v26, -v22, v24, v25
	s_delay_alu instid0(VALU_DEP_1) | instskip(NEXT) | instid1(VALU_DEP_1)
	v_fmac_f32_e32 v24, v26, v23
	v_fma_f32 v22, -v22, v24, v25
	s_delay_alu instid0(VALU_DEP_1) | instskip(NEXT) | instid1(VALU_DEP_1)
	v_div_fmas_f32 v22, v22, v23, v24
	v_div_fixup_f32 v21, v22, v21, 1.0
	s_delay_alu instid0(VALU_DEP_1)
	v_dual_cndmask_b32 v20, v20, v21, s18 :: v_dual_cndmask_b32 v19, v19, v21, s17
	v_dual_cndmask_b32 v18, v18, v21, s16 :: v_dual_cndmask_b32 v17, v17, v21, s15
	;; [unrolled: 1-line block ×9, first 2 shown]
	v_cndmask_b32_e64 v2, v2, v21, s0
	v_xor_b32_e32 v35, 0x80000000, v21
.LBB82_3:
	v_dual_ashrrev_i32 v67, 31, v66 :: v_dual_ashrrev_i32 v69, 31, v68
	v_dual_ashrrev_i32 v71, 31, v70 :: v_dual_ashrrev_i32 v73, 31, v72
	;; [unrolled: 1-line block ×8, first 2 shown]
	v_ashrrev_i32_e32 v103, 31, v102
	v_add_nc_u32_e32 v107, 0x50, v34
	s_cmp_eq_u32 s20, 0x79
	ds_store_b32 v34, v35
	s_cbranch_scc1 .LBB82_7
; %bb.4:
	s_wait_loadcnt_dscnt 0x1
	v_mov_b64_e32 v[64:65], v[32:33]
	v_mov_b64_e32 v[62:63], v[30:31]
	;; [unrolled: 1-line block ×16, first 2 shown]
	v_cmp_eq_u32_e64 s1, 18, v0
	ds_store_b32 v107, v19
	s_wait_dscnt 0x0
	s_barrier_signal -1
	s_barrier_wait -1
	s_and_saveexec_b32 s0, s1
	s_cbranch_execz .LBB82_11
; %bb.5:
	s_and_b32 vcc_lo, exec_lo, s19
	s_cbranch_vccz .LBB82_8
; %bb.6:
	v_cmp_eq_u32_e32 vcc_lo, 1, v0
	ds_load_b32 v35, v107
	v_cndmask_b32_e32 v34, v2, v3, vcc_lo
	v_cmp_eq_u32_e32 vcc_lo, 2, v0
	s_delay_alu instid0(VALU_DEP_2) | instskip(SKIP_1) | instid1(VALU_DEP_2)
	v_cndmask_b32_e32 v34, v34, v4, vcc_lo
	v_cmp_eq_u32_e32 vcc_lo, 3, v0
	v_cndmask_b32_e32 v34, v34, v5, vcc_lo
	v_cmp_eq_u32_e32 vcc_lo, 4, v0
	s_delay_alu instid0(VALU_DEP_2) | instskip(SKIP_1) | instid1(VALU_DEP_2)
	v_cndmask_b32_e32 v34, v34, v6, vcc_lo
	v_cmp_eq_u32_e32 vcc_lo, 5, v0
	;; [unrolled: 5-line block ×8, first 2 shown]
	v_cndmask_b32_e32 v34, v34, v19, vcc_lo
	v_cmp_eq_u32_e32 vcc_lo, 18, v0
	s_delay_alu instid0(VALU_DEP_2) | instskip(SKIP_1) | instid1(VALU_DEP_1)
	v_cndmask_b32_e32 v34, v34, v20, vcc_lo
	s_wait_dscnt 0x0
	v_mul_f32_e32 v51, v34, v35
	s_cbranch_execz .LBB82_9
	s_branch .LBB82_10
.LBB82_7:
                                        ; implicit-def: $vgpr34_vgpr35_vgpr36_vgpr37_vgpr38_vgpr39_vgpr40_vgpr41_vgpr42_vgpr43_vgpr44_vgpr45_vgpr46_vgpr47_vgpr48_vgpr49_vgpr50_vgpr51_vgpr52_vgpr53_vgpr54_vgpr55_vgpr56_vgpr57_vgpr58_vgpr59_vgpr60_vgpr61_vgpr62_vgpr63_vgpr64_vgpr65
	s_cbranch_execnz .LBB82_274
	s_branch .LBB82_457
.LBB82_8:
                                        ; implicit-def: $vgpr51
.LBB82_9:
	ds_load_b32 v51, v107
.LBB82_10:
	v_dual_mov_b32 v34, 0 :: v_dual_mov_b32 v35, v3
	v_dual_mov_b32 v37, v5 :: v_dual_mov_b32 v38, v6
	v_dual_mov_b32 v39, v7 :: v_dual_mov_b32 v40, v8
	ds_load_b32 v52, v34 offset:68
	v_dual_mov_b32 v34, v2 :: v_dual_mov_b32 v36, v4
	v_dual_mov_b32 v41, v9 :: v_dual_mov_b32 v42, v10
	;; [unrolled: 1-line block ×6, first 2 shown]
	s_wait_dscnt 0x0
	v_dual_mul_f32 v51, v51, v52 :: v_dual_mov_b32 v52, v20
.LBB82_11:
	s_or_b32 exec_lo, exec_lo, s0
	v_cmp_lt_u32_e64 s0, 16, v0
	ds_store_b32 v107, v50
	s_wait_dscnt 0x0
	s_barrier_signal -1
	s_barrier_wait -1
	s_and_saveexec_b32 s2, s0
	s_cbranch_execz .LBB82_17
; %bb.12:
	s_and_not1_b32 vcc_lo, exec_lo, s19
	s_cbranch_vccnz .LBB82_14
; %bb.13:
	v_cmp_eq_u32_e32 vcc_lo, 1, v0
	ds_load_b32 v54, v107
	v_cndmask_b32_e32 v53, v34, v35, vcc_lo
	v_cmp_eq_u32_e32 vcc_lo, 2, v0
	s_delay_alu instid0(VALU_DEP_2) | instskip(SKIP_1) | instid1(VALU_DEP_2)
	v_cndmask_b32_e32 v53, v53, v36, vcc_lo
	v_cmp_eq_u32_e32 vcc_lo, 3, v0
	v_cndmask_b32_e32 v53, v53, v37, vcc_lo
	v_cmp_eq_u32_e32 vcc_lo, 4, v0
	s_delay_alu instid0(VALU_DEP_2) | instskip(SKIP_1) | instid1(VALU_DEP_2)
	v_cndmask_b32_e32 v53, v53, v38, vcc_lo
	v_cmp_eq_u32_e32 vcc_lo, 5, v0
	;; [unrolled: 5-line block ×8, first 2 shown]
	v_cndmask_b32_e32 v50, v50, v51, vcc_lo
	v_cmp_eq_u32_e32 vcc_lo, 18, v0
	s_delay_alu instid0(VALU_DEP_2) | instskip(SKIP_1) | instid1(VALU_DEP_1)
	v_cndmask_b32_e32 v50, v50, v52, vcc_lo
	s_wait_dscnt 0x0
	v_mul_f32_e32 v50, v50, v54
	s_cbranch_execz .LBB82_15
	s_branch .LBB82_16
.LBB82_14:
                                        ; implicit-def: $vgpr50
.LBB82_15:
	ds_load_b32 v50, v107
.LBB82_16:
	v_mov_b32_e32 v53, 0
	ds_load_2addr_b32 v[54:55], v53 offset0:16 offset1:37
	s_wait_dscnt 0x0
	v_fma_f32 v53, v51, v55, v50
	s_delay_alu instid0(VALU_DEP_1) | instskip(NEXT) | instid1(VALU_DEP_1)
	v_cndmask_b32_e64 v50, v50, v53, s1
	v_mul_f32_e32 v50, v50, v54
.LBB82_17:
	s_or_b32 exec_lo, exec_lo, s2
	v_cmp_lt_u32_e64 s1, 15, v0
	ds_store_b32 v107, v49
	s_wait_dscnt 0x0
	s_barrier_signal -1
	s_barrier_wait -1
	s_and_saveexec_b32 s4, s1
	s_cbranch_execz .LBB82_33
; %bb.18:
	s_and_not1_b32 vcc_lo, exec_lo, s19
	s_cbranch_vccnz .LBB82_20
; %bb.19:
	v_cmp_eq_u32_e32 vcc_lo, 1, v0
	ds_load_b32 v105, v107
	v_cndmask_b32_e32 v104, v34, v35, vcc_lo
	v_cmp_eq_u32_e32 vcc_lo, 2, v0
	s_delay_alu instid0(VALU_DEP_2) | instskip(SKIP_1) | instid1(VALU_DEP_2)
	v_cndmask_b32_e32 v104, v104, v36, vcc_lo
	v_cmp_eq_u32_e32 vcc_lo, 3, v0
	v_cndmask_b32_e32 v104, v104, v37, vcc_lo
	v_cmp_eq_u32_e32 vcc_lo, 4, v0
	s_delay_alu instid0(VALU_DEP_2) | instskip(SKIP_1) | instid1(VALU_DEP_2)
	v_cndmask_b32_e32 v104, v104, v38, vcc_lo
	v_cmp_eq_u32_e32 vcc_lo, 5, v0
	;; [unrolled: 5-line block ×8, first 2 shown]
	v_cndmask_b32_e32 v104, v104, v51, vcc_lo
	v_cmp_eq_u32_e32 vcc_lo, 18, v0
	s_delay_alu instid0(VALU_DEP_2) | instskip(SKIP_1) | instid1(VALU_DEP_1)
	v_cndmask_b32_e32 v104, v104, v52, vcc_lo
	s_wait_dscnt 0x0
	v_mul_f32_e32 v108, v104, v105
	s_cbranch_execz .LBB82_21
	s_branch .LBB82_22
.LBB82_20:
                                        ; implicit-def: $vgpr108
.LBB82_21:
	ds_load_b32 v108, v107
.LBB82_22:
	s_and_saveexec_b32 s5, s0
	s_cbranch_execz .LBB82_32
; %bb.23:
	v_subrev_nc_u32_e32 v104, 17, v0
	s_delay_alu instid0(VALU_DEP_1)
	v_cmp_lt_u32_e32 vcc_lo, 6, v104
	v_mov_b32_e32 v104, 16
	s_and_saveexec_b32 s0, vcc_lo
	s_cbranch_execz .LBB82_27
; %bb.24:
	v_and_b32_e32 v104, 24, v0
	s_mov_b32 s6, 0
	s_mov_b64 s[2:3], 23
	s_movk_i32 s7, 0x90
	s_delay_alu instid0(VALU_DEP_1)
	v_sub_nc_u32_e32 v106, 0, v104
.LBB82_25:                              ; =>This Inner Loop Header: Depth=1
	s_add_co_i32 m0, s2, -7
	v_movrels_b32_e32 v105, v34
	v_mov_b32_e32 v104, s7
	s_add_co_i32 m0, s2, -6
	s_add_co_i32 s7, s7, 32
	v_movrels_b32_e32 v109, v34
	s_add_co_i32 m0, s2, -5
	ds_load_b128 v[110:113], v104
	ds_load_b128 v[114:117], v104 offset:16
	v_movrels_b32_e32 v104, v34
	s_add_co_i32 m0, s2, -4
	s_wait_dscnt 0x1
	v_fmac_f32_e32 v108, v105, v110
	v_movrels_b32_e32 v105, v34
	s_add_co_i32 m0, s2, -3
	s_delay_alu instid0(VALU_DEP_2) | instskip(NEXT) | instid1(VALU_DEP_1)
	v_fmac_f32_e32 v108, v109, v111
	v_fmac_f32_e32 v108, v104, v112
	v_movrels_b32_e32 v104, v34
	s_add_co_i32 m0, s2, -2
	s_delay_alu instid0(VALU_DEP_2) | instskip(SKIP_3) | instid1(VALU_DEP_2)
	v_fmac_f32_e32 v108, v105, v113
	v_movrels_b32_e32 v105, v34
	s_add_co_i32 m0, s2, -1
	s_wait_dscnt 0x0
	v_fmac_f32_e32 v108, v104, v114
	v_movrels_b32_e32 v104, v34
	s_mov_b32 m0, s2
	s_add_nc_u64 s[2:3], s[2:3], 8
	v_movrels_b32_e32 v109, v34
	v_dual_fmac_f32 v108, v105, v115 :: v_dual_add_nc_u32 v105, s2, v106
	s_add_co_i32 s8, s2, -7
	s_delay_alu instid0(VALU_DEP_1) | instskip(NEXT) | instid1(VALU_DEP_2)
	v_fmac_f32_e32 v108, v104, v116
	v_cmp_eq_u32_e32 vcc_lo, 7, v105
	s_delay_alu instid0(VALU_DEP_2) | instskip(SKIP_1) | instid1(SALU_CYCLE_1)
	v_dual_mov_b32 v104, s8 :: v_dual_fmac_f32 v108, v109, v117
	s_or_b32 s6, vcc_lo, s6
	s_and_not1_b32 exec_lo, exec_lo, s6
	s_cbranch_execnz .LBB82_25
; %bb.26:
	s_or_b32 exec_lo, exec_lo, s6
.LBB82_27:
	s_delay_alu instid0(SALU_CYCLE_1) | instskip(SKIP_3) | instid1(VALU_DEP_1)
	s_or_b32 exec_lo, exec_lo, s0
	v_and_b32_e32 v53, 7, v0
	s_mov_b32 s2, 0
	s_mov_b32 s0, exec_lo
	v_cmpx_ne_u32_e32 0, v53
	s_cbranch_execz .LBB82_31
; %bb.28:
	v_lshl_add_u32 v54, v104, 2, 0x50
	v_mov_b32_e32 v105, 0
.LBB82_29:                              ; =>This Inner Loop Header: Depth=1
	v_cmp_eq_u32_e32 vcc_lo, 1, v104
	ds_load_b32 v56, v54
	v_dual_add_nc_u32 v53, -1, v53 :: v_dual_add_nc_u32 v54, 4, v54
	v_cndmask_b32_e32 v55, v34, v35, vcc_lo
	v_cmp_eq_u32_e32 vcc_lo, 2, v104
	s_delay_alu instid0(VALU_DEP_2) | instskip(SKIP_1) | instid1(VALU_DEP_2)
	v_cndmask_b32_e32 v55, v55, v36, vcc_lo
	v_cmp_eq_u32_e32 vcc_lo, 3, v104
	v_cndmask_b32_e32 v55, v55, v37, vcc_lo
	v_cmp_eq_u32_e32 vcc_lo, 4, v104
	s_delay_alu instid0(VALU_DEP_2) | instskip(SKIP_1) | instid1(VALU_DEP_2)
	v_cndmask_b32_e32 v55, v55, v38, vcc_lo
	v_cmp_eq_u32_e32 vcc_lo, 5, v104
	v_cndmask_b32_e32 v55, v55, v39, vcc_lo
	v_cmp_eq_u32_e32 vcc_lo, 6, v104
	s_delay_alu instid0(VALU_DEP_2) | instskip(SKIP_1) | instid1(VALU_DEP_2)
	v_cndmask_b32_e32 v55, v55, v40, vcc_lo
	v_cmp_eq_u32_e32 vcc_lo, 7, v104
	v_cndmask_b32_e32 v55, v55, v41, vcc_lo
	v_cmp_eq_u32_e32 vcc_lo, 8, v104
	s_delay_alu instid0(VALU_DEP_2) | instskip(SKIP_1) | instid1(VALU_DEP_2)
	v_cndmask_b32_e32 v55, v55, v42, vcc_lo
	v_cmp_eq_u32_e32 vcc_lo, 9, v104
	v_cndmask_b32_e32 v55, v55, v43, vcc_lo
	v_cmp_eq_u32_e32 vcc_lo, 10, v104
	s_delay_alu instid0(VALU_DEP_2) | instskip(SKIP_1) | instid1(VALU_DEP_2)
	v_cndmask_b32_e32 v55, v55, v44, vcc_lo
	v_cmp_eq_u32_e32 vcc_lo, 11, v104
	v_cndmask_b32_e32 v55, v55, v45, vcc_lo
	v_cmp_eq_u32_e32 vcc_lo, 12, v104
	s_delay_alu instid0(VALU_DEP_2) | instskip(SKIP_1) | instid1(VALU_DEP_2)
	v_cndmask_b32_e32 v55, v55, v46, vcc_lo
	v_cmp_eq_u32_e32 vcc_lo, 13, v104
	v_cndmask_b32_e32 v55, v55, v47, vcc_lo
	v_cmp_eq_u32_e32 vcc_lo, 14, v104
	s_delay_alu instid0(VALU_DEP_2) | instskip(SKIP_1) | instid1(VALU_DEP_2)
	v_cndmask_b32_e32 v55, v55, v48, vcc_lo
	v_cmp_eq_u32_e32 vcc_lo, 15, v104
	v_cndmask_b32_e32 v55, v55, v49, vcc_lo
	v_cmp_eq_u32_e32 vcc_lo, 16, v104
	s_delay_alu instid0(VALU_DEP_2) | instskip(SKIP_1) | instid1(VALU_DEP_2)
	v_cndmask_b32_e32 v55, v55, v50, vcc_lo
	v_cmp_eq_u32_e32 vcc_lo, 17, v104
	v_cndmask_b32_e32 v55, v55, v51, vcc_lo
	v_cmp_eq_u32_e32 vcc_lo, 18, v104
	v_add_nc_u64_e32 v[104:105], 1, v[104:105]
	s_delay_alu instid0(VALU_DEP_3) | instskip(SKIP_2) | instid1(VALU_DEP_2)
	v_cndmask_b32_e32 v55, v55, v52, vcc_lo
	v_cmp_eq_u32_e32 vcc_lo, 0, v53
	s_wait_dscnt 0x0
	v_fmac_f32_e32 v108, v55, v56
	s_or_b32 s2, vcc_lo, s2
	s_delay_alu instid0(SALU_CYCLE_1)
	s_and_not1_b32 exec_lo, exec_lo, s2
	s_cbranch_execnz .LBB82_29
; %bb.30:
	s_or_b32 exec_lo, exec_lo, s2
.LBB82_31:
	s_delay_alu instid0(SALU_CYCLE_1)
	s_or_b32 exec_lo, exec_lo, s0
.LBB82_32:
	s_delay_alu instid0(SALU_CYCLE_1)
	s_or_b32 exec_lo, exec_lo, s5
	v_mov_b32_e32 v49, 0
	ds_load_b32 v49, v49 offset:60
	s_wait_dscnt 0x0
	v_mul_f32_e32 v49, v108, v49
.LBB82_33:
	s_or_b32 exec_lo, exec_lo, s4
	v_cmp_lt_u32_e64 s0, 14, v0
	ds_store_b32 v107, v48
	s_wait_dscnt 0x0
	s_barrier_signal -1
	s_barrier_wait -1
	s_and_saveexec_b32 s4, s0
	s_cbranch_execz .LBB82_49
; %bb.34:
	s_and_not1_b32 vcc_lo, exec_lo, s19
	s_cbranch_vccnz .LBB82_36
; %bb.35:
	v_cmp_eq_u32_e32 vcc_lo, 1, v0
	ds_load_b32 v105, v107
	v_cndmask_b32_e32 v104, v34, v35, vcc_lo
	v_cmp_eq_u32_e32 vcc_lo, 2, v0
	s_delay_alu instid0(VALU_DEP_2) | instskip(SKIP_1) | instid1(VALU_DEP_2)
	v_cndmask_b32_e32 v104, v104, v36, vcc_lo
	v_cmp_eq_u32_e32 vcc_lo, 3, v0
	v_cndmask_b32_e32 v104, v104, v37, vcc_lo
	v_cmp_eq_u32_e32 vcc_lo, 4, v0
	s_delay_alu instid0(VALU_DEP_2) | instskip(SKIP_1) | instid1(VALU_DEP_2)
	v_cndmask_b32_e32 v104, v104, v38, vcc_lo
	v_cmp_eq_u32_e32 vcc_lo, 5, v0
	;; [unrolled: 5-line block ×8, first 2 shown]
	v_cndmask_b32_e32 v104, v104, v51, vcc_lo
	v_cmp_eq_u32_e32 vcc_lo, 18, v0
	s_delay_alu instid0(VALU_DEP_2) | instskip(SKIP_1) | instid1(VALU_DEP_1)
	v_cndmask_b32_e32 v104, v104, v52, vcc_lo
	s_wait_dscnt 0x0
	v_mul_f32_e32 v108, v104, v105
	s_cbranch_execz .LBB82_37
	s_branch .LBB82_38
.LBB82_36:
                                        ; implicit-def: $vgpr108
.LBB82_37:
	ds_load_b32 v108, v107
.LBB82_38:
	s_and_saveexec_b32 s5, s1
	s_cbranch_execz .LBB82_48
; %bb.39:
	v_dual_add_nc_u32 v104, -16, v0 :: v_dual_add_nc_u32 v105, -15, v0
	s_delay_alu instid0(VALU_DEP_1)
	v_cmp_lt_u32_e32 vcc_lo, 6, v104
	v_mov_b32_e32 v104, 15
	s_and_saveexec_b32 s1, vcc_lo
	s_cbranch_execz .LBB82_43
; %bb.40:
	v_and_b32_e32 v104, -8, v105
	s_mov_b32 s6, 0
	s_mov_b64 s[2:3], 22
	s_movk_i32 s7, 0x8c
	s_delay_alu instid0(VALU_DEP_1)
	v_sub_nc_u32_e32 v106, 0, v104
.LBB82_41:                              ; =>This Inner Loop Header: Depth=1
	s_add_co_i32 m0, s2, -7
	v_movrels_b32_e32 v109, v34
	v_mov_b32_e32 v104, s7
	s_add_co_i32 m0, s2, -6
	s_add_co_i32 s7, s7, 32
	v_movrels_b32_e32 v118, v34
	ds_load_2addr_b32 v[110:111], v104 offset1:1
	ds_load_2addr_b32 v[112:113], v104 offset0:2 offset1:3
	s_add_co_i32 m0, s2, -5
	s_wait_dscnt 0x1
	v_fmac_f32_e32 v108, v109, v110
	ds_load_2addr_b32 v[114:115], v104 offset0:4 offset1:5
	ds_load_2addr_b32 v[116:117], v104 offset0:6 offset1:7
	v_movrels_b32_e32 v104, v34
	s_add_co_i32 m0, s2, -4
	v_fmac_f32_e32 v108, v118, v111
	v_movrels_b32_e32 v109, v34
	s_add_co_i32 m0, s2, -3
	s_wait_dscnt 0x2
	s_delay_alu instid0(VALU_DEP_2) | instskip(SKIP_2) | instid1(VALU_DEP_2)
	v_fmac_f32_e32 v108, v104, v112
	v_movrels_b32_e32 v104, v34
	s_add_co_i32 m0, s2, -2
	v_fmac_f32_e32 v108, v109, v113
	v_movrels_b32_e32 v109, v34
	s_add_co_i32 m0, s2, -1
	s_wait_dscnt 0x1
	s_delay_alu instid0(VALU_DEP_2)
	v_fmac_f32_e32 v108, v104, v114
	v_movrels_b32_e32 v104, v34
	s_mov_b32 m0, s2
	s_add_nc_u64 s[2:3], s[2:3], 8
	v_movrels_b32_e32 v110, v34
	v_dual_fmac_f32 v108, v109, v115 :: v_dual_add_nc_u32 v109, s2, v106
	s_add_co_i32 s8, s2, -7
	s_wait_dscnt 0x0
	s_delay_alu instid0(VALU_DEP_1) | instskip(NEXT) | instid1(VALU_DEP_2)
	v_fmac_f32_e32 v108, v104, v116
	v_cmp_eq_u32_e32 vcc_lo, 22, v109
	s_delay_alu instid0(VALU_DEP_2) | instskip(SKIP_1) | instid1(SALU_CYCLE_1)
	v_dual_mov_b32 v104, s8 :: v_dual_fmac_f32 v108, v110, v117
	s_or_b32 s6, vcc_lo, s6
	s_and_not1_b32 exec_lo, exec_lo, s6
	s_cbranch_execnz .LBB82_41
; %bb.42:
	s_or_b32 exec_lo, exec_lo, s6
.LBB82_43:
	s_delay_alu instid0(SALU_CYCLE_1) | instskip(SKIP_3) | instid1(VALU_DEP_1)
	s_or_b32 exec_lo, exec_lo, s1
	v_and_b32_e32 v53, 7, v105
	s_mov_b32 s2, 0
	s_mov_b32 s1, exec_lo
	v_cmpx_ne_u32_e32 0, v53
	s_cbranch_execz .LBB82_47
; %bb.44:
	v_lshl_add_u32 v54, v104, 2, 0x50
	v_mov_b32_e32 v105, 0
.LBB82_45:                              ; =>This Inner Loop Header: Depth=1
	v_cmp_eq_u32_e32 vcc_lo, 1, v104
	ds_load_b32 v56, v54
	v_dual_add_nc_u32 v53, -1, v53 :: v_dual_add_nc_u32 v54, 4, v54
	v_cndmask_b32_e32 v55, v34, v35, vcc_lo
	v_cmp_eq_u32_e32 vcc_lo, 2, v104
	s_delay_alu instid0(VALU_DEP_2) | instskip(SKIP_1) | instid1(VALU_DEP_2)
	v_cndmask_b32_e32 v55, v55, v36, vcc_lo
	v_cmp_eq_u32_e32 vcc_lo, 3, v104
	v_cndmask_b32_e32 v55, v55, v37, vcc_lo
	v_cmp_eq_u32_e32 vcc_lo, 4, v104
	s_delay_alu instid0(VALU_DEP_2) | instskip(SKIP_1) | instid1(VALU_DEP_2)
	v_cndmask_b32_e32 v55, v55, v38, vcc_lo
	v_cmp_eq_u32_e32 vcc_lo, 5, v104
	;; [unrolled: 5-line block ×8, first 2 shown]
	v_cndmask_b32_e32 v55, v55, v51, vcc_lo
	v_cmp_eq_u32_e32 vcc_lo, 18, v104
	v_add_nc_u64_e32 v[104:105], 1, v[104:105]
	s_delay_alu instid0(VALU_DEP_3) | instskip(SKIP_2) | instid1(VALU_DEP_2)
	v_cndmask_b32_e32 v55, v55, v52, vcc_lo
	v_cmp_eq_u32_e32 vcc_lo, 0, v53
	s_wait_dscnt 0x0
	v_fmac_f32_e32 v108, v55, v56
	s_or_b32 s2, vcc_lo, s2
	s_delay_alu instid0(SALU_CYCLE_1)
	s_and_not1_b32 exec_lo, exec_lo, s2
	s_cbranch_execnz .LBB82_45
; %bb.46:
	s_or_b32 exec_lo, exec_lo, s2
.LBB82_47:
	s_delay_alu instid0(SALU_CYCLE_1)
	s_or_b32 exec_lo, exec_lo, s1
.LBB82_48:
	s_delay_alu instid0(SALU_CYCLE_1)
	s_or_b32 exec_lo, exec_lo, s5
	v_mov_b32_e32 v48, 0
	ds_load_b32 v48, v48 offset:56
	s_wait_dscnt 0x0
	v_mul_f32_e32 v48, v108, v48
.LBB82_49:
	s_or_b32 exec_lo, exec_lo, s4
	v_cmp_lt_u32_e64 s1, 13, v0
	ds_store_b32 v107, v47
	s_wait_dscnt 0x0
	s_barrier_signal -1
	s_barrier_wait -1
	s_and_saveexec_b32 s4, s1
	s_cbranch_execz .LBB82_65
; %bb.50:
	s_and_not1_b32 vcc_lo, exec_lo, s19
	s_cbranch_vccnz .LBB82_52
; %bb.51:
	v_cmp_eq_u32_e32 vcc_lo, 1, v0
	ds_load_b32 v105, v107
	v_cndmask_b32_e32 v104, v34, v35, vcc_lo
	v_cmp_eq_u32_e32 vcc_lo, 2, v0
	s_delay_alu instid0(VALU_DEP_2) | instskip(SKIP_1) | instid1(VALU_DEP_2)
	v_cndmask_b32_e32 v104, v104, v36, vcc_lo
	v_cmp_eq_u32_e32 vcc_lo, 3, v0
	v_cndmask_b32_e32 v104, v104, v37, vcc_lo
	v_cmp_eq_u32_e32 vcc_lo, 4, v0
	s_delay_alu instid0(VALU_DEP_2) | instskip(SKIP_1) | instid1(VALU_DEP_2)
	v_cndmask_b32_e32 v104, v104, v38, vcc_lo
	v_cmp_eq_u32_e32 vcc_lo, 5, v0
	;; [unrolled: 5-line block ×8, first 2 shown]
	v_cndmask_b32_e32 v104, v104, v51, vcc_lo
	v_cmp_eq_u32_e32 vcc_lo, 18, v0
	s_delay_alu instid0(VALU_DEP_2) | instskip(SKIP_1) | instid1(VALU_DEP_1)
	v_cndmask_b32_e32 v104, v104, v52, vcc_lo
	s_wait_dscnt 0x0
	v_mul_f32_e32 v108, v104, v105
	s_cbranch_execz .LBB82_53
	s_branch .LBB82_54
.LBB82_52:
                                        ; implicit-def: $vgpr108
.LBB82_53:
	ds_load_b32 v108, v107
.LBB82_54:
	s_and_saveexec_b32 s5, s0
	s_cbranch_execz .LBB82_64
; %bb.55:
	v_dual_add_nc_u32 v104, -15, v0 :: v_dual_add_nc_u32 v105, -14, v0
	s_delay_alu instid0(VALU_DEP_1)
	v_cmp_lt_u32_e32 vcc_lo, 6, v104
	v_mov_b32_e32 v104, 14
	s_and_saveexec_b32 s0, vcc_lo
	s_cbranch_execz .LBB82_59
; %bb.56:
	v_and_b32_e32 v104, -8, v105
	s_mov_b32 s6, 0
	s_mov_b64 s[2:3], 21
	s_movk_i32 s7, 0x88
	s_delay_alu instid0(VALU_DEP_1)
	v_sub_nc_u32_e32 v106, 0, v104
.LBB82_57:                              ; =>This Inner Loop Header: Depth=1
	s_add_co_i32 m0, s2, -7
	v_movrels_b32_e32 v109, v34
	v_mov_b32_e32 v104, s7
	s_add_co_i32 m0, s2, -6
	s_add_co_i32 s7, s7, 32
	v_movrels_b32_e32 v118, v34
	s_add_co_i32 m0, s2, -5
	ds_load_2addr_b64 v[110:113], v104 offset1:1
	ds_load_2addr_b64 v[114:117], v104 offset0:2 offset1:3
	v_movrels_b32_e32 v104, v34
	s_add_co_i32 m0, s2, -4
	s_wait_dscnt 0x1
	v_fmac_f32_e32 v108, v109, v110
	v_movrels_b32_e32 v109, v34
	s_add_co_i32 m0, s2, -3
	s_delay_alu instid0(VALU_DEP_2) | instskip(NEXT) | instid1(VALU_DEP_1)
	v_fmac_f32_e32 v108, v118, v111
	v_fmac_f32_e32 v108, v104, v112
	v_movrels_b32_e32 v104, v34
	s_add_co_i32 m0, s2, -2
	s_delay_alu instid0(VALU_DEP_2) | instskip(SKIP_3) | instid1(VALU_DEP_2)
	v_fmac_f32_e32 v108, v109, v113
	v_movrels_b32_e32 v109, v34
	s_add_co_i32 m0, s2, -1
	s_wait_dscnt 0x0
	v_fmac_f32_e32 v108, v104, v114
	v_movrels_b32_e32 v104, v34
	s_mov_b32 m0, s2
	s_add_nc_u64 s[2:3], s[2:3], 8
	v_movrels_b32_e32 v110, v34
	v_dual_fmac_f32 v108, v109, v115 :: v_dual_add_nc_u32 v109, s2, v106
	s_add_co_i32 s8, s2, -7
	s_delay_alu instid0(VALU_DEP_1) | instskip(NEXT) | instid1(VALU_DEP_2)
	v_fmac_f32_e32 v108, v104, v116
	v_cmp_eq_u32_e32 vcc_lo, 21, v109
	s_delay_alu instid0(VALU_DEP_2) | instskip(SKIP_1) | instid1(SALU_CYCLE_1)
	v_dual_mov_b32 v104, s8 :: v_dual_fmac_f32 v108, v110, v117
	s_or_b32 s6, vcc_lo, s6
	s_and_not1_b32 exec_lo, exec_lo, s6
	s_cbranch_execnz .LBB82_57
; %bb.58:
	s_or_b32 exec_lo, exec_lo, s6
.LBB82_59:
	s_delay_alu instid0(SALU_CYCLE_1) | instskip(SKIP_3) | instid1(VALU_DEP_1)
	s_or_b32 exec_lo, exec_lo, s0
	v_and_b32_e32 v53, 7, v105
	s_mov_b32 s2, 0
	s_mov_b32 s0, exec_lo
	v_cmpx_ne_u32_e32 0, v53
	s_cbranch_execz .LBB82_63
; %bb.60:
	v_lshl_add_u32 v54, v104, 2, 0x50
	v_mov_b32_e32 v105, 0
.LBB82_61:                              ; =>This Inner Loop Header: Depth=1
	v_cmp_eq_u32_e32 vcc_lo, 1, v104
	ds_load_b32 v56, v54
	v_dual_add_nc_u32 v53, -1, v53 :: v_dual_add_nc_u32 v54, 4, v54
	v_cndmask_b32_e32 v55, v34, v35, vcc_lo
	v_cmp_eq_u32_e32 vcc_lo, 2, v104
	s_delay_alu instid0(VALU_DEP_2) | instskip(SKIP_1) | instid1(VALU_DEP_2)
	v_cndmask_b32_e32 v55, v55, v36, vcc_lo
	v_cmp_eq_u32_e32 vcc_lo, 3, v104
	v_cndmask_b32_e32 v55, v55, v37, vcc_lo
	v_cmp_eq_u32_e32 vcc_lo, 4, v104
	s_delay_alu instid0(VALU_DEP_2) | instskip(SKIP_1) | instid1(VALU_DEP_2)
	v_cndmask_b32_e32 v55, v55, v38, vcc_lo
	v_cmp_eq_u32_e32 vcc_lo, 5, v104
	;; [unrolled: 5-line block ×8, first 2 shown]
	v_cndmask_b32_e32 v55, v55, v51, vcc_lo
	v_cmp_eq_u32_e32 vcc_lo, 18, v104
	v_add_nc_u64_e32 v[104:105], 1, v[104:105]
	s_delay_alu instid0(VALU_DEP_3) | instskip(SKIP_2) | instid1(VALU_DEP_2)
	v_cndmask_b32_e32 v55, v55, v52, vcc_lo
	v_cmp_eq_u32_e32 vcc_lo, 0, v53
	s_wait_dscnt 0x0
	v_fmac_f32_e32 v108, v55, v56
	s_or_b32 s2, vcc_lo, s2
	s_delay_alu instid0(SALU_CYCLE_1)
	s_and_not1_b32 exec_lo, exec_lo, s2
	s_cbranch_execnz .LBB82_61
; %bb.62:
	s_or_b32 exec_lo, exec_lo, s2
.LBB82_63:
	s_delay_alu instid0(SALU_CYCLE_1)
	s_or_b32 exec_lo, exec_lo, s0
.LBB82_64:
	s_delay_alu instid0(SALU_CYCLE_1)
	s_or_b32 exec_lo, exec_lo, s5
	v_mov_b32_e32 v47, 0
	ds_load_b32 v47, v47 offset:52
	s_wait_dscnt 0x0
	v_mul_f32_e32 v47, v108, v47
.LBB82_65:
	s_or_b32 exec_lo, exec_lo, s4
	v_cmp_lt_u32_e64 s0, 12, v0
	ds_store_b32 v107, v46
	s_wait_dscnt 0x0
	s_barrier_signal -1
	s_barrier_wait -1
	s_and_saveexec_b32 s4, s0
	s_cbranch_execz .LBB82_81
; %bb.66:
	s_and_not1_b32 vcc_lo, exec_lo, s19
	s_cbranch_vccnz .LBB82_68
; %bb.67:
	v_cmp_eq_u32_e32 vcc_lo, 1, v0
	ds_load_b32 v105, v107
	v_cndmask_b32_e32 v104, v34, v35, vcc_lo
	v_cmp_eq_u32_e32 vcc_lo, 2, v0
	s_delay_alu instid0(VALU_DEP_2) | instskip(SKIP_1) | instid1(VALU_DEP_2)
	v_cndmask_b32_e32 v104, v104, v36, vcc_lo
	v_cmp_eq_u32_e32 vcc_lo, 3, v0
	v_cndmask_b32_e32 v104, v104, v37, vcc_lo
	v_cmp_eq_u32_e32 vcc_lo, 4, v0
	s_delay_alu instid0(VALU_DEP_2) | instskip(SKIP_1) | instid1(VALU_DEP_2)
	v_cndmask_b32_e32 v104, v104, v38, vcc_lo
	v_cmp_eq_u32_e32 vcc_lo, 5, v0
	;; [unrolled: 5-line block ×8, first 2 shown]
	v_cndmask_b32_e32 v104, v104, v51, vcc_lo
	v_cmp_eq_u32_e32 vcc_lo, 18, v0
	s_delay_alu instid0(VALU_DEP_2) | instskip(SKIP_1) | instid1(VALU_DEP_1)
	v_cndmask_b32_e32 v104, v104, v52, vcc_lo
	s_wait_dscnt 0x0
	v_mul_f32_e32 v108, v104, v105
	s_cbranch_execz .LBB82_69
	s_branch .LBB82_70
.LBB82_68:
                                        ; implicit-def: $vgpr108
.LBB82_69:
	ds_load_b32 v108, v107
.LBB82_70:
	s_and_saveexec_b32 s5, s1
	s_cbranch_execz .LBB82_80
; %bb.71:
	v_dual_add_nc_u32 v104, -14, v0 :: v_dual_add_nc_u32 v105, -13, v0
	s_delay_alu instid0(VALU_DEP_1)
	v_cmp_lt_u32_e32 vcc_lo, 6, v104
	v_mov_b32_e32 v104, 13
	s_and_saveexec_b32 s1, vcc_lo
	s_cbranch_execz .LBB82_75
; %bb.72:
	v_and_b32_e32 v104, -8, v105
	s_mov_b32 s6, 0
	s_mov_b64 s[2:3], 20
	s_movk_i32 s7, 0x84
	s_delay_alu instid0(VALU_DEP_1)
	v_sub_nc_u32_e32 v106, 0, v104
.LBB82_73:                              ; =>This Inner Loop Header: Depth=1
	s_add_co_i32 m0, s2, -7
	v_movrels_b32_e32 v109, v34
	v_mov_b32_e32 v104, s7
	s_add_co_i32 m0, s2, -6
	s_add_co_i32 s7, s7, 32
	v_movrels_b32_e32 v118, v34
	ds_load_2addr_b32 v[110:111], v104 offset1:1
	ds_load_2addr_b32 v[112:113], v104 offset0:2 offset1:3
	s_add_co_i32 m0, s2, -5
	s_wait_dscnt 0x1
	v_fmac_f32_e32 v108, v109, v110
	ds_load_2addr_b32 v[114:115], v104 offset0:4 offset1:5
	ds_load_2addr_b32 v[116:117], v104 offset0:6 offset1:7
	v_movrels_b32_e32 v104, v34
	s_add_co_i32 m0, s2, -4
	v_fmac_f32_e32 v108, v118, v111
	v_movrels_b32_e32 v109, v34
	s_add_co_i32 m0, s2, -3
	s_wait_dscnt 0x2
	s_delay_alu instid0(VALU_DEP_2) | instskip(SKIP_2) | instid1(VALU_DEP_2)
	v_fmac_f32_e32 v108, v104, v112
	v_movrels_b32_e32 v104, v34
	s_add_co_i32 m0, s2, -2
	v_fmac_f32_e32 v108, v109, v113
	v_movrels_b32_e32 v109, v34
	s_add_co_i32 m0, s2, -1
	s_wait_dscnt 0x1
	s_delay_alu instid0(VALU_DEP_2)
	v_fmac_f32_e32 v108, v104, v114
	v_movrels_b32_e32 v104, v34
	s_mov_b32 m0, s2
	s_add_nc_u64 s[2:3], s[2:3], 8
	v_movrels_b32_e32 v110, v34
	v_dual_fmac_f32 v108, v109, v115 :: v_dual_add_nc_u32 v109, s2, v106
	s_add_co_i32 s8, s2, -7
	s_wait_dscnt 0x0
	s_delay_alu instid0(VALU_DEP_1) | instskip(NEXT) | instid1(VALU_DEP_2)
	v_fmac_f32_e32 v108, v104, v116
	v_cmp_eq_u32_e32 vcc_lo, 20, v109
	s_delay_alu instid0(VALU_DEP_2) | instskip(SKIP_1) | instid1(SALU_CYCLE_1)
	v_dual_mov_b32 v104, s8 :: v_dual_fmac_f32 v108, v110, v117
	s_or_b32 s6, vcc_lo, s6
	s_and_not1_b32 exec_lo, exec_lo, s6
	s_cbranch_execnz .LBB82_73
; %bb.74:
	s_or_b32 exec_lo, exec_lo, s6
.LBB82_75:
	s_delay_alu instid0(SALU_CYCLE_1) | instskip(SKIP_3) | instid1(VALU_DEP_1)
	s_or_b32 exec_lo, exec_lo, s1
	v_and_b32_e32 v53, 7, v105
	s_mov_b32 s2, 0
	s_mov_b32 s1, exec_lo
	v_cmpx_ne_u32_e32 0, v53
	s_cbranch_execz .LBB82_79
; %bb.76:
	v_lshl_add_u32 v54, v104, 2, 0x50
	v_mov_b32_e32 v105, 0
.LBB82_77:                              ; =>This Inner Loop Header: Depth=1
	v_cmp_eq_u32_e32 vcc_lo, 1, v104
	ds_load_b32 v56, v54
	v_dual_add_nc_u32 v53, -1, v53 :: v_dual_add_nc_u32 v54, 4, v54
	v_cndmask_b32_e32 v55, v34, v35, vcc_lo
	v_cmp_eq_u32_e32 vcc_lo, 2, v104
	s_delay_alu instid0(VALU_DEP_2) | instskip(SKIP_1) | instid1(VALU_DEP_2)
	v_cndmask_b32_e32 v55, v55, v36, vcc_lo
	v_cmp_eq_u32_e32 vcc_lo, 3, v104
	v_cndmask_b32_e32 v55, v55, v37, vcc_lo
	v_cmp_eq_u32_e32 vcc_lo, 4, v104
	s_delay_alu instid0(VALU_DEP_2) | instskip(SKIP_1) | instid1(VALU_DEP_2)
	v_cndmask_b32_e32 v55, v55, v38, vcc_lo
	v_cmp_eq_u32_e32 vcc_lo, 5, v104
	;; [unrolled: 5-line block ×8, first 2 shown]
	v_cndmask_b32_e32 v55, v55, v51, vcc_lo
	v_cmp_eq_u32_e32 vcc_lo, 18, v104
	v_add_nc_u64_e32 v[104:105], 1, v[104:105]
	s_delay_alu instid0(VALU_DEP_3) | instskip(SKIP_2) | instid1(VALU_DEP_2)
	v_cndmask_b32_e32 v55, v55, v52, vcc_lo
	v_cmp_eq_u32_e32 vcc_lo, 0, v53
	s_wait_dscnt 0x0
	v_fmac_f32_e32 v108, v55, v56
	s_or_b32 s2, vcc_lo, s2
	s_delay_alu instid0(SALU_CYCLE_1)
	s_and_not1_b32 exec_lo, exec_lo, s2
	s_cbranch_execnz .LBB82_77
; %bb.78:
	s_or_b32 exec_lo, exec_lo, s2
.LBB82_79:
	s_delay_alu instid0(SALU_CYCLE_1)
	s_or_b32 exec_lo, exec_lo, s1
.LBB82_80:
	s_delay_alu instid0(SALU_CYCLE_1)
	s_or_b32 exec_lo, exec_lo, s5
	v_mov_b32_e32 v46, 0
	ds_load_b32 v46, v46 offset:48
	s_wait_dscnt 0x0
	v_mul_f32_e32 v46, v108, v46
.LBB82_81:
	s_or_b32 exec_lo, exec_lo, s4
	v_cmp_lt_u32_e64 s1, 11, v0
	ds_store_b32 v107, v45
	s_wait_dscnt 0x0
	s_barrier_signal -1
	s_barrier_wait -1
	s_and_saveexec_b32 s4, s1
	s_cbranch_execz .LBB82_97
; %bb.82:
	s_and_not1_b32 vcc_lo, exec_lo, s19
	s_cbranch_vccnz .LBB82_84
; %bb.83:
	v_cmp_eq_u32_e32 vcc_lo, 1, v0
	ds_load_b32 v105, v107
	v_cndmask_b32_e32 v104, v34, v35, vcc_lo
	v_cmp_eq_u32_e32 vcc_lo, 2, v0
	s_delay_alu instid0(VALU_DEP_2) | instskip(SKIP_1) | instid1(VALU_DEP_2)
	v_cndmask_b32_e32 v104, v104, v36, vcc_lo
	v_cmp_eq_u32_e32 vcc_lo, 3, v0
	v_cndmask_b32_e32 v104, v104, v37, vcc_lo
	v_cmp_eq_u32_e32 vcc_lo, 4, v0
	s_delay_alu instid0(VALU_DEP_2) | instskip(SKIP_1) | instid1(VALU_DEP_2)
	v_cndmask_b32_e32 v104, v104, v38, vcc_lo
	v_cmp_eq_u32_e32 vcc_lo, 5, v0
	;; [unrolled: 5-line block ×8, first 2 shown]
	v_cndmask_b32_e32 v104, v104, v51, vcc_lo
	v_cmp_eq_u32_e32 vcc_lo, 18, v0
	s_delay_alu instid0(VALU_DEP_2) | instskip(SKIP_1) | instid1(VALU_DEP_1)
	v_cndmask_b32_e32 v104, v104, v52, vcc_lo
	s_wait_dscnt 0x0
	v_mul_f32_e32 v108, v104, v105
	s_cbranch_execz .LBB82_85
	s_branch .LBB82_86
.LBB82_84:
                                        ; implicit-def: $vgpr108
.LBB82_85:
	ds_load_b32 v108, v107
.LBB82_86:
	s_and_saveexec_b32 s5, s0
	s_cbranch_execz .LBB82_96
; %bb.87:
	v_dual_add_nc_u32 v104, -13, v0 :: v_dual_add_nc_u32 v105, -12, v0
	s_delay_alu instid0(VALU_DEP_1)
	v_cmp_lt_u32_e32 vcc_lo, 6, v104
	v_mov_b32_e32 v104, 12
	s_and_saveexec_b32 s0, vcc_lo
	s_cbranch_execz .LBB82_91
; %bb.88:
	v_and_b32_e32 v104, -8, v105
	s_mov_b32 s6, 0
	s_mov_b64 s[2:3], 19
	s_movk_i32 s7, 0x80
	s_delay_alu instid0(VALU_DEP_1)
	v_sub_nc_u32_e32 v106, 0, v104
.LBB82_89:                              ; =>This Inner Loop Header: Depth=1
	s_add_co_i32 m0, s2, -7
	v_movrels_b32_e32 v109, v34
	v_mov_b32_e32 v104, s7
	s_add_co_i32 m0, s2, -6
	s_add_co_i32 s7, s7, 32
	v_movrels_b32_e32 v118, v34
	s_add_co_i32 m0, s2, -5
	ds_load_b128 v[110:113], v104
	ds_load_b128 v[114:117], v104 offset:16
	v_movrels_b32_e32 v104, v34
	s_add_co_i32 m0, s2, -4
	s_wait_dscnt 0x1
	v_fmac_f32_e32 v108, v109, v110
	v_movrels_b32_e32 v109, v34
	s_add_co_i32 m0, s2, -3
	s_delay_alu instid0(VALU_DEP_2) | instskip(NEXT) | instid1(VALU_DEP_1)
	v_fmac_f32_e32 v108, v118, v111
	v_fmac_f32_e32 v108, v104, v112
	v_movrels_b32_e32 v104, v34
	s_add_co_i32 m0, s2, -2
	s_delay_alu instid0(VALU_DEP_2) | instskip(SKIP_3) | instid1(VALU_DEP_2)
	v_fmac_f32_e32 v108, v109, v113
	v_movrels_b32_e32 v109, v34
	s_add_co_i32 m0, s2, -1
	s_wait_dscnt 0x0
	v_fmac_f32_e32 v108, v104, v114
	v_movrels_b32_e32 v104, v34
	s_mov_b32 m0, s2
	s_add_nc_u64 s[2:3], s[2:3], 8
	v_movrels_b32_e32 v110, v34
	v_dual_fmac_f32 v108, v109, v115 :: v_dual_add_nc_u32 v109, s2, v106
	s_add_co_i32 s8, s2, -7
	s_delay_alu instid0(VALU_DEP_1) | instskip(NEXT) | instid1(VALU_DEP_2)
	v_fmac_f32_e32 v108, v104, v116
	v_cmp_eq_u32_e32 vcc_lo, 19, v109
	s_delay_alu instid0(VALU_DEP_2) | instskip(SKIP_1) | instid1(SALU_CYCLE_1)
	v_dual_mov_b32 v104, s8 :: v_dual_fmac_f32 v108, v110, v117
	s_or_b32 s6, vcc_lo, s6
	s_and_not1_b32 exec_lo, exec_lo, s6
	s_cbranch_execnz .LBB82_89
; %bb.90:
	s_or_b32 exec_lo, exec_lo, s6
.LBB82_91:
	s_delay_alu instid0(SALU_CYCLE_1) | instskip(SKIP_3) | instid1(VALU_DEP_1)
	s_or_b32 exec_lo, exec_lo, s0
	v_and_b32_e32 v53, 7, v105
	s_mov_b32 s2, 0
	s_mov_b32 s0, exec_lo
	v_cmpx_ne_u32_e32 0, v53
	s_cbranch_execz .LBB82_95
; %bb.92:
	v_lshl_add_u32 v54, v104, 2, 0x50
	v_mov_b32_e32 v105, 0
.LBB82_93:                              ; =>This Inner Loop Header: Depth=1
	v_cmp_eq_u32_e32 vcc_lo, 1, v104
	ds_load_b32 v56, v54
	v_dual_add_nc_u32 v53, -1, v53 :: v_dual_add_nc_u32 v54, 4, v54
	v_cndmask_b32_e32 v55, v34, v35, vcc_lo
	v_cmp_eq_u32_e32 vcc_lo, 2, v104
	s_delay_alu instid0(VALU_DEP_2) | instskip(SKIP_1) | instid1(VALU_DEP_2)
	v_cndmask_b32_e32 v55, v55, v36, vcc_lo
	v_cmp_eq_u32_e32 vcc_lo, 3, v104
	v_cndmask_b32_e32 v55, v55, v37, vcc_lo
	v_cmp_eq_u32_e32 vcc_lo, 4, v104
	s_delay_alu instid0(VALU_DEP_2) | instskip(SKIP_1) | instid1(VALU_DEP_2)
	v_cndmask_b32_e32 v55, v55, v38, vcc_lo
	v_cmp_eq_u32_e32 vcc_lo, 5, v104
	;; [unrolled: 5-line block ×8, first 2 shown]
	v_cndmask_b32_e32 v55, v55, v51, vcc_lo
	v_cmp_eq_u32_e32 vcc_lo, 18, v104
	v_add_nc_u64_e32 v[104:105], 1, v[104:105]
	s_delay_alu instid0(VALU_DEP_3) | instskip(SKIP_2) | instid1(VALU_DEP_2)
	v_cndmask_b32_e32 v55, v55, v52, vcc_lo
	v_cmp_eq_u32_e32 vcc_lo, 0, v53
	s_wait_dscnt 0x0
	v_fmac_f32_e32 v108, v55, v56
	s_or_b32 s2, vcc_lo, s2
	s_delay_alu instid0(SALU_CYCLE_1)
	s_and_not1_b32 exec_lo, exec_lo, s2
	s_cbranch_execnz .LBB82_93
; %bb.94:
	s_or_b32 exec_lo, exec_lo, s2
.LBB82_95:
	s_delay_alu instid0(SALU_CYCLE_1)
	s_or_b32 exec_lo, exec_lo, s0
.LBB82_96:
	s_delay_alu instid0(SALU_CYCLE_1)
	s_or_b32 exec_lo, exec_lo, s5
	v_mov_b32_e32 v45, 0
	ds_load_b32 v45, v45 offset:44
	s_wait_dscnt 0x0
	v_mul_f32_e32 v45, v108, v45
.LBB82_97:
	s_or_b32 exec_lo, exec_lo, s4
	v_cmp_lt_u32_e64 s0, 10, v0
	ds_store_b32 v107, v44
	s_wait_dscnt 0x0
	s_barrier_signal -1
	s_barrier_wait -1
	s_and_saveexec_b32 s4, s0
	s_cbranch_execz .LBB82_113
; %bb.98:
	s_and_not1_b32 vcc_lo, exec_lo, s19
	s_cbranch_vccnz .LBB82_100
; %bb.99:
	v_cmp_eq_u32_e32 vcc_lo, 1, v0
	ds_load_b32 v105, v107
	v_cndmask_b32_e32 v104, v34, v35, vcc_lo
	v_cmp_eq_u32_e32 vcc_lo, 2, v0
	s_delay_alu instid0(VALU_DEP_2) | instskip(SKIP_1) | instid1(VALU_DEP_2)
	v_cndmask_b32_e32 v104, v104, v36, vcc_lo
	v_cmp_eq_u32_e32 vcc_lo, 3, v0
	v_cndmask_b32_e32 v104, v104, v37, vcc_lo
	v_cmp_eq_u32_e32 vcc_lo, 4, v0
	s_delay_alu instid0(VALU_DEP_2) | instskip(SKIP_1) | instid1(VALU_DEP_2)
	v_cndmask_b32_e32 v104, v104, v38, vcc_lo
	v_cmp_eq_u32_e32 vcc_lo, 5, v0
	;; [unrolled: 5-line block ×8, first 2 shown]
	v_cndmask_b32_e32 v104, v104, v51, vcc_lo
	v_cmp_eq_u32_e32 vcc_lo, 18, v0
	s_delay_alu instid0(VALU_DEP_2) | instskip(SKIP_1) | instid1(VALU_DEP_1)
	v_cndmask_b32_e32 v104, v104, v52, vcc_lo
	s_wait_dscnt 0x0
	v_mul_f32_e32 v108, v104, v105
	s_cbranch_execz .LBB82_101
	s_branch .LBB82_102
.LBB82_100:
                                        ; implicit-def: $vgpr108
.LBB82_101:
	ds_load_b32 v108, v107
.LBB82_102:
	s_and_saveexec_b32 s5, s1
	s_cbranch_execz .LBB82_112
; %bb.103:
	v_dual_add_nc_u32 v104, -12, v0 :: v_dual_add_nc_u32 v105, -11, v0
	s_delay_alu instid0(VALU_DEP_1)
	v_cmp_lt_u32_e32 vcc_lo, 6, v104
	v_mov_b32_e32 v104, 11
	s_and_saveexec_b32 s1, vcc_lo
	s_cbranch_execz .LBB82_107
; %bb.104:
	v_and_b32_e32 v104, -8, v105
	s_mov_b32 s6, 0
	s_mov_b64 s[2:3], 18
	s_movk_i32 s7, 0x7c
	s_delay_alu instid0(VALU_DEP_1)
	v_sub_nc_u32_e32 v106, 0, v104
.LBB82_105:                             ; =>This Inner Loop Header: Depth=1
	s_add_co_i32 m0, s2, -7
	v_movrels_b32_e32 v109, v34
	v_mov_b32_e32 v104, s7
	s_add_co_i32 m0, s2, -6
	s_add_co_i32 s7, s7, 32
	v_movrels_b32_e32 v118, v34
	ds_load_2addr_b32 v[110:111], v104 offset1:1
	ds_load_2addr_b32 v[112:113], v104 offset0:2 offset1:3
	s_add_co_i32 m0, s2, -5
	s_wait_dscnt 0x1
	v_fmac_f32_e32 v108, v109, v110
	ds_load_2addr_b32 v[114:115], v104 offset0:4 offset1:5
	ds_load_2addr_b32 v[116:117], v104 offset0:6 offset1:7
	v_movrels_b32_e32 v104, v34
	s_add_co_i32 m0, s2, -4
	v_fmac_f32_e32 v108, v118, v111
	v_movrels_b32_e32 v109, v34
	s_add_co_i32 m0, s2, -3
	s_wait_dscnt 0x2
	s_delay_alu instid0(VALU_DEP_2) | instskip(SKIP_2) | instid1(VALU_DEP_2)
	v_fmac_f32_e32 v108, v104, v112
	v_movrels_b32_e32 v104, v34
	s_add_co_i32 m0, s2, -2
	v_fmac_f32_e32 v108, v109, v113
	v_movrels_b32_e32 v109, v34
	s_add_co_i32 m0, s2, -1
	s_wait_dscnt 0x1
	s_delay_alu instid0(VALU_DEP_2)
	v_fmac_f32_e32 v108, v104, v114
	v_movrels_b32_e32 v104, v34
	s_mov_b32 m0, s2
	s_add_nc_u64 s[2:3], s[2:3], 8
	v_movrels_b32_e32 v110, v34
	v_dual_fmac_f32 v108, v109, v115 :: v_dual_add_nc_u32 v109, s2, v106
	s_add_co_i32 s8, s2, -7
	s_wait_dscnt 0x0
	s_delay_alu instid0(VALU_DEP_1) | instskip(NEXT) | instid1(VALU_DEP_2)
	v_fmac_f32_e32 v108, v104, v116
	v_cmp_eq_u32_e32 vcc_lo, 18, v109
	s_delay_alu instid0(VALU_DEP_2) | instskip(SKIP_1) | instid1(SALU_CYCLE_1)
	v_dual_mov_b32 v104, s8 :: v_dual_fmac_f32 v108, v110, v117
	s_or_b32 s6, vcc_lo, s6
	s_and_not1_b32 exec_lo, exec_lo, s6
	s_cbranch_execnz .LBB82_105
; %bb.106:
	s_or_b32 exec_lo, exec_lo, s6
.LBB82_107:
	s_delay_alu instid0(SALU_CYCLE_1) | instskip(SKIP_3) | instid1(VALU_DEP_1)
	s_or_b32 exec_lo, exec_lo, s1
	v_and_b32_e32 v53, 7, v105
	s_mov_b32 s2, 0
	s_mov_b32 s1, exec_lo
	v_cmpx_ne_u32_e32 0, v53
	s_cbranch_execz .LBB82_111
; %bb.108:
	v_lshl_add_u32 v54, v104, 2, 0x50
	v_mov_b32_e32 v105, 0
.LBB82_109:                             ; =>This Inner Loop Header: Depth=1
	v_cmp_eq_u32_e32 vcc_lo, 1, v104
	ds_load_b32 v56, v54
	v_dual_add_nc_u32 v53, -1, v53 :: v_dual_add_nc_u32 v54, 4, v54
	v_cndmask_b32_e32 v55, v34, v35, vcc_lo
	v_cmp_eq_u32_e32 vcc_lo, 2, v104
	s_delay_alu instid0(VALU_DEP_2) | instskip(SKIP_1) | instid1(VALU_DEP_2)
	v_cndmask_b32_e32 v55, v55, v36, vcc_lo
	v_cmp_eq_u32_e32 vcc_lo, 3, v104
	v_cndmask_b32_e32 v55, v55, v37, vcc_lo
	v_cmp_eq_u32_e32 vcc_lo, 4, v104
	s_delay_alu instid0(VALU_DEP_2) | instskip(SKIP_1) | instid1(VALU_DEP_2)
	v_cndmask_b32_e32 v55, v55, v38, vcc_lo
	v_cmp_eq_u32_e32 vcc_lo, 5, v104
	;; [unrolled: 5-line block ×8, first 2 shown]
	v_cndmask_b32_e32 v55, v55, v51, vcc_lo
	v_cmp_eq_u32_e32 vcc_lo, 18, v104
	v_add_nc_u64_e32 v[104:105], 1, v[104:105]
	s_delay_alu instid0(VALU_DEP_3) | instskip(SKIP_2) | instid1(VALU_DEP_2)
	v_cndmask_b32_e32 v55, v55, v52, vcc_lo
	v_cmp_eq_u32_e32 vcc_lo, 0, v53
	s_wait_dscnt 0x0
	v_fmac_f32_e32 v108, v55, v56
	s_or_b32 s2, vcc_lo, s2
	s_delay_alu instid0(SALU_CYCLE_1)
	s_and_not1_b32 exec_lo, exec_lo, s2
	s_cbranch_execnz .LBB82_109
; %bb.110:
	s_or_b32 exec_lo, exec_lo, s2
.LBB82_111:
	s_delay_alu instid0(SALU_CYCLE_1)
	s_or_b32 exec_lo, exec_lo, s1
.LBB82_112:
	s_delay_alu instid0(SALU_CYCLE_1)
	s_or_b32 exec_lo, exec_lo, s5
	v_mov_b32_e32 v44, 0
	ds_load_b32 v44, v44 offset:40
	s_wait_dscnt 0x0
	v_mul_f32_e32 v44, v108, v44
.LBB82_113:
	s_or_b32 exec_lo, exec_lo, s4
	v_cmp_lt_u32_e64 s1, 9, v0
	ds_store_b32 v107, v43
	s_wait_dscnt 0x0
	s_barrier_signal -1
	s_barrier_wait -1
	s_and_saveexec_b32 s4, s1
	s_cbranch_execz .LBB82_129
; %bb.114:
	s_and_not1_b32 vcc_lo, exec_lo, s19
	s_cbranch_vccnz .LBB82_116
; %bb.115:
	v_cmp_eq_u32_e32 vcc_lo, 1, v0
	ds_load_b32 v105, v107
	v_cndmask_b32_e32 v104, v34, v35, vcc_lo
	v_cmp_eq_u32_e32 vcc_lo, 2, v0
	s_delay_alu instid0(VALU_DEP_2) | instskip(SKIP_1) | instid1(VALU_DEP_2)
	v_cndmask_b32_e32 v104, v104, v36, vcc_lo
	v_cmp_eq_u32_e32 vcc_lo, 3, v0
	v_cndmask_b32_e32 v104, v104, v37, vcc_lo
	v_cmp_eq_u32_e32 vcc_lo, 4, v0
	s_delay_alu instid0(VALU_DEP_2) | instskip(SKIP_1) | instid1(VALU_DEP_2)
	v_cndmask_b32_e32 v104, v104, v38, vcc_lo
	v_cmp_eq_u32_e32 vcc_lo, 5, v0
	;; [unrolled: 5-line block ×8, first 2 shown]
	v_cndmask_b32_e32 v104, v104, v51, vcc_lo
	v_cmp_eq_u32_e32 vcc_lo, 18, v0
	s_delay_alu instid0(VALU_DEP_2) | instskip(SKIP_1) | instid1(VALU_DEP_1)
	v_cndmask_b32_e32 v104, v104, v52, vcc_lo
	s_wait_dscnt 0x0
	v_mul_f32_e32 v108, v104, v105
	s_cbranch_execz .LBB82_117
	s_branch .LBB82_118
.LBB82_116:
                                        ; implicit-def: $vgpr108
.LBB82_117:
	ds_load_b32 v108, v107
.LBB82_118:
	s_and_saveexec_b32 s5, s0
	s_cbranch_execz .LBB82_128
; %bb.119:
	v_dual_add_nc_u32 v104, -11, v0 :: v_dual_add_nc_u32 v105, -10, v0
	s_delay_alu instid0(VALU_DEP_1)
	v_cmp_lt_u32_e32 vcc_lo, 6, v104
	v_mov_b32_e32 v104, 10
	s_and_saveexec_b32 s0, vcc_lo
	s_cbranch_execz .LBB82_123
; %bb.120:
	v_and_b32_e32 v104, -8, v105
	s_mov_b32 s6, 0
	s_mov_b64 s[2:3], 17
	s_movk_i32 s7, 0x78
	s_delay_alu instid0(VALU_DEP_1)
	v_sub_nc_u32_e32 v106, 0, v104
.LBB82_121:                             ; =>This Inner Loop Header: Depth=1
	s_add_co_i32 m0, s2, -7
	v_movrels_b32_e32 v109, v34
	v_mov_b32_e32 v104, s7
	s_add_co_i32 m0, s2, -6
	s_add_co_i32 s7, s7, 32
	v_movrels_b32_e32 v118, v34
	s_add_co_i32 m0, s2, -5
	ds_load_2addr_b64 v[110:113], v104 offset1:1
	ds_load_2addr_b64 v[114:117], v104 offset0:2 offset1:3
	v_movrels_b32_e32 v104, v34
	s_add_co_i32 m0, s2, -4
	s_wait_dscnt 0x1
	v_fmac_f32_e32 v108, v109, v110
	v_movrels_b32_e32 v109, v34
	s_add_co_i32 m0, s2, -3
	s_delay_alu instid0(VALU_DEP_2) | instskip(NEXT) | instid1(VALU_DEP_1)
	v_fmac_f32_e32 v108, v118, v111
	v_fmac_f32_e32 v108, v104, v112
	v_movrels_b32_e32 v104, v34
	s_add_co_i32 m0, s2, -2
	s_delay_alu instid0(VALU_DEP_2) | instskip(SKIP_3) | instid1(VALU_DEP_2)
	v_fmac_f32_e32 v108, v109, v113
	v_movrels_b32_e32 v109, v34
	s_add_co_i32 m0, s2, -1
	s_wait_dscnt 0x0
	v_fmac_f32_e32 v108, v104, v114
	v_movrels_b32_e32 v104, v34
	s_mov_b32 m0, s2
	s_add_nc_u64 s[2:3], s[2:3], 8
	v_movrels_b32_e32 v110, v34
	v_dual_fmac_f32 v108, v109, v115 :: v_dual_add_nc_u32 v109, s2, v106
	s_add_co_i32 s8, s2, -7
	s_delay_alu instid0(VALU_DEP_1) | instskip(NEXT) | instid1(VALU_DEP_2)
	v_fmac_f32_e32 v108, v104, v116
	v_cmp_eq_u32_e32 vcc_lo, 17, v109
	s_delay_alu instid0(VALU_DEP_2) | instskip(SKIP_1) | instid1(SALU_CYCLE_1)
	v_dual_mov_b32 v104, s8 :: v_dual_fmac_f32 v108, v110, v117
	s_or_b32 s6, vcc_lo, s6
	s_and_not1_b32 exec_lo, exec_lo, s6
	s_cbranch_execnz .LBB82_121
; %bb.122:
	s_or_b32 exec_lo, exec_lo, s6
.LBB82_123:
	s_delay_alu instid0(SALU_CYCLE_1) | instskip(SKIP_3) | instid1(VALU_DEP_1)
	s_or_b32 exec_lo, exec_lo, s0
	v_and_b32_e32 v53, 7, v105
	s_mov_b32 s2, 0
	s_mov_b32 s0, exec_lo
	v_cmpx_ne_u32_e32 0, v53
	s_cbranch_execz .LBB82_127
; %bb.124:
	v_lshl_add_u32 v54, v104, 2, 0x50
	v_mov_b32_e32 v105, 0
.LBB82_125:                             ; =>This Inner Loop Header: Depth=1
	v_cmp_eq_u32_e32 vcc_lo, 1, v104
	ds_load_b32 v56, v54
	v_dual_add_nc_u32 v53, -1, v53 :: v_dual_add_nc_u32 v54, 4, v54
	v_cndmask_b32_e32 v55, v34, v35, vcc_lo
	v_cmp_eq_u32_e32 vcc_lo, 2, v104
	s_delay_alu instid0(VALU_DEP_2) | instskip(SKIP_1) | instid1(VALU_DEP_2)
	v_cndmask_b32_e32 v55, v55, v36, vcc_lo
	v_cmp_eq_u32_e32 vcc_lo, 3, v104
	v_cndmask_b32_e32 v55, v55, v37, vcc_lo
	v_cmp_eq_u32_e32 vcc_lo, 4, v104
	s_delay_alu instid0(VALU_DEP_2) | instskip(SKIP_1) | instid1(VALU_DEP_2)
	v_cndmask_b32_e32 v55, v55, v38, vcc_lo
	v_cmp_eq_u32_e32 vcc_lo, 5, v104
	;; [unrolled: 5-line block ×8, first 2 shown]
	v_cndmask_b32_e32 v55, v55, v51, vcc_lo
	v_cmp_eq_u32_e32 vcc_lo, 18, v104
	v_add_nc_u64_e32 v[104:105], 1, v[104:105]
	s_delay_alu instid0(VALU_DEP_3) | instskip(SKIP_2) | instid1(VALU_DEP_2)
	v_cndmask_b32_e32 v55, v55, v52, vcc_lo
	v_cmp_eq_u32_e32 vcc_lo, 0, v53
	s_wait_dscnt 0x0
	v_fmac_f32_e32 v108, v55, v56
	s_or_b32 s2, vcc_lo, s2
	s_delay_alu instid0(SALU_CYCLE_1)
	s_and_not1_b32 exec_lo, exec_lo, s2
	s_cbranch_execnz .LBB82_125
; %bb.126:
	s_or_b32 exec_lo, exec_lo, s2
.LBB82_127:
	s_delay_alu instid0(SALU_CYCLE_1)
	s_or_b32 exec_lo, exec_lo, s0
.LBB82_128:
	s_delay_alu instid0(SALU_CYCLE_1)
	s_or_b32 exec_lo, exec_lo, s5
	v_mov_b32_e32 v43, 0
	ds_load_b32 v43, v43 offset:36
	s_wait_dscnt 0x0
	v_mul_f32_e32 v43, v108, v43
.LBB82_129:
	s_or_b32 exec_lo, exec_lo, s4
	v_cmp_lt_u32_e64 s0, 8, v0
	ds_store_b32 v107, v42
	s_wait_dscnt 0x0
	s_barrier_signal -1
	s_barrier_wait -1
	s_and_saveexec_b32 s4, s0
	s_cbranch_execz .LBB82_145
; %bb.130:
	s_and_not1_b32 vcc_lo, exec_lo, s19
	s_cbranch_vccnz .LBB82_132
; %bb.131:
	v_cmp_eq_u32_e32 vcc_lo, 1, v0
	ds_load_b32 v105, v107
	v_cndmask_b32_e32 v104, v34, v35, vcc_lo
	v_cmp_eq_u32_e32 vcc_lo, 2, v0
	s_delay_alu instid0(VALU_DEP_2) | instskip(SKIP_1) | instid1(VALU_DEP_2)
	v_cndmask_b32_e32 v104, v104, v36, vcc_lo
	v_cmp_eq_u32_e32 vcc_lo, 3, v0
	v_cndmask_b32_e32 v104, v104, v37, vcc_lo
	v_cmp_eq_u32_e32 vcc_lo, 4, v0
	s_delay_alu instid0(VALU_DEP_2) | instskip(SKIP_1) | instid1(VALU_DEP_2)
	v_cndmask_b32_e32 v104, v104, v38, vcc_lo
	v_cmp_eq_u32_e32 vcc_lo, 5, v0
	;; [unrolled: 5-line block ×8, first 2 shown]
	v_cndmask_b32_e32 v104, v104, v51, vcc_lo
	v_cmp_eq_u32_e32 vcc_lo, 18, v0
	s_delay_alu instid0(VALU_DEP_2) | instskip(SKIP_1) | instid1(VALU_DEP_1)
	v_cndmask_b32_e32 v104, v104, v52, vcc_lo
	s_wait_dscnt 0x0
	v_mul_f32_e32 v108, v104, v105
	s_cbranch_execz .LBB82_133
	s_branch .LBB82_134
.LBB82_132:
                                        ; implicit-def: $vgpr108
.LBB82_133:
	ds_load_b32 v108, v107
.LBB82_134:
	s_and_saveexec_b32 s5, s1
	s_cbranch_execz .LBB82_144
; %bb.135:
	v_dual_add_nc_u32 v104, -10, v0 :: v_dual_add_nc_u32 v105, -9, v0
	s_delay_alu instid0(VALU_DEP_1)
	v_cmp_lt_u32_e32 vcc_lo, 6, v104
	v_mov_b32_e32 v104, 9
	s_and_saveexec_b32 s1, vcc_lo
	s_cbranch_execz .LBB82_139
; %bb.136:
	v_and_b32_e32 v104, -8, v105
	s_mov_b32 s6, 0
	s_mov_b64 s[2:3], 16
	s_movk_i32 s7, 0x74
	s_delay_alu instid0(VALU_DEP_1)
	v_sub_nc_u32_e32 v106, 0, v104
.LBB82_137:                             ; =>This Inner Loop Header: Depth=1
	s_add_co_i32 m0, s2, -7
	v_movrels_b32_e32 v109, v34
	v_mov_b32_e32 v104, s7
	s_add_co_i32 m0, s2, -6
	s_add_co_i32 s7, s7, 32
	v_movrels_b32_e32 v118, v34
	ds_load_2addr_b32 v[110:111], v104 offset1:1
	ds_load_2addr_b32 v[112:113], v104 offset0:2 offset1:3
	s_add_co_i32 m0, s2, -5
	s_wait_dscnt 0x1
	v_fmac_f32_e32 v108, v109, v110
	ds_load_2addr_b32 v[114:115], v104 offset0:4 offset1:5
	ds_load_2addr_b32 v[116:117], v104 offset0:6 offset1:7
	v_movrels_b32_e32 v104, v34
	s_add_co_i32 m0, s2, -4
	v_fmac_f32_e32 v108, v118, v111
	v_movrels_b32_e32 v109, v34
	s_add_co_i32 m0, s2, -3
	s_wait_dscnt 0x2
	s_delay_alu instid0(VALU_DEP_2) | instskip(SKIP_2) | instid1(VALU_DEP_2)
	v_fmac_f32_e32 v108, v104, v112
	v_movrels_b32_e32 v104, v34
	s_add_co_i32 m0, s2, -2
	v_fmac_f32_e32 v108, v109, v113
	v_movrels_b32_e32 v109, v34
	s_add_co_i32 m0, s2, -1
	s_wait_dscnt 0x1
	s_delay_alu instid0(VALU_DEP_2)
	v_fmac_f32_e32 v108, v104, v114
	v_movrels_b32_e32 v104, v34
	s_mov_b32 m0, s2
	s_add_nc_u64 s[2:3], s[2:3], 8
	v_movrels_b32_e32 v110, v34
	v_dual_fmac_f32 v108, v109, v115 :: v_dual_add_nc_u32 v109, s2, v106
	s_add_co_i32 s8, s2, -7
	s_wait_dscnt 0x0
	s_delay_alu instid0(VALU_DEP_1) | instskip(NEXT) | instid1(VALU_DEP_2)
	v_fmac_f32_e32 v108, v104, v116
	v_cmp_eq_u32_e32 vcc_lo, 16, v109
	s_delay_alu instid0(VALU_DEP_2) | instskip(SKIP_1) | instid1(SALU_CYCLE_1)
	v_dual_mov_b32 v104, s8 :: v_dual_fmac_f32 v108, v110, v117
	s_or_b32 s6, vcc_lo, s6
	s_and_not1_b32 exec_lo, exec_lo, s6
	s_cbranch_execnz .LBB82_137
; %bb.138:
	s_or_b32 exec_lo, exec_lo, s6
.LBB82_139:
	s_delay_alu instid0(SALU_CYCLE_1) | instskip(SKIP_3) | instid1(VALU_DEP_1)
	s_or_b32 exec_lo, exec_lo, s1
	v_and_b32_e32 v53, 7, v105
	s_mov_b32 s2, 0
	s_mov_b32 s1, exec_lo
	v_cmpx_ne_u32_e32 0, v53
	s_cbranch_execz .LBB82_143
; %bb.140:
	v_lshl_add_u32 v54, v104, 2, 0x50
	v_mov_b32_e32 v105, 0
.LBB82_141:                             ; =>This Inner Loop Header: Depth=1
	v_cmp_eq_u32_e32 vcc_lo, 1, v104
	ds_load_b32 v56, v54
	v_dual_add_nc_u32 v53, -1, v53 :: v_dual_add_nc_u32 v54, 4, v54
	v_cndmask_b32_e32 v55, v34, v35, vcc_lo
	v_cmp_eq_u32_e32 vcc_lo, 2, v104
	s_delay_alu instid0(VALU_DEP_2) | instskip(SKIP_1) | instid1(VALU_DEP_2)
	v_cndmask_b32_e32 v55, v55, v36, vcc_lo
	v_cmp_eq_u32_e32 vcc_lo, 3, v104
	v_cndmask_b32_e32 v55, v55, v37, vcc_lo
	v_cmp_eq_u32_e32 vcc_lo, 4, v104
	s_delay_alu instid0(VALU_DEP_2) | instskip(SKIP_1) | instid1(VALU_DEP_2)
	v_cndmask_b32_e32 v55, v55, v38, vcc_lo
	v_cmp_eq_u32_e32 vcc_lo, 5, v104
	;; [unrolled: 5-line block ×8, first 2 shown]
	v_cndmask_b32_e32 v55, v55, v51, vcc_lo
	v_cmp_eq_u32_e32 vcc_lo, 18, v104
	v_add_nc_u64_e32 v[104:105], 1, v[104:105]
	s_delay_alu instid0(VALU_DEP_3) | instskip(SKIP_2) | instid1(VALU_DEP_2)
	v_cndmask_b32_e32 v55, v55, v52, vcc_lo
	v_cmp_eq_u32_e32 vcc_lo, 0, v53
	s_wait_dscnt 0x0
	v_fmac_f32_e32 v108, v55, v56
	s_or_b32 s2, vcc_lo, s2
	s_delay_alu instid0(SALU_CYCLE_1)
	s_and_not1_b32 exec_lo, exec_lo, s2
	s_cbranch_execnz .LBB82_141
; %bb.142:
	s_or_b32 exec_lo, exec_lo, s2
.LBB82_143:
	s_delay_alu instid0(SALU_CYCLE_1)
	s_or_b32 exec_lo, exec_lo, s1
.LBB82_144:
	s_delay_alu instid0(SALU_CYCLE_1)
	s_or_b32 exec_lo, exec_lo, s5
	v_mov_b32_e32 v42, 0
	ds_load_b32 v42, v42 offset:32
	s_wait_dscnt 0x0
	v_mul_f32_e32 v42, v108, v42
.LBB82_145:
	s_or_b32 exec_lo, exec_lo, s4
	v_cmp_lt_u32_e64 s1, 7, v0
	ds_store_b32 v107, v41
	s_wait_dscnt 0x0
	s_barrier_signal -1
	s_barrier_wait -1
	s_and_saveexec_b32 s4, s1
	s_cbranch_execz .LBB82_161
; %bb.146:
	s_and_not1_b32 vcc_lo, exec_lo, s19
	s_cbranch_vccnz .LBB82_148
; %bb.147:
	v_cmp_eq_u32_e32 vcc_lo, 1, v0
	ds_load_b32 v105, v107
	v_cndmask_b32_e32 v104, v34, v35, vcc_lo
	v_cmp_eq_u32_e32 vcc_lo, 2, v0
	s_delay_alu instid0(VALU_DEP_2) | instskip(SKIP_1) | instid1(VALU_DEP_2)
	v_cndmask_b32_e32 v104, v104, v36, vcc_lo
	v_cmp_eq_u32_e32 vcc_lo, 3, v0
	v_cndmask_b32_e32 v104, v104, v37, vcc_lo
	v_cmp_eq_u32_e32 vcc_lo, 4, v0
	s_delay_alu instid0(VALU_DEP_2) | instskip(SKIP_1) | instid1(VALU_DEP_2)
	v_cndmask_b32_e32 v104, v104, v38, vcc_lo
	v_cmp_eq_u32_e32 vcc_lo, 5, v0
	;; [unrolled: 5-line block ×8, first 2 shown]
	v_cndmask_b32_e32 v104, v104, v51, vcc_lo
	v_cmp_eq_u32_e32 vcc_lo, 18, v0
	s_delay_alu instid0(VALU_DEP_2) | instskip(SKIP_1) | instid1(VALU_DEP_1)
	v_cndmask_b32_e32 v104, v104, v52, vcc_lo
	s_wait_dscnt 0x0
	v_mul_f32_e32 v108, v104, v105
	s_cbranch_execz .LBB82_149
	s_branch .LBB82_150
.LBB82_148:
                                        ; implicit-def: $vgpr108
.LBB82_149:
	ds_load_b32 v108, v107
.LBB82_150:
	s_and_saveexec_b32 s5, s0
	s_cbranch_execz .LBB82_160
; %bb.151:
	v_add_nc_u32_e32 v104, -9, v0
	s_delay_alu instid0(VALU_DEP_1)
	v_cmp_lt_u32_e32 vcc_lo, 6, v104
	v_mov_b32_e32 v104, 8
	s_and_saveexec_b32 s0, vcc_lo
	s_cbranch_execz .LBB82_155
; %bb.152:
	v_and_b32_e32 v104, 24, v0
	s_mov_b32 s6, 0
	s_mov_b64 s[2:3], 15
	s_movk_i32 s7, 0x70
	s_delay_alu instid0(VALU_DEP_1)
	v_sub_nc_u32_e32 v106, 0, v104
.LBB82_153:                             ; =>This Inner Loop Header: Depth=1
	s_add_co_i32 m0, s2, -7
	v_movrels_b32_e32 v105, v34
	v_mov_b32_e32 v104, s7
	s_add_co_i32 m0, s2, -6
	s_add_co_i32 s7, s7, 32
	v_movrels_b32_e32 v109, v34
	s_add_co_i32 m0, s2, -5
	ds_load_b128 v[110:113], v104
	ds_load_b128 v[114:117], v104 offset:16
	v_movrels_b32_e32 v104, v34
	s_add_co_i32 m0, s2, -4
	s_wait_dscnt 0x1
	v_fmac_f32_e32 v108, v105, v110
	v_movrels_b32_e32 v105, v34
	s_add_co_i32 m0, s2, -3
	s_delay_alu instid0(VALU_DEP_2) | instskip(NEXT) | instid1(VALU_DEP_1)
	v_fmac_f32_e32 v108, v109, v111
	v_fmac_f32_e32 v108, v104, v112
	v_movrels_b32_e32 v104, v34
	s_add_co_i32 m0, s2, -2
	s_delay_alu instid0(VALU_DEP_2) | instskip(SKIP_3) | instid1(VALU_DEP_2)
	v_fmac_f32_e32 v108, v105, v113
	v_movrels_b32_e32 v105, v34
	s_add_co_i32 m0, s2, -1
	s_wait_dscnt 0x0
	v_fmac_f32_e32 v108, v104, v114
	v_movrels_b32_e32 v104, v34
	s_mov_b32 m0, s2
	s_add_nc_u64 s[2:3], s[2:3], 8
	v_movrels_b32_e32 v109, v34
	v_dual_fmac_f32 v108, v105, v115 :: v_dual_add_nc_u32 v105, s2, v106
	s_add_co_i32 s8, s2, -7
	s_delay_alu instid0(VALU_DEP_1) | instskip(NEXT) | instid1(VALU_DEP_2)
	v_fmac_f32_e32 v108, v104, v116
	v_cmp_eq_u32_e32 vcc_lo, 7, v105
	s_delay_alu instid0(VALU_DEP_2) | instskip(SKIP_1) | instid1(SALU_CYCLE_1)
	v_dual_mov_b32 v104, s8 :: v_dual_fmac_f32 v108, v109, v117
	s_or_b32 s6, vcc_lo, s6
	s_and_not1_b32 exec_lo, exec_lo, s6
	s_cbranch_execnz .LBB82_153
; %bb.154:
	s_or_b32 exec_lo, exec_lo, s6
.LBB82_155:
	s_delay_alu instid0(SALU_CYCLE_1) | instskip(SKIP_3) | instid1(VALU_DEP_1)
	s_or_b32 exec_lo, exec_lo, s0
	v_and_b32_e32 v53, 7, v0
	s_mov_b32 s2, 0
	s_mov_b32 s0, exec_lo
	v_cmpx_ne_u32_e32 0, v53
	s_cbranch_execz .LBB82_159
; %bb.156:
	v_lshl_add_u32 v54, v104, 2, 0x50
	v_mov_b32_e32 v105, 0
.LBB82_157:                             ; =>This Inner Loop Header: Depth=1
	v_cmp_eq_u32_e32 vcc_lo, 1, v104
	ds_load_b32 v56, v54
	v_dual_add_nc_u32 v53, -1, v53 :: v_dual_add_nc_u32 v54, 4, v54
	v_cndmask_b32_e32 v55, v34, v35, vcc_lo
	v_cmp_eq_u32_e32 vcc_lo, 2, v104
	s_delay_alu instid0(VALU_DEP_2) | instskip(SKIP_1) | instid1(VALU_DEP_2)
	v_cndmask_b32_e32 v55, v55, v36, vcc_lo
	v_cmp_eq_u32_e32 vcc_lo, 3, v104
	v_cndmask_b32_e32 v55, v55, v37, vcc_lo
	v_cmp_eq_u32_e32 vcc_lo, 4, v104
	s_delay_alu instid0(VALU_DEP_2) | instskip(SKIP_1) | instid1(VALU_DEP_2)
	v_cndmask_b32_e32 v55, v55, v38, vcc_lo
	v_cmp_eq_u32_e32 vcc_lo, 5, v104
	;; [unrolled: 5-line block ×8, first 2 shown]
	v_cndmask_b32_e32 v55, v55, v51, vcc_lo
	v_cmp_eq_u32_e32 vcc_lo, 18, v104
	v_add_nc_u64_e32 v[104:105], 1, v[104:105]
	s_delay_alu instid0(VALU_DEP_3) | instskip(SKIP_2) | instid1(VALU_DEP_2)
	v_cndmask_b32_e32 v55, v55, v52, vcc_lo
	v_cmp_eq_u32_e32 vcc_lo, 0, v53
	s_wait_dscnt 0x0
	v_fmac_f32_e32 v108, v55, v56
	s_or_b32 s2, vcc_lo, s2
	s_delay_alu instid0(SALU_CYCLE_1)
	s_and_not1_b32 exec_lo, exec_lo, s2
	s_cbranch_execnz .LBB82_157
; %bb.158:
	s_or_b32 exec_lo, exec_lo, s2
.LBB82_159:
	s_delay_alu instid0(SALU_CYCLE_1)
	s_or_b32 exec_lo, exec_lo, s0
.LBB82_160:
	s_delay_alu instid0(SALU_CYCLE_1)
	s_or_b32 exec_lo, exec_lo, s5
	v_mov_b32_e32 v41, 0
	ds_load_b32 v41, v41 offset:28
	s_wait_dscnt 0x0
	v_mul_f32_e32 v41, v108, v41
.LBB82_161:
	s_or_b32 exec_lo, exec_lo, s4
	v_cmp_lt_u32_e64 s0, 6, v0
	ds_store_b32 v107, v40
	s_wait_dscnt 0x0
	s_barrier_signal -1
	s_barrier_wait -1
	s_and_saveexec_b32 s4, s0
	s_cbranch_execz .LBB82_177
; %bb.162:
	s_and_not1_b32 vcc_lo, exec_lo, s19
	s_cbranch_vccnz .LBB82_164
; %bb.163:
	v_cmp_eq_u32_e32 vcc_lo, 1, v0
	ds_load_b32 v105, v107
	v_cndmask_b32_e32 v104, v34, v35, vcc_lo
	v_cmp_eq_u32_e32 vcc_lo, 2, v0
	s_delay_alu instid0(VALU_DEP_2) | instskip(SKIP_1) | instid1(VALU_DEP_2)
	v_cndmask_b32_e32 v104, v104, v36, vcc_lo
	v_cmp_eq_u32_e32 vcc_lo, 3, v0
	v_cndmask_b32_e32 v104, v104, v37, vcc_lo
	v_cmp_eq_u32_e32 vcc_lo, 4, v0
	s_delay_alu instid0(VALU_DEP_2) | instskip(SKIP_1) | instid1(VALU_DEP_2)
	v_cndmask_b32_e32 v104, v104, v38, vcc_lo
	v_cmp_eq_u32_e32 vcc_lo, 5, v0
	;; [unrolled: 5-line block ×8, first 2 shown]
	v_cndmask_b32_e32 v104, v104, v51, vcc_lo
	v_cmp_eq_u32_e32 vcc_lo, 18, v0
	s_delay_alu instid0(VALU_DEP_2) | instskip(SKIP_1) | instid1(VALU_DEP_1)
	v_cndmask_b32_e32 v104, v104, v52, vcc_lo
	s_wait_dscnt 0x0
	v_mul_f32_e32 v108, v104, v105
	s_cbranch_execz .LBB82_165
	s_branch .LBB82_166
.LBB82_164:
                                        ; implicit-def: $vgpr108
.LBB82_165:
	ds_load_b32 v108, v107
.LBB82_166:
	s_and_saveexec_b32 s5, s1
	s_cbranch_execz .LBB82_176
; %bb.167:
	v_dual_add_nc_u32 v104, -8, v0 :: v_dual_add_nc_u32 v105, -7, v0
	s_delay_alu instid0(VALU_DEP_1)
	v_cmp_lt_u32_e32 vcc_lo, 6, v104
	v_mov_b32_e32 v104, 7
	s_and_saveexec_b32 s1, vcc_lo
	s_cbranch_execz .LBB82_171
; %bb.168:
	v_and_b32_e32 v104, -8, v105
	s_mov_b32 s6, 0
	s_mov_b64 s[2:3], 14
	s_movk_i32 s7, 0x6c
	s_delay_alu instid0(VALU_DEP_1)
	v_sub_nc_u32_e32 v106, 0, v104
.LBB82_169:                             ; =>This Inner Loop Header: Depth=1
	s_add_co_i32 m0, s2, -7
	v_movrels_b32_e32 v109, v34
	v_mov_b32_e32 v104, s7
	s_add_co_i32 m0, s2, -6
	s_add_co_i32 s7, s7, 32
	v_movrels_b32_e32 v118, v34
	ds_load_2addr_b32 v[110:111], v104 offset1:1
	ds_load_2addr_b32 v[112:113], v104 offset0:2 offset1:3
	s_add_co_i32 m0, s2, -5
	s_wait_dscnt 0x1
	v_fmac_f32_e32 v108, v109, v110
	ds_load_2addr_b32 v[114:115], v104 offset0:4 offset1:5
	ds_load_2addr_b32 v[116:117], v104 offset0:6 offset1:7
	v_movrels_b32_e32 v104, v34
	s_add_co_i32 m0, s2, -4
	v_fmac_f32_e32 v108, v118, v111
	v_movrels_b32_e32 v109, v34
	s_add_co_i32 m0, s2, -3
	s_wait_dscnt 0x2
	s_delay_alu instid0(VALU_DEP_2) | instskip(SKIP_2) | instid1(VALU_DEP_2)
	v_fmac_f32_e32 v108, v104, v112
	v_movrels_b32_e32 v104, v34
	s_add_co_i32 m0, s2, -2
	v_fmac_f32_e32 v108, v109, v113
	v_movrels_b32_e32 v109, v34
	s_add_co_i32 m0, s2, -1
	s_wait_dscnt 0x1
	s_delay_alu instid0(VALU_DEP_2)
	v_fmac_f32_e32 v108, v104, v114
	v_movrels_b32_e32 v104, v34
	s_mov_b32 m0, s2
	s_add_nc_u64 s[2:3], s[2:3], 8
	v_movrels_b32_e32 v110, v34
	v_dual_fmac_f32 v108, v109, v115 :: v_dual_add_nc_u32 v109, s2, v106
	s_add_co_i32 s8, s2, -7
	s_wait_dscnt 0x0
	s_delay_alu instid0(VALU_DEP_1) | instskip(NEXT) | instid1(VALU_DEP_2)
	v_fmac_f32_e32 v108, v104, v116
	v_cmp_eq_u32_e32 vcc_lo, 14, v109
	s_delay_alu instid0(VALU_DEP_2) | instskip(SKIP_1) | instid1(SALU_CYCLE_1)
	v_dual_mov_b32 v104, s8 :: v_dual_fmac_f32 v108, v110, v117
	s_or_b32 s6, vcc_lo, s6
	s_and_not1_b32 exec_lo, exec_lo, s6
	s_cbranch_execnz .LBB82_169
; %bb.170:
	s_or_b32 exec_lo, exec_lo, s6
.LBB82_171:
	s_delay_alu instid0(SALU_CYCLE_1) | instskip(SKIP_3) | instid1(VALU_DEP_1)
	s_or_b32 exec_lo, exec_lo, s1
	v_and_b32_e32 v53, 7, v105
	s_mov_b32 s2, 0
	s_mov_b32 s1, exec_lo
	v_cmpx_ne_u32_e32 0, v53
	s_cbranch_execz .LBB82_175
; %bb.172:
	v_lshl_add_u32 v54, v104, 2, 0x50
	v_mov_b32_e32 v105, 0
.LBB82_173:                             ; =>This Inner Loop Header: Depth=1
	v_cmp_eq_u32_e32 vcc_lo, 1, v104
	ds_load_b32 v56, v54
	v_dual_add_nc_u32 v53, -1, v53 :: v_dual_add_nc_u32 v54, 4, v54
	v_cndmask_b32_e32 v55, v34, v35, vcc_lo
	v_cmp_eq_u32_e32 vcc_lo, 2, v104
	s_delay_alu instid0(VALU_DEP_2) | instskip(SKIP_1) | instid1(VALU_DEP_2)
	v_cndmask_b32_e32 v55, v55, v36, vcc_lo
	v_cmp_eq_u32_e32 vcc_lo, 3, v104
	v_cndmask_b32_e32 v55, v55, v37, vcc_lo
	v_cmp_eq_u32_e32 vcc_lo, 4, v104
	s_delay_alu instid0(VALU_DEP_2) | instskip(SKIP_1) | instid1(VALU_DEP_2)
	v_cndmask_b32_e32 v55, v55, v38, vcc_lo
	v_cmp_eq_u32_e32 vcc_lo, 5, v104
	;; [unrolled: 5-line block ×8, first 2 shown]
	v_cndmask_b32_e32 v55, v55, v51, vcc_lo
	v_cmp_eq_u32_e32 vcc_lo, 18, v104
	v_add_nc_u64_e32 v[104:105], 1, v[104:105]
	s_delay_alu instid0(VALU_DEP_3) | instskip(SKIP_2) | instid1(VALU_DEP_2)
	v_cndmask_b32_e32 v55, v55, v52, vcc_lo
	v_cmp_eq_u32_e32 vcc_lo, 0, v53
	s_wait_dscnt 0x0
	v_fmac_f32_e32 v108, v55, v56
	s_or_b32 s2, vcc_lo, s2
	s_delay_alu instid0(SALU_CYCLE_1)
	s_and_not1_b32 exec_lo, exec_lo, s2
	s_cbranch_execnz .LBB82_173
; %bb.174:
	s_or_b32 exec_lo, exec_lo, s2
.LBB82_175:
	s_delay_alu instid0(SALU_CYCLE_1)
	s_or_b32 exec_lo, exec_lo, s1
.LBB82_176:
	s_delay_alu instid0(SALU_CYCLE_1)
	s_or_b32 exec_lo, exec_lo, s5
	v_mov_b32_e32 v40, 0
	ds_load_b32 v40, v40 offset:24
	s_wait_dscnt 0x0
	v_mul_f32_e32 v40, v108, v40
.LBB82_177:
	s_or_b32 exec_lo, exec_lo, s4
	v_cmp_lt_u32_e64 s1, 5, v0
	ds_store_b32 v107, v39
	s_wait_dscnt 0x0
	s_barrier_signal -1
	s_barrier_wait -1
	s_and_saveexec_b32 s4, s1
	s_cbranch_execz .LBB82_193
; %bb.178:
	s_and_not1_b32 vcc_lo, exec_lo, s19
	s_cbranch_vccnz .LBB82_180
; %bb.179:
	v_cmp_eq_u32_e32 vcc_lo, 1, v0
	ds_load_b32 v105, v107
	v_cndmask_b32_e32 v104, v34, v35, vcc_lo
	v_cmp_eq_u32_e32 vcc_lo, 2, v0
	s_delay_alu instid0(VALU_DEP_2) | instskip(SKIP_1) | instid1(VALU_DEP_2)
	v_cndmask_b32_e32 v104, v104, v36, vcc_lo
	v_cmp_eq_u32_e32 vcc_lo, 3, v0
	v_cndmask_b32_e32 v104, v104, v37, vcc_lo
	v_cmp_eq_u32_e32 vcc_lo, 4, v0
	s_delay_alu instid0(VALU_DEP_2) | instskip(SKIP_1) | instid1(VALU_DEP_2)
	v_cndmask_b32_e32 v104, v104, v38, vcc_lo
	v_cmp_eq_u32_e32 vcc_lo, 5, v0
	;; [unrolled: 5-line block ×8, first 2 shown]
	v_cndmask_b32_e32 v104, v104, v51, vcc_lo
	v_cmp_eq_u32_e32 vcc_lo, 18, v0
	s_delay_alu instid0(VALU_DEP_2) | instskip(SKIP_1) | instid1(VALU_DEP_1)
	v_cndmask_b32_e32 v104, v104, v52, vcc_lo
	s_wait_dscnt 0x0
	v_mul_f32_e32 v108, v104, v105
	s_cbranch_execz .LBB82_181
	s_branch .LBB82_182
.LBB82_180:
                                        ; implicit-def: $vgpr108
.LBB82_181:
	ds_load_b32 v108, v107
.LBB82_182:
	s_and_saveexec_b32 s5, s0
	s_cbranch_execz .LBB82_192
; %bb.183:
	v_dual_add_nc_u32 v106, -7, v0 :: v_dual_add_nc_u32 v105, -6, v0
	v_mov_b32_e32 v104, 6
	s_mov_b32 s0, exec_lo
	s_delay_alu instid0(VALU_DEP_2)
	v_cmpx_lt_u32_e32 6, v106
	s_cbranch_execz .LBB82_187
; %bb.184:
	v_and_b32_e32 v104, -8, v105
	s_mov_b32 s6, 0
	s_mov_b64 s[2:3], 13
	s_movk_i32 s7, 0x68
	s_delay_alu instid0(VALU_DEP_1)
	v_sub_nc_u32_e32 v106, 0, v104
.LBB82_185:                             ; =>This Inner Loop Header: Depth=1
	s_add_co_i32 m0, s2, -7
	v_movrels_b32_e32 v109, v34
	v_mov_b32_e32 v104, s7
	s_add_co_i32 m0, s2, -6
	s_add_co_i32 s7, s7, 32
	v_movrels_b32_e32 v118, v34
	s_add_co_i32 m0, s2, -5
	ds_load_2addr_b64 v[110:113], v104 offset1:1
	ds_load_2addr_b64 v[114:117], v104 offset0:2 offset1:3
	v_movrels_b32_e32 v104, v34
	s_add_co_i32 m0, s2, -4
	s_wait_dscnt 0x1
	v_fmac_f32_e32 v108, v109, v110
	v_movrels_b32_e32 v109, v34
	s_add_co_i32 m0, s2, -3
	s_delay_alu instid0(VALU_DEP_2) | instskip(NEXT) | instid1(VALU_DEP_1)
	v_fmac_f32_e32 v108, v118, v111
	v_fmac_f32_e32 v108, v104, v112
	v_movrels_b32_e32 v104, v34
	s_add_co_i32 m0, s2, -2
	s_delay_alu instid0(VALU_DEP_2) | instskip(SKIP_3) | instid1(VALU_DEP_2)
	v_fmac_f32_e32 v108, v109, v113
	v_movrels_b32_e32 v109, v34
	s_add_co_i32 m0, s2, -1
	s_wait_dscnt 0x0
	v_fmac_f32_e32 v108, v104, v114
	v_movrels_b32_e32 v104, v34
	s_mov_b32 m0, s2
	s_add_nc_u64 s[2:3], s[2:3], 8
	v_movrels_b32_e32 v110, v34
	v_dual_fmac_f32 v108, v109, v115 :: v_dual_add_nc_u32 v109, s2, v106
	s_add_co_i32 s8, s2, -7
	s_delay_alu instid0(VALU_DEP_1) | instskip(NEXT) | instid1(VALU_DEP_2)
	v_fmac_f32_e32 v108, v104, v116
	v_cmp_eq_u32_e32 vcc_lo, 13, v109
	s_delay_alu instid0(VALU_DEP_2) | instskip(SKIP_1) | instid1(SALU_CYCLE_1)
	v_dual_mov_b32 v104, s8 :: v_dual_fmac_f32 v108, v110, v117
	s_or_b32 s6, vcc_lo, s6
	s_and_not1_b32 exec_lo, exec_lo, s6
	s_cbranch_execnz .LBB82_185
; %bb.186:
	s_or_b32 exec_lo, exec_lo, s6
.LBB82_187:
	s_delay_alu instid0(SALU_CYCLE_1) | instskip(SKIP_3) | instid1(VALU_DEP_1)
	s_or_b32 exec_lo, exec_lo, s0
	v_and_b32_e32 v53, 7, v105
	s_mov_b32 s2, 0
	s_mov_b32 s0, exec_lo
	v_cmpx_ne_u32_e32 0, v53
	s_cbranch_execz .LBB82_191
; %bb.188:
	v_lshl_add_u32 v54, v104, 2, 0x50
	v_mov_b32_e32 v105, 0
.LBB82_189:                             ; =>This Inner Loop Header: Depth=1
	v_cmp_eq_u32_e32 vcc_lo, 1, v104
	ds_load_b32 v56, v54
	v_dual_add_nc_u32 v53, -1, v53 :: v_dual_add_nc_u32 v54, 4, v54
	v_cndmask_b32_e32 v55, v34, v35, vcc_lo
	v_cmp_eq_u32_e32 vcc_lo, 2, v104
	s_delay_alu instid0(VALU_DEP_2) | instskip(SKIP_1) | instid1(VALU_DEP_2)
	v_cndmask_b32_e32 v55, v55, v36, vcc_lo
	v_cmp_eq_u32_e32 vcc_lo, 3, v104
	v_cndmask_b32_e32 v55, v55, v37, vcc_lo
	v_cmp_eq_u32_e32 vcc_lo, 4, v104
	s_delay_alu instid0(VALU_DEP_2) | instskip(SKIP_1) | instid1(VALU_DEP_2)
	v_cndmask_b32_e32 v55, v55, v38, vcc_lo
	v_cmp_eq_u32_e32 vcc_lo, 5, v104
	v_cndmask_b32_e32 v55, v55, v39, vcc_lo
	v_cmp_eq_u32_e32 vcc_lo, 6, v104
	s_delay_alu instid0(VALU_DEP_2) | instskip(SKIP_1) | instid1(VALU_DEP_2)
	v_cndmask_b32_e32 v55, v55, v40, vcc_lo
	v_cmp_eq_u32_e32 vcc_lo, 7, v104
	v_cndmask_b32_e32 v55, v55, v41, vcc_lo
	v_cmp_eq_u32_e32 vcc_lo, 8, v104
	s_delay_alu instid0(VALU_DEP_2) | instskip(SKIP_1) | instid1(VALU_DEP_2)
	v_cndmask_b32_e32 v55, v55, v42, vcc_lo
	v_cmp_eq_u32_e32 vcc_lo, 9, v104
	v_cndmask_b32_e32 v55, v55, v43, vcc_lo
	v_cmp_eq_u32_e32 vcc_lo, 10, v104
	s_delay_alu instid0(VALU_DEP_2) | instskip(SKIP_1) | instid1(VALU_DEP_2)
	v_cndmask_b32_e32 v55, v55, v44, vcc_lo
	v_cmp_eq_u32_e32 vcc_lo, 11, v104
	v_cndmask_b32_e32 v55, v55, v45, vcc_lo
	v_cmp_eq_u32_e32 vcc_lo, 12, v104
	s_delay_alu instid0(VALU_DEP_2) | instskip(SKIP_1) | instid1(VALU_DEP_2)
	v_cndmask_b32_e32 v55, v55, v46, vcc_lo
	v_cmp_eq_u32_e32 vcc_lo, 13, v104
	v_cndmask_b32_e32 v55, v55, v47, vcc_lo
	v_cmp_eq_u32_e32 vcc_lo, 14, v104
	s_delay_alu instid0(VALU_DEP_2) | instskip(SKIP_1) | instid1(VALU_DEP_2)
	v_cndmask_b32_e32 v55, v55, v48, vcc_lo
	v_cmp_eq_u32_e32 vcc_lo, 15, v104
	v_cndmask_b32_e32 v55, v55, v49, vcc_lo
	v_cmp_eq_u32_e32 vcc_lo, 16, v104
	s_delay_alu instid0(VALU_DEP_2) | instskip(SKIP_1) | instid1(VALU_DEP_2)
	v_cndmask_b32_e32 v55, v55, v50, vcc_lo
	v_cmp_eq_u32_e32 vcc_lo, 17, v104
	v_cndmask_b32_e32 v55, v55, v51, vcc_lo
	v_cmp_eq_u32_e32 vcc_lo, 18, v104
	v_add_nc_u64_e32 v[104:105], 1, v[104:105]
	s_delay_alu instid0(VALU_DEP_3) | instskip(SKIP_2) | instid1(VALU_DEP_2)
	v_cndmask_b32_e32 v55, v55, v52, vcc_lo
	v_cmp_eq_u32_e32 vcc_lo, 0, v53
	s_wait_dscnt 0x0
	v_fmac_f32_e32 v108, v55, v56
	s_or_b32 s2, vcc_lo, s2
	s_delay_alu instid0(SALU_CYCLE_1)
	s_and_not1_b32 exec_lo, exec_lo, s2
	s_cbranch_execnz .LBB82_189
; %bb.190:
	s_or_b32 exec_lo, exec_lo, s2
.LBB82_191:
	s_delay_alu instid0(SALU_CYCLE_1)
	s_or_b32 exec_lo, exec_lo, s0
.LBB82_192:
	s_delay_alu instid0(SALU_CYCLE_1)
	s_or_b32 exec_lo, exec_lo, s5
	v_mov_b32_e32 v39, 0
	ds_load_b32 v39, v39 offset:20
	s_wait_dscnt 0x0
	v_mul_f32_e32 v39, v108, v39
.LBB82_193:
	s_or_b32 exec_lo, exec_lo, s4
	v_cmp_lt_u32_e64 s0, 4, v0
	ds_store_b32 v107, v38
	s_wait_dscnt 0x0
	s_barrier_signal -1
	s_barrier_wait -1
	s_and_saveexec_b32 s4, s0
	s_cbranch_execz .LBB82_209
; %bb.194:
	s_and_not1_b32 vcc_lo, exec_lo, s19
	s_cbranch_vccnz .LBB82_196
; %bb.195:
	v_cmp_eq_u32_e32 vcc_lo, 1, v0
	ds_load_b32 v105, v107
	v_cndmask_b32_e32 v104, v34, v35, vcc_lo
	v_cmp_eq_u32_e32 vcc_lo, 2, v0
	s_delay_alu instid0(VALU_DEP_2) | instskip(SKIP_1) | instid1(VALU_DEP_2)
	v_cndmask_b32_e32 v104, v104, v36, vcc_lo
	v_cmp_eq_u32_e32 vcc_lo, 3, v0
	v_cndmask_b32_e32 v104, v104, v37, vcc_lo
	v_cmp_eq_u32_e32 vcc_lo, 4, v0
	s_delay_alu instid0(VALU_DEP_2) | instskip(SKIP_1) | instid1(VALU_DEP_2)
	v_cndmask_b32_e32 v104, v104, v38, vcc_lo
	v_cmp_eq_u32_e32 vcc_lo, 5, v0
	;; [unrolled: 5-line block ×8, first 2 shown]
	v_cndmask_b32_e32 v104, v104, v51, vcc_lo
	v_cmp_eq_u32_e32 vcc_lo, 18, v0
	s_delay_alu instid0(VALU_DEP_2) | instskip(SKIP_1) | instid1(VALU_DEP_1)
	v_cndmask_b32_e32 v104, v104, v52, vcc_lo
	s_wait_dscnt 0x0
	v_mul_f32_e32 v108, v104, v105
	s_cbranch_execz .LBB82_197
	s_branch .LBB82_198
.LBB82_196:
                                        ; implicit-def: $vgpr108
.LBB82_197:
	ds_load_b32 v108, v107
.LBB82_198:
	s_and_saveexec_b32 s5, s1
	s_cbranch_execz .LBB82_208
; %bb.199:
	v_dual_add_nc_u32 v104, -6, v0 :: v_dual_add_nc_u32 v105, -5, v0
	s_delay_alu instid0(VALU_DEP_1)
	v_cmp_lt_u32_e32 vcc_lo, 6, v104
	v_mov_b32_e32 v104, 5
	s_and_saveexec_b32 s1, vcc_lo
	s_cbranch_execz .LBB82_203
; %bb.200:
	v_and_b32_e32 v104, -8, v105
	s_mov_b32 s6, 0
	s_mov_b64 s[2:3], 12
	s_movk_i32 s7, 0x64
	s_delay_alu instid0(VALU_DEP_1)
	v_sub_nc_u32_e32 v106, 0, v104
.LBB82_201:                             ; =>This Inner Loop Header: Depth=1
	s_add_co_i32 m0, s2, -7
	v_movrels_b32_e32 v109, v34
	v_mov_b32_e32 v104, s7
	s_add_co_i32 m0, s2, -6
	s_add_co_i32 s7, s7, 32
	v_movrels_b32_e32 v118, v34
	ds_load_2addr_b32 v[110:111], v104 offset1:1
	ds_load_2addr_b32 v[112:113], v104 offset0:2 offset1:3
	s_add_co_i32 m0, s2, -5
	s_wait_dscnt 0x1
	v_fmac_f32_e32 v108, v109, v110
	ds_load_2addr_b32 v[114:115], v104 offset0:4 offset1:5
	ds_load_2addr_b32 v[116:117], v104 offset0:6 offset1:7
	v_movrels_b32_e32 v104, v34
	s_add_co_i32 m0, s2, -4
	v_fmac_f32_e32 v108, v118, v111
	v_movrels_b32_e32 v109, v34
	s_add_co_i32 m0, s2, -3
	s_wait_dscnt 0x2
	s_delay_alu instid0(VALU_DEP_2) | instskip(SKIP_2) | instid1(VALU_DEP_2)
	v_fmac_f32_e32 v108, v104, v112
	v_movrels_b32_e32 v104, v34
	s_add_co_i32 m0, s2, -2
	v_fmac_f32_e32 v108, v109, v113
	v_movrels_b32_e32 v109, v34
	s_add_co_i32 m0, s2, -1
	s_wait_dscnt 0x1
	s_delay_alu instid0(VALU_DEP_2)
	v_fmac_f32_e32 v108, v104, v114
	v_movrels_b32_e32 v104, v34
	s_mov_b32 m0, s2
	s_add_nc_u64 s[2:3], s[2:3], 8
	v_movrels_b32_e32 v110, v34
	v_dual_fmac_f32 v108, v109, v115 :: v_dual_add_nc_u32 v109, s2, v106
	s_add_co_i32 s8, s2, -7
	s_wait_dscnt 0x0
	s_delay_alu instid0(VALU_DEP_1) | instskip(NEXT) | instid1(VALU_DEP_2)
	v_fmac_f32_e32 v108, v104, v116
	v_cmp_eq_u32_e32 vcc_lo, 12, v109
	s_delay_alu instid0(VALU_DEP_2) | instskip(SKIP_1) | instid1(SALU_CYCLE_1)
	v_dual_mov_b32 v104, s8 :: v_dual_fmac_f32 v108, v110, v117
	s_or_b32 s6, vcc_lo, s6
	s_and_not1_b32 exec_lo, exec_lo, s6
	s_cbranch_execnz .LBB82_201
; %bb.202:
	s_or_b32 exec_lo, exec_lo, s6
.LBB82_203:
	s_delay_alu instid0(SALU_CYCLE_1) | instskip(SKIP_3) | instid1(VALU_DEP_1)
	s_or_b32 exec_lo, exec_lo, s1
	v_and_b32_e32 v53, 7, v105
	s_mov_b32 s2, 0
	s_mov_b32 s1, exec_lo
	v_cmpx_ne_u32_e32 0, v53
	s_cbranch_execz .LBB82_207
; %bb.204:
	v_lshl_add_u32 v54, v104, 2, 0x50
	v_mov_b32_e32 v105, 0
.LBB82_205:                             ; =>This Inner Loop Header: Depth=1
	v_cmp_eq_u32_e32 vcc_lo, 1, v104
	ds_load_b32 v56, v54
	v_dual_add_nc_u32 v53, -1, v53 :: v_dual_add_nc_u32 v54, 4, v54
	v_cndmask_b32_e32 v55, v34, v35, vcc_lo
	v_cmp_eq_u32_e32 vcc_lo, 2, v104
	s_delay_alu instid0(VALU_DEP_2) | instskip(SKIP_1) | instid1(VALU_DEP_2)
	v_cndmask_b32_e32 v55, v55, v36, vcc_lo
	v_cmp_eq_u32_e32 vcc_lo, 3, v104
	v_cndmask_b32_e32 v55, v55, v37, vcc_lo
	v_cmp_eq_u32_e32 vcc_lo, 4, v104
	s_delay_alu instid0(VALU_DEP_2) | instskip(SKIP_1) | instid1(VALU_DEP_2)
	v_cndmask_b32_e32 v55, v55, v38, vcc_lo
	v_cmp_eq_u32_e32 vcc_lo, 5, v104
	;; [unrolled: 5-line block ×8, first 2 shown]
	v_cndmask_b32_e32 v55, v55, v51, vcc_lo
	v_cmp_eq_u32_e32 vcc_lo, 18, v104
	v_add_nc_u64_e32 v[104:105], 1, v[104:105]
	s_delay_alu instid0(VALU_DEP_3) | instskip(SKIP_2) | instid1(VALU_DEP_2)
	v_cndmask_b32_e32 v55, v55, v52, vcc_lo
	v_cmp_eq_u32_e32 vcc_lo, 0, v53
	s_wait_dscnt 0x0
	v_fmac_f32_e32 v108, v55, v56
	s_or_b32 s2, vcc_lo, s2
	s_delay_alu instid0(SALU_CYCLE_1)
	s_and_not1_b32 exec_lo, exec_lo, s2
	s_cbranch_execnz .LBB82_205
; %bb.206:
	s_or_b32 exec_lo, exec_lo, s2
.LBB82_207:
	s_delay_alu instid0(SALU_CYCLE_1)
	s_or_b32 exec_lo, exec_lo, s1
.LBB82_208:
	s_delay_alu instid0(SALU_CYCLE_1)
	s_or_b32 exec_lo, exec_lo, s5
	v_mov_b32_e32 v38, 0
	ds_load_b32 v38, v38 offset:16
	s_wait_dscnt 0x0
	v_mul_f32_e32 v38, v108, v38
.LBB82_209:
	s_or_b32 exec_lo, exec_lo, s4
	v_cmp_lt_u32_e64 s1, 3, v0
	ds_store_b32 v107, v37
	s_wait_dscnt 0x0
	s_barrier_signal -1
	s_barrier_wait -1
	s_and_saveexec_b32 s4, s1
	s_cbranch_execz .LBB82_225
; %bb.210:
	s_and_not1_b32 vcc_lo, exec_lo, s19
	s_cbranch_vccnz .LBB82_212
; %bb.211:
	v_cmp_eq_u32_e32 vcc_lo, 1, v0
	ds_load_b32 v105, v107
	v_cndmask_b32_e32 v104, v34, v35, vcc_lo
	v_cmp_eq_u32_e32 vcc_lo, 2, v0
	s_delay_alu instid0(VALU_DEP_2) | instskip(SKIP_1) | instid1(VALU_DEP_2)
	v_cndmask_b32_e32 v104, v104, v36, vcc_lo
	v_cmp_eq_u32_e32 vcc_lo, 3, v0
	v_cndmask_b32_e32 v104, v104, v37, vcc_lo
	v_cmp_eq_u32_e32 vcc_lo, 4, v0
	s_delay_alu instid0(VALU_DEP_2) | instskip(SKIP_1) | instid1(VALU_DEP_2)
	v_cndmask_b32_e32 v104, v104, v38, vcc_lo
	v_cmp_eq_u32_e32 vcc_lo, 5, v0
	;; [unrolled: 5-line block ×8, first 2 shown]
	v_cndmask_b32_e32 v104, v104, v51, vcc_lo
	v_cmp_eq_u32_e32 vcc_lo, 18, v0
	s_delay_alu instid0(VALU_DEP_2) | instskip(SKIP_1) | instid1(VALU_DEP_1)
	v_cndmask_b32_e32 v104, v104, v52, vcc_lo
	s_wait_dscnt 0x0
	v_mul_f32_e32 v108, v104, v105
	s_cbranch_execz .LBB82_213
	s_branch .LBB82_214
.LBB82_212:
                                        ; implicit-def: $vgpr108
.LBB82_213:
	ds_load_b32 v108, v107
.LBB82_214:
	s_and_saveexec_b32 s5, s0
	s_cbranch_execz .LBB82_224
; %bb.215:
	v_dual_add_nc_u32 v104, -5, v0 :: v_dual_add_nc_u32 v105, -4, v0
	s_delay_alu instid0(VALU_DEP_1)
	v_cmp_lt_u32_e32 vcc_lo, 6, v104
	v_mov_b32_e32 v104, 4
	s_and_saveexec_b32 s0, vcc_lo
	s_cbranch_execz .LBB82_219
; %bb.216:
	v_and_b32_e32 v104, -8, v105
	s_mov_b32 s6, 0
	s_mov_b64 s[2:3], 5
	s_movk_i32 s7, 0x60
	s_delay_alu instid0(VALU_DEP_1)
	v_sub_nc_u32_e32 v106, 0, v104
.LBB82_217:                             ; =>This Inner Loop Header: Depth=1
	s_add_co_i32 m0, s2, -1
	v_movrels_b32_e32 v109, v34
	v_mov_b32_e32 v104, s7
	s_mov_b32 m0, s2
	s_add_co_i32 s7, s7, 32
	v_movrels_b32_e32 v118, v34
	s_add_co_i32 m0, s2, 1
	ds_load_b128 v[110:113], v104
	ds_load_b128 v[114:117], v104 offset:16
	v_movrels_b32_e32 v104, v34
	s_add_co_i32 m0, s2, 2
	s_wait_dscnt 0x1
	v_fmac_f32_e32 v108, v109, v110
	v_movrels_b32_e32 v109, v34
	s_add_co_i32 m0, s2, 3
	s_delay_alu instid0(VALU_DEP_2) | instskip(NEXT) | instid1(VALU_DEP_1)
	v_fmac_f32_e32 v108, v118, v111
	v_fmac_f32_e32 v108, v104, v112
	v_movrels_b32_e32 v104, v34
	s_add_co_i32 m0, s2, 4
	s_delay_alu instid0(VALU_DEP_2) | instskip(SKIP_3) | instid1(VALU_DEP_2)
	v_fmac_f32_e32 v108, v109, v113
	v_movrels_b32_e32 v109, v34
	s_add_co_i32 m0, s2, 5
	s_wait_dscnt 0x0
	v_fmac_f32_e32 v108, v104, v114
	v_movrels_b32_e32 v104, v34
	s_add_co_i32 m0, s2, 6
	s_add_nc_u64 s[2:3], s[2:3], 8
	v_movrels_b32_e32 v110, v34
	v_dual_fmac_f32 v108, v109, v115 :: v_dual_add_nc_u32 v109, s2, v106
	s_add_co_i32 s8, s2, -1
	s_delay_alu instid0(VALU_DEP_1) | instskip(NEXT) | instid1(VALU_DEP_2)
	v_fmac_f32_e32 v108, v104, v116
	v_cmp_eq_u32_e32 vcc_lo, 5, v109
	s_delay_alu instid0(VALU_DEP_2) | instskip(SKIP_1) | instid1(SALU_CYCLE_1)
	v_dual_mov_b32 v104, s8 :: v_dual_fmac_f32 v108, v110, v117
	s_or_b32 s6, vcc_lo, s6
	s_and_not1_b32 exec_lo, exec_lo, s6
	s_cbranch_execnz .LBB82_217
; %bb.218:
	s_or_b32 exec_lo, exec_lo, s6
.LBB82_219:
	s_delay_alu instid0(SALU_CYCLE_1) | instskip(SKIP_3) | instid1(VALU_DEP_1)
	s_or_b32 exec_lo, exec_lo, s0
	v_and_b32_e32 v53, 7, v105
	s_mov_b32 s2, 0
	s_mov_b32 s0, exec_lo
	v_cmpx_ne_u32_e32 0, v53
	s_cbranch_execz .LBB82_223
; %bb.220:
	v_lshl_add_u32 v54, v104, 2, 0x50
	v_mov_b32_e32 v105, 0
.LBB82_221:                             ; =>This Inner Loop Header: Depth=1
	v_cmp_eq_u32_e32 vcc_lo, 1, v104
	ds_load_b32 v56, v54
	v_dual_add_nc_u32 v53, -1, v53 :: v_dual_add_nc_u32 v54, 4, v54
	v_cndmask_b32_e32 v55, v34, v35, vcc_lo
	v_cmp_eq_u32_e32 vcc_lo, 2, v104
	s_delay_alu instid0(VALU_DEP_2) | instskip(SKIP_1) | instid1(VALU_DEP_2)
	v_cndmask_b32_e32 v55, v55, v36, vcc_lo
	v_cmp_eq_u32_e32 vcc_lo, 3, v104
	v_cndmask_b32_e32 v55, v55, v37, vcc_lo
	v_cmp_eq_u32_e32 vcc_lo, 4, v104
	s_delay_alu instid0(VALU_DEP_2) | instskip(SKIP_1) | instid1(VALU_DEP_2)
	v_cndmask_b32_e32 v55, v55, v38, vcc_lo
	v_cmp_eq_u32_e32 vcc_lo, 5, v104
	;; [unrolled: 5-line block ×8, first 2 shown]
	v_cndmask_b32_e32 v55, v55, v51, vcc_lo
	v_cmp_eq_u32_e32 vcc_lo, 18, v104
	v_add_nc_u64_e32 v[104:105], 1, v[104:105]
	s_delay_alu instid0(VALU_DEP_3) | instskip(SKIP_2) | instid1(VALU_DEP_2)
	v_cndmask_b32_e32 v55, v55, v52, vcc_lo
	v_cmp_eq_u32_e32 vcc_lo, 0, v53
	s_wait_dscnt 0x0
	v_fmac_f32_e32 v108, v55, v56
	s_or_b32 s2, vcc_lo, s2
	s_delay_alu instid0(SALU_CYCLE_1)
	s_and_not1_b32 exec_lo, exec_lo, s2
	s_cbranch_execnz .LBB82_221
; %bb.222:
	s_or_b32 exec_lo, exec_lo, s2
.LBB82_223:
	s_delay_alu instid0(SALU_CYCLE_1)
	s_or_b32 exec_lo, exec_lo, s0
.LBB82_224:
	s_delay_alu instid0(SALU_CYCLE_1)
	s_or_b32 exec_lo, exec_lo, s5
	v_mov_b32_e32 v37, 0
	ds_load_b32 v37, v37 offset:12
	s_wait_dscnt 0x0
	v_mul_f32_e32 v37, v108, v37
.LBB82_225:
	s_or_b32 exec_lo, exec_lo, s4
	v_cmp_lt_u32_e64 s0, 2, v0
	ds_store_b32 v107, v36
	s_wait_dscnt 0x0
	s_barrier_signal -1
	s_barrier_wait -1
	s_and_saveexec_b32 s4, s0
	s_cbranch_execz .LBB82_241
; %bb.226:
	s_and_not1_b32 vcc_lo, exec_lo, s19
	s_cbranch_vccnz .LBB82_228
; %bb.227:
	v_cmp_eq_u32_e32 vcc_lo, 1, v0
	ds_load_b32 v105, v107
	v_cndmask_b32_e32 v104, v34, v35, vcc_lo
	v_cmp_eq_u32_e32 vcc_lo, 2, v0
	s_delay_alu instid0(VALU_DEP_2) | instskip(SKIP_1) | instid1(VALU_DEP_2)
	v_cndmask_b32_e32 v104, v104, v36, vcc_lo
	v_cmp_eq_u32_e32 vcc_lo, 3, v0
	v_cndmask_b32_e32 v104, v104, v37, vcc_lo
	v_cmp_eq_u32_e32 vcc_lo, 4, v0
	s_delay_alu instid0(VALU_DEP_2) | instskip(SKIP_1) | instid1(VALU_DEP_2)
	v_cndmask_b32_e32 v104, v104, v38, vcc_lo
	v_cmp_eq_u32_e32 vcc_lo, 5, v0
	v_cndmask_b32_e32 v104, v104, v39, vcc_lo
	v_cmp_eq_u32_e32 vcc_lo, 6, v0
	s_delay_alu instid0(VALU_DEP_2) | instskip(SKIP_1) | instid1(VALU_DEP_2)
	v_cndmask_b32_e32 v104, v104, v40, vcc_lo
	v_cmp_eq_u32_e32 vcc_lo, 7, v0
	v_cndmask_b32_e32 v104, v104, v41, vcc_lo
	v_cmp_eq_u32_e32 vcc_lo, 8, v0
	s_delay_alu instid0(VALU_DEP_2) | instskip(SKIP_1) | instid1(VALU_DEP_2)
	v_cndmask_b32_e32 v104, v104, v42, vcc_lo
	v_cmp_eq_u32_e32 vcc_lo, 9, v0
	v_cndmask_b32_e32 v104, v104, v43, vcc_lo
	v_cmp_eq_u32_e32 vcc_lo, 10, v0
	s_delay_alu instid0(VALU_DEP_2) | instskip(SKIP_1) | instid1(VALU_DEP_2)
	v_cndmask_b32_e32 v104, v104, v44, vcc_lo
	v_cmp_eq_u32_e32 vcc_lo, 11, v0
	v_cndmask_b32_e32 v104, v104, v45, vcc_lo
	v_cmp_eq_u32_e32 vcc_lo, 12, v0
	s_delay_alu instid0(VALU_DEP_2) | instskip(SKIP_1) | instid1(VALU_DEP_2)
	v_cndmask_b32_e32 v104, v104, v46, vcc_lo
	v_cmp_eq_u32_e32 vcc_lo, 13, v0
	v_cndmask_b32_e32 v104, v104, v47, vcc_lo
	v_cmp_eq_u32_e32 vcc_lo, 14, v0
	s_delay_alu instid0(VALU_DEP_2) | instskip(SKIP_1) | instid1(VALU_DEP_2)
	v_cndmask_b32_e32 v104, v104, v48, vcc_lo
	v_cmp_eq_u32_e32 vcc_lo, 15, v0
	v_cndmask_b32_e32 v104, v104, v49, vcc_lo
	v_cmp_eq_u32_e32 vcc_lo, 16, v0
	s_delay_alu instid0(VALU_DEP_2) | instskip(SKIP_1) | instid1(VALU_DEP_2)
	v_cndmask_b32_e32 v104, v104, v50, vcc_lo
	v_cmp_eq_u32_e32 vcc_lo, 17, v0
	v_cndmask_b32_e32 v104, v104, v51, vcc_lo
	v_cmp_eq_u32_e32 vcc_lo, 18, v0
	s_delay_alu instid0(VALU_DEP_2) | instskip(SKIP_1) | instid1(VALU_DEP_1)
	v_cndmask_b32_e32 v104, v104, v52, vcc_lo
	s_wait_dscnt 0x0
	v_mul_f32_e32 v108, v104, v105
	s_cbranch_execz .LBB82_229
	s_branch .LBB82_230
.LBB82_228:
                                        ; implicit-def: $vgpr108
.LBB82_229:
	ds_load_b32 v108, v107
.LBB82_230:
	s_and_saveexec_b32 s5, s1
	s_cbranch_execz .LBB82_240
; %bb.231:
	v_dual_add_nc_u32 v104, -4, v0 :: v_dual_add_nc_u32 v105, -3, v0
	s_delay_alu instid0(VALU_DEP_1)
	v_cmp_lt_u32_e32 vcc_lo, 6, v104
	v_mov_b32_e32 v104, 3
	s_and_saveexec_b32 s1, vcc_lo
	s_cbranch_execz .LBB82_235
; %bb.232:
	v_and_b32_e32 v104, -8, v105
	s_mov_b32 s6, 0
	s_mov_b64 s[2:3], 10
	s_movk_i32 s7, 0x5c
	s_delay_alu instid0(VALU_DEP_1)
	v_sub_nc_u32_e32 v106, 0, v104
.LBB82_233:                             ; =>This Inner Loop Header: Depth=1
	s_add_co_i32 m0, s2, -7
	v_movrels_b32_e32 v109, v34
	v_mov_b32_e32 v104, s7
	s_add_co_i32 m0, s2, -6
	s_add_co_i32 s7, s7, 32
	v_movrels_b32_e32 v118, v34
	ds_load_2addr_b32 v[110:111], v104 offset1:1
	ds_load_2addr_b32 v[112:113], v104 offset0:2 offset1:3
	s_add_co_i32 m0, s2, -5
	s_wait_dscnt 0x1
	v_fmac_f32_e32 v108, v109, v110
	ds_load_2addr_b32 v[114:115], v104 offset0:4 offset1:5
	ds_load_2addr_b32 v[116:117], v104 offset0:6 offset1:7
	v_movrels_b32_e32 v104, v34
	s_add_co_i32 m0, s2, -4
	v_fmac_f32_e32 v108, v118, v111
	v_movrels_b32_e32 v109, v34
	s_add_co_i32 m0, s2, -3
	s_wait_dscnt 0x2
	s_delay_alu instid0(VALU_DEP_2) | instskip(SKIP_2) | instid1(VALU_DEP_2)
	v_fmac_f32_e32 v108, v104, v112
	v_movrels_b32_e32 v104, v34
	s_add_co_i32 m0, s2, -2
	v_fmac_f32_e32 v108, v109, v113
	v_movrels_b32_e32 v109, v34
	s_add_co_i32 m0, s2, -1
	s_wait_dscnt 0x1
	s_delay_alu instid0(VALU_DEP_2)
	v_fmac_f32_e32 v108, v104, v114
	v_movrels_b32_e32 v104, v34
	s_mov_b32 m0, s2
	s_add_nc_u64 s[2:3], s[2:3], 8
	v_movrels_b32_e32 v110, v34
	v_dual_fmac_f32 v108, v109, v115 :: v_dual_add_nc_u32 v109, s2, v106
	s_add_co_i32 s8, s2, -7
	s_wait_dscnt 0x0
	s_delay_alu instid0(VALU_DEP_1) | instskip(NEXT) | instid1(VALU_DEP_2)
	v_fmac_f32_e32 v108, v104, v116
	v_cmp_eq_u32_e32 vcc_lo, 10, v109
	s_delay_alu instid0(VALU_DEP_2) | instskip(SKIP_1) | instid1(SALU_CYCLE_1)
	v_dual_mov_b32 v104, s8 :: v_dual_fmac_f32 v108, v110, v117
	s_or_b32 s6, vcc_lo, s6
	s_and_not1_b32 exec_lo, exec_lo, s6
	s_cbranch_execnz .LBB82_233
; %bb.234:
	s_or_b32 exec_lo, exec_lo, s6
.LBB82_235:
	s_delay_alu instid0(SALU_CYCLE_1) | instskip(SKIP_3) | instid1(VALU_DEP_1)
	s_or_b32 exec_lo, exec_lo, s1
	v_and_b32_e32 v53, 7, v105
	s_mov_b32 s2, 0
	s_mov_b32 s1, exec_lo
	v_cmpx_ne_u32_e32 0, v53
	s_cbranch_execz .LBB82_239
; %bb.236:
	v_lshl_add_u32 v54, v104, 2, 0x50
	v_mov_b32_e32 v105, 0
.LBB82_237:                             ; =>This Inner Loop Header: Depth=1
	v_cmp_eq_u32_e32 vcc_lo, 1, v104
	ds_load_b32 v56, v54
	v_dual_add_nc_u32 v53, -1, v53 :: v_dual_add_nc_u32 v54, 4, v54
	v_cndmask_b32_e32 v55, v34, v35, vcc_lo
	v_cmp_eq_u32_e32 vcc_lo, 2, v104
	s_delay_alu instid0(VALU_DEP_2) | instskip(SKIP_1) | instid1(VALU_DEP_2)
	v_cndmask_b32_e32 v55, v55, v36, vcc_lo
	v_cmp_eq_u32_e32 vcc_lo, 3, v104
	v_cndmask_b32_e32 v55, v55, v37, vcc_lo
	v_cmp_eq_u32_e32 vcc_lo, 4, v104
	s_delay_alu instid0(VALU_DEP_2) | instskip(SKIP_1) | instid1(VALU_DEP_2)
	v_cndmask_b32_e32 v55, v55, v38, vcc_lo
	v_cmp_eq_u32_e32 vcc_lo, 5, v104
	;; [unrolled: 5-line block ×8, first 2 shown]
	v_cndmask_b32_e32 v55, v55, v51, vcc_lo
	v_cmp_eq_u32_e32 vcc_lo, 18, v104
	v_add_nc_u64_e32 v[104:105], 1, v[104:105]
	s_delay_alu instid0(VALU_DEP_3) | instskip(SKIP_2) | instid1(VALU_DEP_2)
	v_cndmask_b32_e32 v55, v55, v52, vcc_lo
	v_cmp_eq_u32_e32 vcc_lo, 0, v53
	s_wait_dscnt 0x0
	v_fmac_f32_e32 v108, v55, v56
	s_or_b32 s2, vcc_lo, s2
	s_delay_alu instid0(SALU_CYCLE_1)
	s_and_not1_b32 exec_lo, exec_lo, s2
	s_cbranch_execnz .LBB82_237
; %bb.238:
	s_or_b32 exec_lo, exec_lo, s2
.LBB82_239:
	s_delay_alu instid0(SALU_CYCLE_1)
	s_or_b32 exec_lo, exec_lo, s1
.LBB82_240:
	s_delay_alu instid0(SALU_CYCLE_1)
	s_or_b32 exec_lo, exec_lo, s5
	v_mov_b32_e32 v36, 0
	ds_load_b32 v36, v36 offset:8
	s_wait_dscnt 0x0
	v_mul_f32_e32 v36, v108, v36
.LBB82_241:
	s_or_b32 exec_lo, exec_lo, s4
	v_cmp_lt_u32_e64 s1, 1, v0
	ds_store_b32 v107, v35
	s_wait_dscnt 0x0
	s_barrier_signal -1
	s_barrier_wait -1
	s_and_saveexec_b32 s4, s1
	s_cbranch_execz .LBB82_257
; %bb.242:
	s_and_not1_b32 vcc_lo, exec_lo, s19
	s_cbranch_vccnz .LBB82_244
; %bb.243:
	v_cmp_eq_u32_e32 vcc_lo, 1, v0
	ds_load_b32 v105, v107
	v_cndmask_b32_e32 v104, v34, v35, vcc_lo
	v_cmp_eq_u32_e32 vcc_lo, 2, v0
	s_delay_alu instid0(VALU_DEP_2) | instskip(SKIP_1) | instid1(VALU_DEP_2)
	v_cndmask_b32_e32 v104, v104, v36, vcc_lo
	v_cmp_eq_u32_e32 vcc_lo, 3, v0
	v_cndmask_b32_e32 v104, v104, v37, vcc_lo
	v_cmp_eq_u32_e32 vcc_lo, 4, v0
	s_delay_alu instid0(VALU_DEP_2) | instskip(SKIP_1) | instid1(VALU_DEP_2)
	v_cndmask_b32_e32 v104, v104, v38, vcc_lo
	v_cmp_eq_u32_e32 vcc_lo, 5, v0
	;; [unrolled: 5-line block ×8, first 2 shown]
	v_cndmask_b32_e32 v104, v104, v51, vcc_lo
	v_cmp_eq_u32_e32 vcc_lo, 18, v0
	s_delay_alu instid0(VALU_DEP_2) | instskip(SKIP_1) | instid1(VALU_DEP_1)
	v_cndmask_b32_e32 v104, v104, v52, vcc_lo
	s_wait_dscnt 0x0
	v_mul_f32_e32 v108, v104, v105
	s_cbranch_execz .LBB82_245
	s_branch .LBB82_246
.LBB82_244:
                                        ; implicit-def: $vgpr108
.LBB82_245:
	ds_load_b32 v108, v107
.LBB82_246:
	s_and_saveexec_b32 s5, s0
	s_cbranch_execz .LBB82_256
; %bb.247:
	v_dual_add_nc_u32 v104, -3, v0 :: v_dual_add_nc_u32 v105, -2, v0
	s_delay_alu instid0(VALU_DEP_1)
	v_cmp_lt_u32_e32 vcc_lo, 6, v104
	v_mov_b32_e32 v104, 2
	s_and_saveexec_b32 s0, vcc_lo
	s_cbranch_execz .LBB82_251
; %bb.248:
	v_and_b32_e32 v104, -8, v105
	s_mov_b32 s6, 0
	s_mov_b64 s[2:3], 9
	s_movk_i32 s7, 0x58
	s_delay_alu instid0(VALU_DEP_1)
	v_sub_nc_u32_e32 v106, 0, v104
.LBB82_249:                             ; =>This Inner Loop Header: Depth=1
	s_add_co_i32 m0, s2, -7
	v_movrels_b32_e32 v109, v34
	v_mov_b32_e32 v104, s7
	s_add_co_i32 m0, s2, -6
	s_add_co_i32 s7, s7, 32
	v_movrels_b32_e32 v118, v34
	s_add_co_i32 m0, s2, -5
	ds_load_2addr_b64 v[110:113], v104 offset1:1
	ds_load_2addr_b64 v[114:117], v104 offset0:2 offset1:3
	v_movrels_b32_e32 v104, v34
	s_add_co_i32 m0, s2, -4
	s_wait_dscnt 0x1
	v_fmac_f32_e32 v108, v109, v110
	v_movrels_b32_e32 v109, v34
	s_add_co_i32 m0, s2, -3
	s_delay_alu instid0(VALU_DEP_2) | instskip(NEXT) | instid1(VALU_DEP_1)
	v_fmac_f32_e32 v108, v118, v111
	v_fmac_f32_e32 v108, v104, v112
	v_movrels_b32_e32 v104, v34
	s_add_co_i32 m0, s2, -2
	s_delay_alu instid0(VALU_DEP_2) | instskip(SKIP_3) | instid1(VALU_DEP_2)
	v_fmac_f32_e32 v108, v109, v113
	v_movrels_b32_e32 v109, v34
	s_add_co_i32 m0, s2, -1
	s_wait_dscnt 0x0
	v_fmac_f32_e32 v108, v104, v114
	v_movrels_b32_e32 v104, v34
	s_mov_b32 m0, s2
	s_add_nc_u64 s[2:3], s[2:3], 8
	v_movrels_b32_e32 v110, v34
	v_dual_fmac_f32 v108, v109, v115 :: v_dual_add_nc_u32 v109, s2, v106
	s_add_co_i32 s8, s2, -7
	s_delay_alu instid0(VALU_DEP_1) | instskip(NEXT) | instid1(VALU_DEP_2)
	v_fmac_f32_e32 v108, v104, v116
	v_cmp_eq_u32_e32 vcc_lo, 9, v109
	s_delay_alu instid0(VALU_DEP_2) | instskip(SKIP_1) | instid1(SALU_CYCLE_1)
	v_dual_mov_b32 v104, s8 :: v_dual_fmac_f32 v108, v110, v117
	s_or_b32 s6, vcc_lo, s6
	s_and_not1_b32 exec_lo, exec_lo, s6
	s_cbranch_execnz .LBB82_249
; %bb.250:
	s_or_b32 exec_lo, exec_lo, s6
.LBB82_251:
	s_delay_alu instid0(SALU_CYCLE_1) | instskip(SKIP_3) | instid1(VALU_DEP_1)
	s_or_b32 exec_lo, exec_lo, s0
	v_and_b32_e32 v53, 7, v105
	s_mov_b32 s2, 0
	s_mov_b32 s0, exec_lo
	v_cmpx_ne_u32_e32 0, v53
	s_cbranch_execz .LBB82_255
; %bb.252:
	v_lshl_add_u32 v54, v104, 2, 0x50
	v_mov_b32_e32 v105, 0
.LBB82_253:                             ; =>This Inner Loop Header: Depth=1
	v_cmp_eq_u32_e32 vcc_lo, 1, v104
	ds_load_b32 v56, v54
	v_dual_add_nc_u32 v53, -1, v53 :: v_dual_add_nc_u32 v54, 4, v54
	v_cndmask_b32_e32 v55, v34, v35, vcc_lo
	v_cmp_eq_u32_e32 vcc_lo, 2, v104
	s_delay_alu instid0(VALU_DEP_2) | instskip(SKIP_1) | instid1(VALU_DEP_2)
	v_cndmask_b32_e32 v55, v55, v36, vcc_lo
	v_cmp_eq_u32_e32 vcc_lo, 3, v104
	v_cndmask_b32_e32 v55, v55, v37, vcc_lo
	v_cmp_eq_u32_e32 vcc_lo, 4, v104
	s_delay_alu instid0(VALU_DEP_2) | instskip(SKIP_1) | instid1(VALU_DEP_2)
	v_cndmask_b32_e32 v55, v55, v38, vcc_lo
	v_cmp_eq_u32_e32 vcc_lo, 5, v104
	;; [unrolled: 5-line block ×8, first 2 shown]
	v_cndmask_b32_e32 v55, v55, v51, vcc_lo
	v_cmp_eq_u32_e32 vcc_lo, 18, v104
	v_add_nc_u64_e32 v[104:105], 1, v[104:105]
	s_delay_alu instid0(VALU_DEP_3) | instskip(SKIP_2) | instid1(VALU_DEP_2)
	v_cndmask_b32_e32 v55, v55, v52, vcc_lo
	v_cmp_eq_u32_e32 vcc_lo, 0, v53
	s_wait_dscnt 0x0
	v_fmac_f32_e32 v108, v55, v56
	s_or_b32 s2, vcc_lo, s2
	s_delay_alu instid0(SALU_CYCLE_1)
	s_and_not1_b32 exec_lo, exec_lo, s2
	s_cbranch_execnz .LBB82_253
; %bb.254:
	s_or_b32 exec_lo, exec_lo, s2
.LBB82_255:
	s_delay_alu instid0(SALU_CYCLE_1)
	s_or_b32 exec_lo, exec_lo, s0
.LBB82_256:
	s_delay_alu instid0(SALU_CYCLE_1)
	s_or_b32 exec_lo, exec_lo, s5
	v_mov_b32_e32 v35, 0
	ds_load_b32 v35, v35 offset:4
	s_wait_dscnt 0x0
	v_mul_f32_e32 v35, v108, v35
.LBB82_257:
	s_or_b32 exec_lo, exec_lo, s4
	s_mov_b32 s2, 0
	s_mov_b32 s3, exec_lo
	ds_store_b32 v107, v34
	s_wait_dscnt 0x0
	s_barrier_signal -1
	s_barrier_wait -1
	v_cmpx_ne_u32_e32 0, v0
	s_cbranch_execz .LBB82_273
; %bb.258:
	s_and_not1_b32 vcc_lo, exec_lo, s19
	s_cbranch_vccnz .LBB82_260
; %bb.259:
	v_cmp_eq_u32_e32 vcc_lo, 1, v0
	ds_load_b32 v105, v107
	v_cndmask_b32_e32 v104, v34, v35, vcc_lo
	v_cmp_eq_u32_e32 vcc_lo, 2, v0
	s_delay_alu instid0(VALU_DEP_2) | instskip(SKIP_1) | instid1(VALU_DEP_2)
	v_cndmask_b32_e32 v104, v104, v36, vcc_lo
	v_cmp_eq_u32_e32 vcc_lo, 3, v0
	v_cndmask_b32_e32 v104, v104, v37, vcc_lo
	v_cmp_eq_u32_e32 vcc_lo, 4, v0
	s_delay_alu instid0(VALU_DEP_2) | instskip(SKIP_1) | instid1(VALU_DEP_2)
	v_cndmask_b32_e32 v104, v104, v38, vcc_lo
	v_cmp_eq_u32_e32 vcc_lo, 5, v0
	;; [unrolled: 5-line block ×8, first 2 shown]
	v_cndmask_b32_e32 v104, v104, v51, vcc_lo
	v_cmp_eq_u32_e32 vcc_lo, 18, v0
	s_delay_alu instid0(VALU_DEP_2) | instskip(SKIP_1) | instid1(VALU_DEP_1)
	v_cndmask_b32_e32 v104, v104, v52, vcc_lo
	s_wait_dscnt 0x0
	v_mul_f32_e32 v108, v104, v105
	s_cbranch_execz .LBB82_261
	s_branch .LBB82_262
.LBB82_260:
                                        ; implicit-def: $vgpr108
.LBB82_261:
	ds_load_b32 v108, v107
.LBB82_262:
	s_and_saveexec_b32 s4, s1
	s_cbranch_execz .LBB82_272
; %bb.263:
	v_dual_add_nc_u32 v104, -2, v0 :: v_dual_add_nc_u32 v105, -1, v0
	s_delay_alu instid0(VALU_DEP_1)
	v_cmp_lt_u32_e32 vcc_lo, 6, v104
	v_mov_b32_e32 v104, 1
	s_and_saveexec_b32 s5, vcc_lo
	s_cbranch_execz .LBB82_267
; %bb.264:
	v_and_b32_e32 v104, -8, v105
	s_mov_b32 s6, 0
	s_mov_b64 s[0:1], 8
	s_movk_i32 s7, 0x54
	s_delay_alu instid0(VALU_DEP_1)
	v_sub_nc_u32_e32 v106, 0, v104
.LBB82_265:                             ; =>This Inner Loop Header: Depth=1
	s_add_co_i32 m0, s0, -7
	v_movrels_b32_e32 v109, v34
	v_mov_b32_e32 v104, s7
	s_add_co_i32 m0, s0, -6
	s_add_co_i32 s7, s7, 32
	v_movrels_b32_e32 v118, v34
	ds_load_2addr_b32 v[110:111], v104 offset1:1
	ds_load_2addr_b32 v[112:113], v104 offset0:2 offset1:3
	s_add_co_i32 m0, s0, -5
	s_wait_dscnt 0x1
	v_fmac_f32_e32 v108, v109, v110
	ds_load_2addr_b32 v[114:115], v104 offset0:4 offset1:5
	ds_load_2addr_b32 v[116:117], v104 offset0:6 offset1:7
	v_movrels_b32_e32 v104, v34
	s_add_co_i32 m0, s0, -4
	v_fmac_f32_e32 v108, v118, v111
	v_movrels_b32_e32 v109, v34
	s_add_co_i32 m0, s0, -3
	s_wait_dscnt 0x2
	s_delay_alu instid0(VALU_DEP_2) | instskip(SKIP_2) | instid1(VALU_DEP_2)
	v_fmac_f32_e32 v108, v104, v112
	v_movrels_b32_e32 v104, v34
	s_add_co_i32 m0, s0, -2
	v_fmac_f32_e32 v108, v109, v113
	v_movrels_b32_e32 v109, v34
	s_add_co_i32 m0, s0, -1
	s_wait_dscnt 0x1
	s_delay_alu instid0(VALU_DEP_2)
	v_fmac_f32_e32 v108, v104, v114
	v_movrels_b32_e32 v104, v34
	s_mov_b32 m0, s0
	s_add_nc_u64 s[0:1], s[0:1], 8
	v_movrels_b32_e32 v110, v34
	v_dual_fmac_f32 v108, v109, v115 :: v_dual_add_nc_u32 v109, s0, v106
	s_add_co_i32 s8, s0, -7
	s_wait_dscnt 0x0
	s_delay_alu instid0(VALU_DEP_1) | instskip(NEXT) | instid1(VALU_DEP_2)
	v_fmac_f32_e32 v108, v104, v116
	v_cmp_eq_u32_e32 vcc_lo, 8, v109
	s_delay_alu instid0(VALU_DEP_2) | instskip(SKIP_1) | instid1(SALU_CYCLE_1)
	v_dual_mov_b32 v104, s8 :: v_dual_fmac_f32 v108, v110, v117
	s_or_b32 s6, vcc_lo, s6
	s_and_not1_b32 exec_lo, exec_lo, s6
	s_cbranch_execnz .LBB82_265
; %bb.266:
	s_or_b32 exec_lo, exec_lo, s6
.LBB82_267:
	s_delay_alu instid0(SALU_CYCLE_1) | instskip(SKIP_3) | instid1(VALU_DEP_1)
	s_or_b32 exec_lo, exec_lo, s5
	v_and_b32_e32 v53, 7, v105
	s_mov_b32 s1, 0
	s_mov_b32 s0, exec_lo
	v_cmpx_ne_u32_e32 0, v53
	s_cbranch_execz .LBB82_271
; %bb.268:
	v_lshl_add_u32 v54, v104, 2, 0x50
	v_mov_b32_e32 v105, 0
.LBB82_269:                             ; =>This Inner Loop Header: Depth=1
	v_cmp_eq_u32_e32 vcc_lo, 1, v104
	ds_load_b32 v56, v54
	v_dual_add_nc_u32 v53, -1, v53 :: v_dual_add_nc_u32 v54, 4, v54
	v_cndmask_b32_e32 v55, v34, v35, vcc_lo
	v_cmp_eq_u32_e32 vcc_lo, 2, v104
	s_delay_alu instid0(VALU_DEP_2) | instskip(SKIP_1) | instid1(VALU_DEP_2)
	v_cndmask_b32_e32 v55, v55, v36, vcc_lo
	v_cmp_eq_u32_e32 vcc_lo, 3, v104
	v_cndmask_b32_e32 v55, v55, v37, vcc_lo
	v_cmp_eq_u32_e32 vcc_lo, 4, v104
	s_delay_alu instid0(VALU_DEP_2) | instskip(SKIP_1) | instid1(VALU_DEP_2)
	v_cndmask_b32_e32 v55, v55, v38, vcc_lo
	v_cmp_eq_u32_e32 vcc_lo, 5, v104
	;; [unrolled: 5-line block ×8, first 2 shown]
	v_cndmask_b32_e32 v55, v55, v51, vcc_lo
	v_cmp_eq_u32_e32 vcc_lo, 18, v104
	v_add_nc_u64_e32 v[104:105], 1, v[104:105]
	s_delay_alu instid0(VALU_DEP_3) | instskip(SKIP_2) | instid1(VALU_DEP_2)
	v_cndmask_b32_e32 v55, v55, v52, vcc_lo
	v_cmp_eq_u32_e32 vcc_lo, 0, v53
	s_wait_dscnt 0x0
	v_fmac_f32_e32 v108, v55, v56
	s_or_b32 s1, vcc_lo, s1
	s_delay_alu instid0(SALU_CYCLE_1)
	s_and_not1_b32 exec_lo, exec_lo, s1
	s_cbranch_execnz .LBB82_269
; %bb.270:
	s_or_b32 exec_lo, exec_lo, s1
.LBB82_271:
	s_delay_alu instid0(SALU_CYCLE_1)
	s_or_b32 exec_lo, exec_lo, s0
.LBB82_272:
	s_delay_alu instid0(SALU_CYCLE_1)
	s_or_b32 exec_lo, exec_lo, s4
	v_mov_b32_e32 v34, 0
	ds_load_b32 v34, v34
	s_wait_dscnt 0x0
	v_mul_f32_e32 v34, v108, v34
.LBB82_273:
	s_or_b32 exec_lo, exec_lo, s3
	s_delay_alu instid0(SALU_CYCLE_1)
	s_and_b32 vcc_lo, exec_lo, s2
	s_cbranch_vccz .LBB82_457
.LBB82_274:
	v_cmp_eq_u32_e64 s0, 0, v0
	s_wait_loadcnt_dscnt 0x1213
	ds_store_b32 v107, v3
	s_wait_loadcnt_dscnt 0x0
	s_barrier_signal -1
	s_barrier_wait -1
	s_and_saveexec_b32 s1, s0
	s_cbranch_execz .LBB82_280
; %bb.275:
	s_and_b32 vcc_lo, exec_lo, s19
	s_cbranch_vccz .LBB82_277
; %bb.276:
	v_cmp_eq_u32_e32 vcc_lo, 1, v0
	ds_load_b32 v21, v107
	v_cndmask_b32_e32 v3, v2, v3, vcc_lo
	v_cmp_eq_u32_e32 vcc_lo, 2, v0
	s_delay_alu instid0(VALU_DEP_2) | instskip(SKIP_1) | instid1(VALU_DEP_2)
	v_cndmask_b32_e32 v3, v3, v4, vcc_lo
	v_cmp_eq_u32_e32 vcc_lo, 3, v0
	v_cndmask_b32_e32 v3, v3, v5, vcc_lo
	v_cmp_eq_u32_e32 vcc_lo, 4, v0
	s_delay_alu instid0(VALU_DEP_2) | instskip(SKIP_1) | instid1(VALU_DEP_2)
	v_cndmask_b32_e32 v3, v3, v6, vcc_lo
	v_cmp_eq_u32_e32 vcc_lo, 5, v0
	;; [unrolled: 5-line block ×8, first 2 shown]
	v_cndmask_b32_e32 v3, v3, v19, vcc_lo
	v_cmp_eq_u32_e32 vcc_lo, 18, v0
	s_delay_alu instid0(VALU_DEP_2) | instskip(SKIP_1) | instid1(VALU_DEP_1)
	v_cndmask_b32_e32 v3, v3, v20, vcc_lo
	s_wait_dscnt 0x0
	v_mul_f32_e32 v3, v3, v21
	s_cbranch_execz .LBB82_278
	s_branch .LBB82_279
.LBB82_277:
                                        ; implicit-def: $vgpr3
.LBB82_278:
	ds_load_b32 v3, v107
.LBB82_279:
	v_mov_b32_e32 v21, 0
	ds_load_b32 v21, v21 offset:4
	s_wait_dscnt 0x0
	v_mul_f32_e32 v3, v3, v21
.LBB82_280:
	s_or_b32 exec_lo, exec_lo, s1
	v_cndmask_b32_e64 v34, 0, 1, s19
	s_mov_b32 s1, exec_lo
	ds_store_b32 v107, v4
	s_wait_dscnt 0x0
	s_barrier_signal -1
	s_barrier_wait -1
	v_cmpx_gt_u32_e32 2, v0
	s_cbranch_execz .LBB82_286
; %bb.281:
	s_and_not1_b32 vcc_lo, exec_lo, s19
	s_cbranch_vccnz .LBB82_283
; %bb.282:
	v_cmp_eq_u32_e32 vcc_lo, 1, v0
	v_cndmask_b32_e32 v21, v2, v3, vcc_lo
	v_cmp_eq_u32_e32 vcc_lo, 2, v0
	s_delay_alu instid0(VALU_DEP_2) | instskip(SKIP_4) | instid1(VALU_DEP_2)
	v_cndmask_b32_e32 v4, v21, v4, vcc_lo
	v_cmp_eq_u32_e32 vcc_lo, 3, v0
	ds_load_b32 v21, v107
	v_cndmask_b32_e32 v4, v4, v5, vcc_lo
	v_cmp_eq_u32_e32 vcc_lo, 4, v0
	v_cndmask_b32_e32 v4, v4, v6, vcc_lo
	v_cmp_eq_u32_e32 vcc_lo, 5, v0
	s_delay_alu instid0(VALU_DEP_2) | instskip(SKIP_1) | instid1(VALU_DEP_2)
	v_cndmask_b32_e32 v4, v4, v7, vcc_lo
	v_cmp_eq_u32_e32 vcc_lo, 6, v0
	v_cndmask_b32_e32 v4, v4, v8, vcc_lo
	v_cmp_eq_u32_e32 vcc_lo, 7, v0
	s_delay_alu instid0(VALU_DEP_2) | instskip(SKIP_1) | instid1(VALU_DEP_2)
	;; [unrolled: 5-line block ×7, first 2 shown]
	v_cndmask_b32_e32 v4, v4, v19, vcc_lo
	v_cmp_eq_u32_e32 vcc_lo, 18, v0
	v_cndmask_b32_e32 v4, v4, v20, vcc_lo
	s_wait_dscnt 0x0
	s_delay_alu instid0(VALU_DEP_1)
	v_mul_f32_e32 v4, v4, v21
	s_cbranch_execz .LBB82_284
	s_branch .LBB82_285
.LBB82_283:
                                        ; implicit-def: $vgpr4
.LBB82_284:
	ds_load_b32 v4, v107
.LBB82_285:
	v_mov_b32_e32 v21, 0
	ds_load_2addr_b32 v[22:23], v21 offset0:2 offset1:21
	s_wait_dscnt 0x0
	v_fma_f32 v21, v3, v23, v4
	s_delay_alu instid0(VALU_DEP_1) | instskip(NEXT) | instid1(VALU_DEP_1)
	v_cndmask_b32_e64 v4, v4, v21, s0
	v_mul_f32_e32 v4, v4, v22
.LBB82_286:
	s_or_b32 exec_lo, exec_lo, s1
	v_add_nc_u32_e32 v35, 1, v0
	v_cmp_gt_u32_e64 s1, 3, v0
	ds_store_b32 v107, v5
	s_wait_dscnt 0x0
	s_barrier_signal -1
	s_barrier_wait -1
	s_and_saveexec_b32 s2, s1
	s_cbranch_execz .LBB82_294
; %bb.287:
	v_cmp_ne_u32_e32 vcc_lo, 1, v34
	s_cbranch_vccnz .LBB82_289
; %bb.288:
	v_cmp_eq_u32_e32 vcc_lo, 1, v0
	ds_load_b32 v22, v107
	v_cndmask_b32_e32 v21, v2, v3, vcc_lo
	v_cmp_eq_u32_e32 vcc_lo, 2, v0
	s_delay_alu instid0(VALU_DEP_2) | instskip(SKIP_1) | instid1(VALU_DEP_2)
	v_cndmask_b32_e32 v21, v21, v4, vcc_lo
	v_cmp_eq_u32_e32 vcc_lo, 3, v0
	v_cndmask_b32_e32 v21, v21, v5, vcc_lo
	v_cmp_eq_u32_e32 vcc_lo, 4, v0
	s_delay_alu instid0(VALU_DEP_2) | instskip(SKIP_1) | instid1(VALU_DEP_2)
	v_cndmask_b32_e32 v21, v21, v6, vcc_lo
	v_cmp_eq_u32_e32 vcc_lo, 5, v0
	;; [unrolled: 5-line block ×8, first 2 shown]
	v_cndmask_b32_e32 v21, v21, v19, vcc_lo
	v_cmp_eq_u32_e32 vcc_lo, 18, v0
	s_delay_alu instid0(VALU_DEP_2) | instskip(SKIP_1) | instid1(VALU_DEP_1)
	v_cndmask_b32_e32 v21, v21, v20, vcc_lo
	s_wait_dscnt 0x0
	v_mul_f32_e32 v21, v21, v22
	s_cbranch_execz .LBB82_290
	s_branch .LBB82_291
.LBB82_289:
                                        ; implicit-def: $vgpr21
.LBB82_290:
	ds_load_b32 v21, v107
.LBB82_291:
	s_mov_b32 s3, exec_lo
	v_cmpx_ne_u32_e32 2, v0
	s_cbranch_execz .LBB82_293
; %bb.292:
	v_cmp_eq_u32_e32 vcc_lo, 1, v35
	v_dual_mov_b32 v23, 0 :: v_dual_cndmask_b32 v22, v2, v3
	v_cmp_eq_u32_e32 vcc_lo, 2, v35
	ds_load_b32 v23, v23 offset:88
	v_cndmask_b32_e32 v22, v22, v4, vcc_lo
	v_cmp_eq_u32_e32 vcc_lo, 3, v35
	s_delay_alu instid0(VALU_DEP_2) | instskip(SKIP_4) | instid1(VALU_DEP_2)
	v_cndmask_b32_e32 v5, v22, v5, vcc_lo
	v_cmp_eq_u32_e32 vcc_lo, 4, v35
	ds_load_b32 v22, v107 offset:4
	v_cndmask_b32_e32 v5, v5, v6, vcc_lo
	v_cmp_eq_u32_e32 vcc_lo, 5, v35
	v_cndmask_b32_e32 v5, v5, v7, vcc_lo
	v_cmp_eq_u32_e32 vcc_lo, 6, v35
	s_delay_alu instid0(VALU_DEP_2) | instskip(SKIP_1) | instid1(VALU_DEP_2)
	v_cndmask_b32_e32 v5, v5, v8, vcc_lo
	v_cmp_eq_u32_e32 vcc_lo, 7, v35
	v_cndmask_b32_e32 v5, v5, v9, vcc_lo
	v_cmp_eq_u32_e32 vcc_lo, 8, v35
	s_delay_alu instid0(VALU_DEP_2) | instskip(SKIP_1) | instid1(VALU_DEP_2)
	;; [unrolled: 5-line block ×6, first 2 shown]
	v_cndmask_b32_e32 v5, v5, v18, vcc_lo
	v_cmp_eq_u32_e32 vcc_lo, 17, v35
	v_cndmask_b32_e32 v5, v5, v19, vcc_lo
	v_cmp_eq_u32_e32 vcc_lo, 18, v35
	s_delay_alu instid0(VALU_DEP_2) | instskip(SKIP_1) | instid1(VALU_DEP_1)
	v_cndmask_b32_e32 v5, v5, v20, vcc_lo
	s_wait_dscnt 0x0
	v_fmac_f32_e32 v21, v5, v22
	s_delay_alu instid0(VALU_DEP_1) | instskip(NEXT) | instid1(VALU_DEP_1)
	v_fma_f32 v5, v4, v23, v21
	v_cndmask_b32_e64 v21, v21, v5, s0
.LBB82_293:
	s_or_b32 exec_lo, exec_lo, s3
	v_mov_b32_e32 v5, 0
	ds_load_b32 v5, v5 offset:12
	s_wait_dscnt 0x0
	v_mul_f32_e32 v5, v21, v5
.LBB82_294:
	s_or_b32 exec_lo, exec_lo, s2
	s_delay_alu instid0(SALU_CYCLE_1)
	s_mov_b32 s2, exec_lo
	ds_store_b32 v107, v6
	s_wait_dscnt 0x0
	s_barrier_signal -1
	s_barrier_wait -1
	v_cmpx_gt_u32_e32 4, v0
	s_cbranch_execz .LBB82_304
; %bb.295:
	v_cmp_ne_u32_e32 vcc_lo, 1, v34
	s_cbranch_vccnz .LBB82_297
; %bb.296:
	v_cmp_eq_u32_e32 vcc_lo, 1, v0
	ds_load_b32 v22, v107
	v_cndmask_b32_e32 v21, v2, v3, vcc_lo
	v_cmp_eq_u32_e32 vcc_lo, 2, v0
	s_delay_alu instid0(VALU_DEP_2) | instskip(SKIP_1) | instid1(VALU_DEP_2)
	v_cndmask_b32_e32 v21, v21, v4, vcc_lo
	v_cmp_eq_u32_e32 vcc_lo, 3, v0
	v_cndmask_b32_e32 v21, v21, v5, vcc_lo
	v_cmp_eq_u32_e32 vcc_lo, 4, v0
	s_delay_alu instid0(VALU_DEP_2) | instskip(SKIP_1) | instid1(VALU_DEP_2)
	v_cndmask_b32_e32 v21, v21, v6, vcc_lo
	v_cmp_eq_u32_e32 vcc_lo, 5, v0
	v_cndmask_b32_e32 v21, v21, v7, vcc_lo
	v_cmp_eq_u32_e32 vcc_lo, 6, v0
	s_delay_alu instid0(VALU_DEP_2) | instskip(SKIP_1) | instid1(VALU_DEP_2)
	v_cndmask_b32_e32 v21, v21, v8, vcc_lo
	v_cmp_eq_u32_e32 vcc_lo, 7, v0
	v_cndmask_b32_e32 v21, v21, v9, vcc_lo
	v_cmp_eq_u32_e32 vcc_lo, 8, v0
	s_delay_alu instid0(VALU_DEP_2) | instskip(SKIP_1) | instid1(VALU_DEP_2)
	v_cndmask_b32_e32 v21, v21, v10, vcc_lo
	v_cmp_eq_u32_e32 vcc_lo, 9, v0
	v_cndmask_b32_e32 v21, v21, v11, vcc_lo
	v_cmp_eq_u32_e32 vcc_lo, 10, v0
	s_delay_alu instid0(VALU_DEP_2) | instskip(SKIP_1) | instid1(VALU_DEP_2)
	v_cndmask_b32_e32 v21, v21, v12, vcc_lo
	v_cmp_eq_u32_e32 vcc_lo, 11, v0
	v_cndmask_b32_e32 v21, v21, v13, vcc_lo
	v_cmp_eq_u32_e32 vcc_lo, 12, v0
	s_delay_alu instid0(VALU_DEP_2) | instskip(SKIP_1) | instid1(VALU_DEP_2)
	v_cndmask_b32_e32 v21, v21, v14, vcc_lo
	v_cmp_eq_u32_e32 vcc_lo, 13, v0
	v_cndmask_b32_e32 v21, v21, v15, vcc_lo
	v_cmp_eq_u32_e32 vcc_lo, 14, v0
	s_delay_alu instid0(VALU_DEP_2) | instskip(SKIP_1) | instid1(VALU_DEP_2)
	v_cndmask_b32_e32 v21, v21, v16, vcc_lo
	v_cmp_eq_u32_e32 vcc_lo, 15, v0
	v_cndmask_b32_e32 v21, v21, v17, vcc_lo
	v_cmp_eq_u32_e32 vcc_lo, 16, v0
	s_delay_alu instid0(VALU_DEP_2) | instskip(SKIP_1) | instid1(VALU_DEP_2)
	v_cndmask_b32_e32 v21, v21, v18, vcc_lo
	v_cmp_eq_u32_e32 vcc_lo, 17, v0
	v_cndmask_b32_e32 v21, v21, v19, vcc_lo
	v_cmp_eq_u32_e32 vcc_lo, 18, v0
	s_delay_alu instid0(VALU_DEP_2) | instskip(SKIP_1) | instid1(VALU_DEP_1)
	v_cndmask_b32_e32 v21, v21, v20, vcc_lo
	s_wait_dscnt 0x0
	v_mul_f32_e32 v21, v21, v22
	s_cbranch_execz .LBB82_298
	s_branch .LBB82_299
.LBB82_297:
                                        ; implicit-def: $vgpr21
.LBB82_298:
	ds_load_b32 v21, v107
.LBB82_299:
	s_mov_b32 s3, exec_lo
	v_cmpx_ne_u32_e32 3, v0
	s_cbranch_execz .LBB82_303
; %bb.300:
	v_mov_b64_e32 v[22:23], v[0:1]
	v_lshl_add_u32 v24, v0, 2, 0x54
	s_mov_b32 s4, 0
.LBB82_301:                             ; =>This Inner Loop Header: Depth=1
	s_delay_alu instid0(VALU_DEP_2)
	v_add_nc_u64_e32 v[22:23], 1, v[22:23]
	ds_load_b32 v26, v24
	v_add_nc_u32_e32 v24, 4, v24
	v_cmp_eq_u32_e32 vcc_lo, 1, v22
	v_cndmask_b32_e32 v25, v2, v3, vcc_lo
	v_cmp_eq_u32_e32 vcc_lo, 2, v22
	s_delay_alu instid0(VALU_DEP_2) | instskip(SKIP_1) | instid1(VALU_DEP_2)
	v_cndmask_b32_e32 v25, v25, v4, vcc_lo
	v_cmp_eq_u32_e32 vcc_lo, 3, v22
	v_cndmask_b32_e32 v25, v25, v5, vcc_lo
	v_cmp_eq_u32_e32 vcc_lo, 4, v22
	s_delay_alu instid0(VALU_DEP_2) | instskip(SKIP_1) | instid1(VALU_DEP_2)
	v_cndmask_b32_e32 v25, v25, v6, vcc_lo
	;; [unrolled: 5-line block ×8, first 2 shown]
	v_cmp_eq_u32_e32 vcc_lo, 17, v22
	v_cndmask_b32_e32 v25, v25, v19, vcc_lo
	v_cmp_eq_u32_e32 vcc_lo, 18, v22
	s_delay_alu instid0(VALU_DEP_2) | instskip(SKIP_2) | instid1(VALU_DEP_2)
	v_cndmask_b32_e32 v25, v25, v20, vcc_lo
	v_cmp_lt_u32_e32 vcc_lo, 2, v22
	s_wait_dscnt 0x0
	v_fmac_f32_e32 v21, v25, v26
	s_or_b32 s4, vcc_lo, s4
	s_delay_alu instid0(SALU_CYCLE_1)
	s_and_not1_b32 exec_lo, exec_lo, s4
	s_cbranch_execnz .LBB82_301
; %bb.302:
	s_or_b32 exec_lo, exec_lo, s4
.LBB82_303:
	s_delay_alu instid0(SALU_CYCLE_1)
	s_or_b32 exec_lo, exec_lo, s3
	v_mov_b32_e32 v6, 0
	ds_load_b32 v6, v6 offset:16
	s_wait_dscnt 0x0
	v_mul_f32_e32 v6, v21, v6
.LBB82_304:
	s_or_b32 exec_lo, exec_lo, s2
	v_cmp_gt_u32_e64 s2, 5, v0
	ds_store_b32 v107, v7
	s_wait_dscnt 0x0
	s_barrier_signal -1
	s_barrier_wait -1
	s_and_saveexec_b32 s3, s2
	s_cbranch_execz .LBB82_314
; %bb.305:
	v_cmp_ne_u32_e32 vcc_lo, 1, v34
	s_cbranch_vccnz .LBB82_307
; %bb.306:
	v_cmp_eq_u32_e32 vcc_lo, 1, v0
	ds_load_b32 v22, v107
	v_cndmask_b32_e32 v21, v2, v3, vcc_lo
	v_cmp_eq_u32_e32 vcc_lo, 2, v0
	s_delay_alu instid0(VALU_DEP_2) | instskip(SKIP_1) | instid1(VALU_DEP_2)
	v_cndmask_b32_e32 v21, v21, v4, vcc_lo
	v_cmp_eq_u32_e32 vcc_lo, 3, v0
	v_cndmask_b32_e32 v21, v21, v5, vcc_lo
	v_cmp_eq_u32_e32 vcc_lo, 4, v0
	s_delay_alu instid0(VALU_DEP_2) | instskip(SKIP_1) | instid1(VALU_DEP_2)
	v_cndmask_b32_e32 v21, v21, v6, vcc_lo
	v_cmp_eq_u32_e32 vcc_lo, 5, v0
	;; [unrolled: 5-line block ×8, first 2 shown]
	v_cndmask_b32_e32 v21, v21, v19, vcc_lo
	v_cmp_eq_u32_e32 vcc_lo, 18, v0
	s_delay_alu instid0(VALU_DEP_2) | instskip(SKIP_1) | instid1(VALU_DEP_1)
	v_cndmask_b32_e32 v21, v21, v20, vcc_lo
	s_wait_dscnt 0x0
	v_mul_f32_e32 v21, v21, v22
	s_cbranch_execz .LBB82_308
	s_branch .LBB82_309
.LBB82_307:
                                        ; implicit-def: $vgpr21
.LBB82_308:
	ds_load_b32 v21, v107
.LBB82_309:
	s_mov_b32 s4, exec_lo
	v_cmpx_ne_u32_e32 4, v0
	s_cbranch_execz .LBB82_313
; %bb.310:
	v_mov_b64_e32 v[22:23], v[0:1]
	v_lshl_add_u32 v24, v0, 2, 0x54
	s_mov_b32 s5, 0
.LBB82_311:                             ; =>This Inner Loop Header: Depth=1
	s_delay_alu instid0(VALU_DEP_2)
	v_add_nc_u64_e32 v[22:23], 1, v[22:23]
	ds_load_b32 v26, v24
	v_add_nc_u32_e32 v24, 4, v24
	v_cmp_eq_u32_e32 vcc_lo, 1, v22
	v_cndmask_b32_e32 v25, v2, v3, vcc_lo
	v_cmp_eq_u32_e32 vcc_lo, 2, v22
	s_delay_alu instid0(VALU_DEP_2) | instskip(SKIP_1) | instid1(VALU_DEP_2)
	v_cndmask_b32_e32 v25, v25, v4, vcc_lo
	v_cmp_eq_u32_e32 vcc_lo, 3, v22
	v_cndmask_b32_e32 v25, v25, v5, vcc_lo
	v_cmp_eq_u32_e32 vcc_lo, 4, v22
	s_delay_alu instid0(VALU_DEP_2) | instskip(SKIP_1) | instid1(VALU_DEP_2)
	v_cndmask_b32_e32 v25, v25, v6, vcc_lo
	;; [unrolled: 5-line block ×8, first 2 shown]
	v_cmp_eq_u32_e32 vcc_lo, 17, v22
	v_cndmask_b32_e32 v25, v25, v19, vcc_lo
	v_cmp_eq_u32_e32 vcc_lo, 18, v22
	s_delay_alu instid0(VALU_DEP_2) | instskip(SKIP_2) | instid1(VALU_DEP_2)
	v_cndmask_b32_e32 v25, v25, v20, vcc_lo
	v_cmp_lt_u32_e32 vcc_lo, 3, v22
	s_wait_dscnt 0x0
	v_fmac_f32_e32 v21, v25, v26
	s_or_b32 s5, vcc_lo, s5
	s_delay_alu instid0(SALU_CYCLE_1)
	s_and_not1_b32 exec_lo, exec_lo, s5
	s_cbranch_execnz .LBB82_311
; %bb.312:
	s_or_b32 exec_lo, exec_lo, s5
.LBB82_313:
	s_delay_alu instid0(SALU_CYCLE_1)
	s_or_b32 exec_lo, exec_lo, s4
	v_mov_b32_e32 v7, 0
	ds_load_b32 v7, v7 offset:20
	s_wait_dscnt 0x0
	v_mul_f32_e32 v7, v21, v7
.LBB82_314:
	s_or_b32 exec_lo, exec_lo, s3
	s_delay_alu instid0(SALU_CYCLE_1)
	s_mov_b32 s3, exec_lo
	ds_store_b32 v107, v8
	s_wait_dscnt 0x0
	s_barrier_signal -1
	s_barrier_wait -1
	v_cmpx_gt_u32_e32 6, v0
	s_cbranch_execz .LBB82_324
; %bb.315:
	v_cmp_ne_u32_e32 vcc_lo, 1, v34
	s_cbranch_vccnz .LBB82_317
; %bb.316:
	v_cmp_eq_u32_e32 vcc_lo, 1, v0
	ds_load_b32 v22, v107
	v_cndmask_b32_e32 v21, v2, v3, vcc_lo
	v_cmp_eq_u32_e32 vcc_lo, 2, v0
	s_delay_alu instid0(VALU_DEP_2) | instskip(SKIP_1) | instid1(VALU_DEP_2)
	v_cndmask_b32_e32 v21, v21, v4, vcc_lo
	v_cmp_eq_u32_e32 vcc_lo, 3, v0
	v_cndmask_b32_e32 v21, v21, v5, vcc_lo
	v_cmp_eq_u32_e32 vcc_lo, 4, v0
	s_delay_alu instid0(VALU_DEP_2) | instskip(SKIP_1) | instid1(VALU_DEP_2)
	v_cndmask_b32_e32 v21, v21, v6, vcc_lo
	v_cmp_eq_u32_e32 vcc_lo, 5, v0
	;; [unrolled: 5-line block ×8, first 2 shown]
	v_cndmask_b32_e32 v21, v21, v19, vcc_lo
	v_cmp_eq_u32_e32 vcc_lo, 18, v0
	s_delay_alu instid0(VALU_DEP_2) | instskip(SKIP_1) | instid1(VALU_DEP_1)
	v_cndmask_b32_e32 v21, v21, v20, vcc_lo
	s_wait_dscnt 0x0
	v_mul_f32_e32 v21, v21, v22
	s_cbranch_execz .LBB82_318
	s_branch .LBB82_319
.LBB82_317:
                                        ; implicit-def: $vgpr21
.LBB82_318:
	ds_load_b32 v21, v107
.LBB82_319:
	s_mov_b32 s4, exec_lo
	v_cmpx_ne_u32_e32 5, v0
	s_cbranch_execz .LBB82_323
; %bb.320:
	v_mov_b64_e32 v[22:23], v[0:1]
	v_lshl_add_u32 v24, v0, 2, 0x54
	s_mov_b32 s5, 0
.LBB82_321:                             ; =>This Inner Loop Header: Depth=1
	s_delay_alu instid0(VALU_DEP_2)
	v_add_nc_u64_e32 v[22:23], 1, v[22:23]
	ds_load_b32 v26, v24
	v_add_nc_u32_e32 v24, 4, v24
	v_cmp_eq_u32_e32 vcc_lo, 1, v22
	v_cndmask_b32_e32 v25, v2, v3, vcc_lo
	v_cmp_eq_u32_e32 vcc_lo, 2, v22
	s_delay_alu instid0(VALU_DEP_2) | instskip(SKIP_1) | instid1(VALU_DEP_2)
	v_cndmask_b32_e32 v25, v25, v4, vcc_lo
	v_cmp_eq_u32_e32 vcc_lo, 3, v22
	v_cndmask_b32_e32 v25, v25, v5, vcc_lo
	v_cmp_eq_u32_e32 vcc_lo, 4, v22
	s_delay_alu instid0(VALU_DEP_2) | instskip(SKIP_1) | instid1(VALU_DEP_2)
	v_cndmask_b32_e32 v25, v25, v6, vcc_lo
	;; [unrolled: 5-line block ×8, first 2 shown]
	v_cmp_eq_u32_e32 vcc_lo, 17, v22
	v_cndmask_b32_e32 v25, v25, v19, vcc_lo
	v_cmp_eq_u32_e32 vcc_lo, 18, v22
	s_delay_alu instid0(VALU_DEP_2) | instskip(SKIP_2) | instid1(VALU_DEP_2)
	v_cndmask_b32_e32 v25, v25, v20, vcc_lo
	v_cmp_lt_u32_e32 vcc_lo, 4, v22
	s_wait_dscnt 0x0
	v_fmac_f32_e32 v21, v25, v26
	s_or_b32 s5, vcc_lo, s5
	s_delay_alu instid0(SALU_CYCLE_1)
	s_and_not1_b32 exec_lo, exec_lo, s5
	s_cbranch_execnz .LBB82_321
; %bb.322:
	s_or_b32 exec_lo, exec_lo, s5
.LBB82_323:
	s_delay_alu instid0(SALU_CYCLE_1)
	s_or_b32 exec_lo, exec_lo, s4
	v_mov_b32_e32 v8, 0
	ds_load_b32 v8, v8 offset:24
	s_wait_dscnt 0x0
	v_mul_f32_e32 v8, v21, v8
.LBB82_324:
	s_or_b32 exec_lo, exec_lo, s3
	v_cmp_gt_u32_e64 s3, 7, v0
	ds_store_b32 v107, v9
	s_wait_dscnt 0x0
	s_barrier_signal -1
	s_barrier_wait -1
	s_and_saveexec_b32 s4, s3
	s_cbranch_execz .LBB82_334
; %bb.325:
	v_cmp_ne_u32_e32 vcc_lo, 1, v34
	s_cbranch_vccnz .LBB82_327
; %bb.326:
	v_cmp_eq_u32_e32 vcc_lo, 1, v0
	ds_load_b32 v22, v107
	v_cndmask_b32_e32 v21, v2, v3, vcc_lo
	v_cmp_eq_u32_e32 vcc_lo, 2, v0
	s_delay_alu instid0(VALU_DEP_2) | instskip(SKIP_1) | instid1(VALU_DEP_2)
	v_cndmask_b32_e32 v21, v21, v4, vcc_lo
	v_cmp_eq_u32_e32 vcc_lo, 3, v0
	v_cndmask_b32_e32 v21, v21, v5, vcc_lo
	v_cmp_eq_u32_e32 vcc_lo, 4, v0
	s_delay_alu instid0(VALU_DEP_2) | instskip(SKIP_1) | instid1(VALU_DEP_2)
	v_cndmask_b32_e32 v21, v21, v6, vcc_lo
	v_cmp_eq_u32_e32 vcc_lo, 5, v0
	;; [unrolled: 5-line block ×8, first 2 shown]
	v_cndmask_b32_e32 v21, v21, v19, vcc_lo
	v_cmp_eq_u32_e32 vcc_lo, 18, v0
	s_delay_alu instid0(VALU_DEP_2) | instskip(SKIP_1) | instid1(VALU_DEP_1)
	v_cndmask_b32_e32 v21, v21, v20, vcc_lo
	s_wait_dscnt 0x0
	v_mul_f32_e32 v21, v21, v22
	s_cbranch_execz .LBB82_328
	s_branch .LBB82_329
.LBB82_327:
                                        ; implicit-def: $vgpr21
.LBB82_328:
	ds_load_b32 v21, v107
.LBB82_329:
	s_mov_b32 s5, exec_lo
	v_cmpx_ne_u32_e32 6, v0
	s_cbranch_execz .LBB82_333
; %bb.330:
	v_mov_b64_e32 v[22:23], v[0:1]
	v_lshl_add_u32 v24, v0, 2, 0x54
	s_mov_b32 s6, 0
.LBB82_331:                             ; =>This Inner Loop Header: Depth=1
	s_delay_alu instid0(VALU_DEP_2)
	v_add_nc_u64_e32 v[22:23], 1, v[22:23]
	ds_load_b32 v26, v24
	v_add_nc_u32_e32 v24, 4, v24
	v_cmp_eq_u32_e32 vcc_lo, 1, v22
	v_cndmask_b32_e32 v25, v2, v3, vcc_lo
	v_cmp_eq_u32_e32 vcc_lo, 2, v22
	s_delay_alu instid0(VALU_DEP_2) | instskip(SKIP_1) | instid1(VALU_DEP_2)
	v_cndmask_b32_e32 v25, v25, v4, vcc_lo
	v_cmp_eq_u32_e32 vcc_lo, 3, v22
	v_cndmask_b32_e32 v25, v25, v5, vcc_lo
	v_cmp_eq_u32_e32 vcc_lo, 4, v22
	s_delay_alu instid0(VALU_DEP_2) | instskip(SKIP_1) | instid1(VALU_DEP_2)
	v_cndmask_b32_e32 v25, v25, v6, vcc_lo
	;; [unrolled: 5-line block ×8, first 2 shown]
	v_cmp_eq_u32_e32 vcc_lo, 17, v22
	v_cndmask_b32_e32 v25, v25, v19, vcc_lo
	v_cmp_eq_u32_e32 vcc_lo, 18, v22
	s_delay_alu instid0(VALU_DEP_2) | instskip(SKIP_2) | instid1(VALU_DEP_2)
	v_cndmask_b32_e32 v25, v25, v20, vcc_lo
	v_cmp_lt_u32_e32 vcc_lo, 5, v22
	s_wait_dscnt 0x0
	v_fmac_f32_e32 v21, v25, v26
	s_or_b32 s6, vcc_lo, s6
	s_delay_alu instid0(SALU_CYCLE_1)
	s_and_not1_b32 exec_lo, exec_lo, s6
	s_cbranch_execnz .LBB82_331
; %bb.332:
	s_or_b32 exec_lo, exec_lo, s6
.LBB82_333:
	s_delay_alu instid0(SALU_CYCLE_1)
	s_or_b32 exec_lo, exec_lo, s5
	v_mov_b32_e32 v9, 0
	ds_load_b32 v9, v9 offset:28
	s_wait_dscnt 0x0
	v_mul_f32_e32 v9, v21, v9
.LBB82_334:
	s_or_b32 exec_lo, exec_lo, s4
	s_delay_alu instid0(SALU_CYCLE_1)
	s_mov_b32 s4, exec_lo
	ds_store_b32 v107, v10
	s_wait_dscnt 0x0
	s_barrier_signal -1
	s_barrier_wait -1
	v_cmpx_gt_u32_e32 8, v0
	s_cbranch_execz .LBB82_344
; %bb.335:
	v_cmp_ne_u32_e32 vcc_lo, 1, v34
	s_cbranch_vccnz .LBB82_337
; %bb.336:
	v_cmp_eq_u32_e32 vcc_lo, 1, v0
	ds_load_b32 v22, v107
	v_cndmask_b32_e32 v21, v2, v3, vcc_lo
	v_cmp_eq_u32_e32 vcc_lo, 2, v0
	s_delay_alu instid0(VALU_DEP_2) | instskip(SKIP_1) | instid1(VALU_DEP_2)
	v_cndmask_b32_e32 v21, v21, v4, vcc_lo
	v_cmp_eq_u32_e32 vcc_lo, 3, v0
	v_cndmask_b32_e32 v21, v21, v5, vcc_lo
	v_cmp_eq_u32_e32 vcc_lo, 4, v0
	s_delay_alu instid0(VALU_DEP_2) | instskip(SKIP_1) | instid1(VALU_DEP_2)
	v_cndmask_b32_e32 v21, v21, v6, vcc_lo
	v_cmp_eq_u32_e32 vcc_lo, 5, v0
	;; [unrolled: 5-line block ×8, first 2 shown]
	v_cndmask_b32_e32 v21, v21, v19, vcc_lo
	v_cmp_eq_u32_e32 vcc_lo, 18, v0
	s_delay_alu instid0(VALU_DEP_2) | instskip(SKIP_1) | instid1(VALU_DEP_1)
	v_cndmask_b32_e32 v21, v21, v20, vcc_lo
	s_wait_dscnt 0x0
	v_mul_f32_e32 v21, v21, v22
	s_cbranch_execz .LBB82_338
	s_branch .LBB82_339
.LBB82_337:
                                        ; implicit-def: $vgpr21
.LBB82_338:
	ds_load_b32 v21, v107
.LBB82_339:
	s_mov_b32 s5, exec_lo
	v_cmpx_ne_u32_e32 7, v0
	s_cbranch_execz .LBB82_343
; %bb.340:
	v_mov_b64_e32 v[22:23], v[0:1]
	v_lshl_add_u32 v24, v0, 2, 0x54
	s_mov_b32 s6, 0
.LBB82_341:                             ; =>This Inner Loop Header: Depth=1
	s_delay_alu instid0(VALU_DEP_2)
	v_add_nc_u64_e32 v[22:23], 1, v[22:23]
	ds_load_b32 v26, v24
	v_add_nc_u32_e32 v24, 4, v24
	v_cmp_eq_u32_e32 vcc_lo, 1, v22
	v_cndmask_b32_e32 v25, v2, v3, vcc_lo
	v_cmp_eq_u32_e32 vcc_lo, 2, v22
	s_delay_alu instid0(VALU_DEP_2) | instskip(SKIP_1) | instid1(VALU_DEP_2)
	v_cndmask_b32_e32 v25, v25, v4, vcc_lo
	v_cmp_eq_u32_e32 vcc_lo, 3, v22
	v_cndmask_b32_e32 v25, v25, v5, vcc_lo
	v_cmp_eq_u32_e32 vcc_lo, 4, v22
	s_delay_alu instid0(VALU_DEP_2) | instskip(SKIP_1) | instid1(VALU_DEP_2)
	v_cndmask_b32_e32 v25, v25, v6, vcc_lo
	;; [unrolled: 5-line block ×8, first 2 shown]
	v_cmp_eq_u32_e32 vcc_lo, 17, v22
	v_cndmask_b32_e32 v25, v25, v19, vcc_lo
	v_cmp_eq_u32_e32 vcc_lo, 18, v22
	s_delay_alu instid0(VALU_DEP_2) | instskip(SKIP_2) | instid1(VALU_DEP_2)
	v_cndmask_b32_e32 v25, v25, v20, vcc_lo
	v_cmp_lt_u32_e32 vcc_lo, 6, v22
	s_wait_dscnt 0x0
	v_fmac_f32_e32 v21, v25, v26
	s_or_b32 s6, vcc_lo, s6
	s_delay_alu instid0(SALU_CYCLE_1)
	s_and_not1_b32 exec_lo, exec_lo, s6
	s_cbranch_execnz .LBB82_341
; %bb.342:
	s_or_b32 exec_lo, exec_lo, s6
.LBB82_343:
	s_delay_alu instid0(SALU_CYCLE_1)
	s_or_b32 exec_lo, exec_lo, s5
	v_mov_b32_e32 v10, 0
	ds_load_b32 v10, v10 offset:32
	s_wait_dscnt 0x0
	v_mul_f32_e32 v10, v21, v10
.LBB82_344:
	s_or_b32 exec_lo, exec_lo, s4
	s_delay_alu instid0(SALU_CYCLE_1)
	s_mov_b32 s4, exec_lo
	ds_store_b32 v107, v11
	s_wait_dscnt 0x0
	s_barrier_signal -1
	s_barrier_wait -1
	v_cmpx_gt_u32_e32 9, v0
	s_cbranch_execz .LBB82_366
; %bb.345:
	v_cmp_ne_u32_e32 vcc_lo, 1, v34
	s_cbranch_vccnz .LBB82_347
; %bb.346:
	v_cmp_eq_u32_e32 vcc_lo, 1, v0
	ds_load_b32 v22, v107
	v_cndmask_b32_e32 v21, v2, v3, vcc_lo
	v_cmp_eq_u32_e32 vcc_lo, 2, v0
	s_delay_alu instid0(VALU_DEP_2) | instskip(SKIP_1) | instid1(VALU_DEP_2)
	v_cndmask_b32_e32 v21, v21, v4, vcc_lo
	v_cmp_eq_u32_e32 vcc_lo, 3, v0
	v_cndmask_b32_e32 v21, v21, v5, vcc_lo
	v_cmp_eq_u32_e32 vcc_lo, 4, v0
	s_delay_alu instid0(VALU_DEP_2) | instskip(SKIP_1) | instid1(VALU_DEP_2)
	v_cndmask_b32_e32 v21, v21, v6, vcc_lo
	v_cmp_eq_u32_e32 vcc_lo, 5, v0
	;; [unrolled: 5-line block ×8, first 2 shown]
	v_cndmask_b32_e32 v21, v21, v19, vcc_lo
	v_cmp_eq_u32_e32 vcc_lo, 18, v0
	s_delay_alu instid0(VALU_DEP_2) | instskip(SKIP_1) | instid1(VALU_DEP_1)
	v_cndmask_b32_e32 v21, v21, v20, vcc_lo
	s_wait_dscnt 0x0
	v_mul_f32_e32 v21, v21, v22
	s_cbranch_execz .LBB82_348
	s_branch .LBB82_349
.LBB82_347:
                                        ; implicit-def: $vgpr21
.LBB82_348:
	ds_load_b32 v21, v107
.LBB82_349:
	s_mov_b32 s5, exec_lo
	v_cmpx_ne_u32_e32 8, v0
	s_cbranch_execz .LBB82_365
; %bb.350:
	v_cmp_eq_u32_e32 vcc_lo, 1, v35
	ds_load_b32 v23, v107 offset:4
	v_cndmask_b32_e32 v22, v2, v3, vcc_lo
	v_cmp_eq_u32_e32 vcc_lo, 2, v35
	s_delay_alu instid0(VALU_DEP_2) | instskip(SKIP_1) | instid1(VALU_DEP_2)
	v_cndmask_b32_e32 v22, v22, v4, vcc_lo
	v_cmp_eq_u32_e32 vcc_lo, 3, v35
	v_cndmask_b32_e32 v22, v22, v5, vcc_lo
	v_cmp_eq_u32_e32 vcc_lo, 4, v35
	s_delay_alu instid0(VALU_DEP_2) | instskip(SKIP_1) | instid1(VALU_DEP_2)
	v_cndmask_b32_e32 v22, v22, v6, vcc_lo
	v_cmp_eq_u32_e32 vcc_lo, 5, v35
	;; [unrolled: 5-line block ×8, first 2 shown]
	v_cndmask_b32_e32 v22, v22, v19, vcc_lo
	v_cmp_eq_u32_e32 vcc_lo, 18, v35
	s_delay_alu instid0(VALU_DEP_2) | instskip(SKIP_1) | instid1(VALU_DEP_1)
	v_cndmask_b32_e32 v22, v22, v20, vcc_lo
	s_wait_dscnt 0x0
	v_fmac_f32_e32 v21, v22, v23
	s_and_saveexec_b32 s6, s3
	s_cbranch_execz .LBB82_364
; %bb.351:
	v_add_nc_u32_e32 v22, 2, v0
	ds_load_b32 v24, v107 offset:8
	s_mov_b32 s3, exec_lo
	v_cmp_eq_u32_e32 vcc_lo, 1, v22
	v_cndmask_b32_e32 v23, v2, v3, vcc_lo
	v_cmp_eq_u32_e32 vcc_lo, 2, v22
	s_delay_alu instid0(VALU_DEP_2) | instskip(SKIP_1) | instid1(VALU_DEP_2)
	v_cndmask_b32_e32 v23, v23, v4, vcc_lo
	v_cmp_eq_u32_e32 vcc_lo, 3, v22
	v_cndmask_b32_e32 v23, v23, v5, vcc_lo
	v_cmp_eq_u32_e32 vcc_lo, 4, v22
	s_delay_alu instid0(VALU_DEP_2) | instskip(SKIP_1) | instid1(VALU_DEP_2)
	v_cndmask_b32_e32 v23, v23, v6, vcc_lo
	;; [unrolled: 5-line block ×8, first 2 shown]
	v_cmp_eq_u32_e32 vcc_lo, 17, v22
	v_cndmask_b32_e32 v23, v23, v19, vcc_lo
	v_cmp_eq_u32_e32 vcc_lo, 18, v22
	s_delay_alu instid0(VALU_DEP_2) | instskip(SKIP_1) | instid1(VALU_DEP_1)
	v_cndmask_b32_e32 v22, v23, v20, vcc_lo
	s_wait_dscnt 0x0
	v_fmac_f32_e32 v21, v22, v24
	v_cmpx_ne_u32_e32 6, v0
	s_cbranch_execz .LBB82_363
; %bb.352:
	v_add_nc_u32_e32 v22, 3, v0
	ds_load_b32 v24, v107 offset:12
	v_cmp_eq_u32_e32 vcc_lo, 1, v22
	v_cndmask_b32_e32 v23, v2, v3, vcc_lo
	v_cmp_eq_u32_e32 vcc_lo, 2, v22
	s_delay_alu instid0(VALU_DEP_2) | instskip(SKIP_1) | instid1(VALU_DEP_2)
	v_cndmask_b32_e32 v23, v23, v4, vcc_lo
	v_cmp_eq_u32_e32 vcc_lo, 3, v22
	v_cndmask_b32_e32 v23, v23, v5, vcc_lo
	v_cmp_eq_u32_e32 vcc_lo, 4, v22
	s_delay_alu instid0(VALU_DEP_2) | instskip(SKIP_1) | instid1(VALU_DEP_2)
	v_cndmask_b32_e32 v23, v23, v6, vcc_lo
	;; [unrolled: 5-line block ×8, first 2 shown]
	v_cmp_eq_u32_e32 vcc_lo, 17, v22
	v_cndmask_b32_e32 v23, v23, v19, vcc_lo
	v_cmp_eq_u32_e32 vcc_lo, 18, v22
	s_delay_alu instid0(VALU_DEP_2) | instskip(SKIP_1) | instid1(VALU_DEP_1)
	v_cndmask_b32_e32 v22, v23, v20, vcc_lo
	s_wait_dscnt 0x0
	v_fmac_f32_e32 v21, v22, v24
	s_and_saveexec_b32 s7, s2
	s_cbranch_execz .LBB82_362
; %bb.353:
	v_add_nc_u32_e32 v22, 4, v0
	ds_load_b32 v24, v107 offset:16
	s_mov_b32 s2, exec_lo
	v_cmp_eq_u32_e32 vcc_lo, 1, v22
	v_cndmask_b32_e32 v23, v2, v3, vcc_lo
	v_cmp_eq_u32_e32 vcc_lo, 2, v22
	s_delay_alu instid0(VALU_DEP_2) | instskip(SKIP_1) | instid1(VALU_DEP_2)
	v_cndmask_b32_e32 v23, v23, v4, vcc_lo
	v_cmp_eq_u32_e32 vcc_lo, 3, v22
	v_cndmask_b32_e32 v23, v23, v5, vcc_lo
	v_cmp_eq_u32_e32 vcc_lo, 4, v22
	s_delay_alu instid0(VALU_DEP_2) | instskip(SKIP_1) | instid1(VALU_DEP_2)
	v_cndmask_b32_e32 v23, v23, v6, vcc_lo
	;; [unrolled: 5-line block ×8, first 2 shown]
	v_cmp_eq_u32_e32 vcc_lo, 17, v22
	v_cndmask_b32_e32 v23, v23, v19, vcc_lo
	v_cmp_eq_u32_e32 vcc_lo, 18, v22
	s_delay_alu instid0(VALU_DEP_2) | instskip(SKIP_1) | instid1(VALU_DEP_1)
	v_cndmask_b32_e32 v22, v23, v20, vcc_lo
	s_wait_dscnt 0x0
	v_fmac_f32_e32 v21, v22, v24
	v_cmpx_ne_u32_e32 4, v0
	s_cbranch_execz .LBB82_361
; %bb.354:
	v_add_nc_u32_e32 v22, 5, v0
	ds_load_b32 v24, v107 offset:20
	v_cmp_eq_u32_e32 vcc_lo, 1, v22
	v_cndmask_b32_e32 v23, v2, v3, vcc_lo
	v_cmp_eq_u32_e32 vcc_lo, 2, v22
	s_delay_alu instid0(VALU_DEP_2) | instskip(SKIP_1) | instid1(VALU_DEP_2)
	v_cndmask_b32_e32 v23, v23, v4, vcc_lo
	v_cmp_eq_u32_e32 vcc_lo, 3, v22
	v_cndmask_b32_e32 v23, v23, v5, vcc_lo
	v_cmp_eq_u32_e32 vcc_lo, 4, v22
	s_delay_alu instid0(VALU_DEP_2) | instskip(SKIP_1) | instid1(VALU_DEP_2)
	v_cndmask_b32_e32 v23, v23, v6, vcc_lo
	;; [unrolled: 5-line block ×8, first 2 shown]
	v_cmp_eq_u32_e32 vcc_lo, 17, v22
	v_cndmask_b32_e32 v23, v23, v19, vcc_lo
	v_cmp_eq_u32_e32 vcc_lo, 18, v22
	s_delay_alu instid0(VALU_DEP_2) | instskip(SKIP_1) | instid1(VALU_DEP_1)
	v_cndmask_b32_e32 v22, v23, v20, vcc_lo
	s_wait_dscnt 0x0
	v_fmac_f32_e32 v21, v22, v24
	s_and_saveexec_b32 s8, s1
	s_cbranch_execz .LBB82_360
; %bb.355:
	v_add_nc_u32_e32 v22, 6, v0
	ds_load_b32 v24, v107 offset:24
	s_mov_b32 s1, exec_lo
	v_cmp_eq_u32_e32 vcc_lo, 1, v22
	v_cndmask_b32_e32 v23, v2, v3, vcc_lo
	v_cmp_eq_u32_e32 vcc_lo, 2, v22
	s_delay_alu instid0(VALU_DEP_2) | instskip(SKIP_1) | instid1(VALU_DEP_2)
	v_cndmask_b32_e32 v23, v23, v4, vcc_lo
	v_cmp_eq_u32_e32 vcc_lo, 3, v22
	v_cndmask_b32_e32 v23, v23, v5, vcc_lo
	v_cmp_eq_u32_e32 vcc_lo, 4, v22
	s_delay_alu instid0(VALU_DEP_2) | instskip(SKIP_1) | instid1(VALU_DEP_2)
	v_cndmask_b32_e32 v23, v23, v6, vcc_lo
	;; [unrolled: 5-line block ×8, first 2 shown]
	v_cmp_eq_u32_e32 vcc_lo, 17, v22
	v_cndmask_b32_e32 v23, v23, v19, vcc_lo
	v_cmp_eq_u32_e32 vcc_lo, 18, v22
	s_delay_alu instid0(VALU_DEP_2) | instskip(SKIP_1) | instid1(VALU_DEP_1)
	v_cndmask_b32_e32 v22, v23, v20, vcc_lo
	s_wait_dscnt 0x0
	v_fmac_f32_e32 v21, v22, v24
	v_cmpx_ne_u32_e32 2, v0
	s_cbranch_execz .LBB82_359
; %bb.356:
	v_add_nc_u32_e32 v22, 7, v0
	s_delay_alu instid0(VALU_DEP_1) | instskip(SKIP_2) | instid1(VALU_DEP_2)
	v_cmp_eq_u32_e32 vcc_lo, 1, v22
	v_cndmask_b32_e32 v23, v2, v3, vcc_lo
	v_cmp_eq_u32_e32 vcc_lo, 2, v22
	v_cndmask_b32_e32 v23, v23, v4, vcc_lo
	v_cmp_eq_u32_e32 vcc_lo, 3, v22
	s_delay_alu instid0(VALU_DEP_2) | instskip(SKIP_1) | instid1(VALU_DEP_2)
	v_cndmask_b32_e32 v23, v23, v5, vcc_lo
	v_cmp_eq_u32_e32 vcc_lo, 4, v22
	v_cndmask_b32_e32 v23, v23, v6, vcc_lo
	v_cmp_eq_u32_e32 vcc_lo, 5, v22
	s_delay_alu instid0(VALU_DEP_2) | instskip(SKIP_1) | instid1(VALU_DEP_2)
	;; [unrolled: 5-line block ×3, first 2 shown]
	v_cndmask_b32_e32 v23, v23, v9, vcc_lo
	v_cmp_eq_u32_e32 vcc_lo, 8, v22
	v_cndmask_b32_e32 v23, v23, v10, vcc_lo
	v_cmp_eq_u32_e32 vcc_lo, 9, v22
	s_delay_alu instid0(VALU_DEP_2) | instskip(SKIP_4) | instid1(VALU_DEP_2)
	v_cndmask_b32_e32 v11, v23, v11, vcc_lo
	v_cmp_eq_u32_e32 vcc_lo, 10, v22
	ds_load_b32 v23, v107 offset:28
	v_cndmask_b32_e32 v11, v11, v12, vcc_lo
	v_cmp_eq_u32_e32 vcc_lo, 11, v22
	v_cndmask_b32_e32 v11, v11, v13, vcc_lo
	v_cmp_eq_u32_e32 vcc_lo, 12, v22
	s_delay_alu instid0(VALU_DEP_2) | instskip(SKIP_1) | instid1(VALU_DEP_2)
	v_cndmask_b32_e32 v11, v11, v14, vcc_lo
	v_cmp_eq_u32_e32 vcc_lo, 13, v22
	v_cndmask_b32_e32 v11, v11, v15, vcc_lo
	v_cmp_eq_u32_e32 vcc_lo, 14, v22
	s_delay_alu instid0(VALU_DEP_2) | instskip(SKIP_1) | instid1(VALU_DEP_2)
	;; [unrolled: 5-line block ×3, first 2 shown]
	v_cndmask_b32_e32 v11, v11, v18, vcc_lo
	v_cmp_eq_u32_e32 vcc_lo, 17, v22
	v_cndmask_b32_e32 v11, v11, v19, vcc_lo
	v_cmp_eq_u32_e32 vcc_lo, 18, v22
	s_delay_alu instid0(VALU_DEP_2) | instskip(SKIP_1) | instid1(VALU_DEP_1)
	v_cndmask_b32_e32 v11, v11, v20, vcc_lo
	s_wait_dscnt 0x0
	v_fmac_f32_e32 v21, v11, v23
	s_and_saveexec_b32 s9, s0
	s_cbranch_execz .LBB82_358
; %bb.357:
	ds_load_b32 v11, v107 offset:32
	s_wait_dscnt 0x0
	v_fmac_f32_e32 v21, v10, v11
.LBB82_358:
	s_or_b32 exec_lo, exec_lo, s9
.LBB82_359:
	s_delay_alu instid0(SALU_CYCLE_1)
	s_or_b32 exec_lo, exec_lo, s1
.LBB82_360:
	s_delay_alu instid0(SALU_CYCLE_1)
	s_or_b32 exec_lo, exec_lo, s8
.LBB82_361:
	s_delay_alu instid0(SALU_CYCLE_1)
	s_or_b32 exec_lo, exec_lo, s2
.LBB82_362:
	s_delay_alu instid0(SALU_CYCLE_1)
	s_or_b32 exec_lo, exec_lo, s7
.LBB82_363:
	s_delay_alu instid0(SALU_CYCLE_1)
	s_or_b32 exec_lo, exec_lo, s3
.LBB82_364:
	s_delay_alu instid0(SALU_CYCLE_1)
	s_or_b32 exec_lo, exec_lo, s6
.LBB82_365:
	s_delay_alu instid0(SALU_CYCLE_1)
	s_or_b32 exec_lo, exec_lo, s5
	v_mov_b32_e32 v11, 0
	ds_load_b32 v11, v11 offset:36
	s_wait_dscnt 0x0
	v_mul_f32_e32 v11, v21, v11
.LBB82_366:
	s_or_b32 exec_lo, exec_lo, s4
	s_delay_alu instid0(SALU_CYCLE_1)
	s_mov_b32 s0, exec_lo
	ds_store_b32 v107, v12
	s_wait_dscnt 0x0
	s_barrier_signal -1
	s_barrier_wait -1
	v_cmpx_gt_u32_e32 10, v0
	s_cbranch_execz .LBB82_376
; %bb.367:
	v_cmp_ne_u32_e32 vcc_lo, 1, v34
	s_cbranch_vccnz .LBB82_369
; %bb.368:
	v_cmp_eq_u32_e32 vcc_lo, 1, v0
	ds_load_b32 v22, v107
	v_cndmask_b32_e32 v21, v2, v3, vcc_lo
	v_cmp_eq_u32_e32 vcc_lo, 2, v0
	s_delay_alu instid0(VALU_DEP_2) | instskip(SKIP_1) | instid1(VALU_DEP_2)
	v_cndmask_b32_e32 v21, v21, v4, vcc_lo
	v_cmp_eq_u32_e32 vcc_lo, 3, v0
	v_cndmask_b32_e32 v21, v21, v5, vcc_lo
	v_cmp_eq_u32_e32 vcc_lo, 4, v0
	s_delay_alu instid0(VALU_DEP_2) | instskip(SKIP_1) | instid1(VALU_DEP_2)
	v_cndmask_b32_e32 v21, v21, v6, vcc_lo
	v_cmp_eq_u32_e32 vcc_lo, 5, v0
	;; [unrolled: 5-line block ×8, first 2 shown]
	v_cndmask_b32_e32 v21, v21, v19, vcc_lo
	v_cmp_eq_u32_e32 vcc_lo, 18, v0
	s_delay_alu instid0(VALU_DEP_2) | instskip(SKIP_1) | instid1(VALU_DEP_1)
	v_cndmask_b32_e32 v21, v21, v20, vcc_lo
	s_wait_dscnt 0x0
	v_mul_f32_e32 v21, v21, v22
	s_cbranch_execz .LBB82_370
	s_branch .LBB82_371
.LBB82_369:
                                        ; implicit-def: $vgpr21
.LBB82_370:
	ds_load_b32 v21, v107
.LBB82_371:
	s_mov_b32 s1, exec_lo
	v_cmpx_ne_u32_e32 9, v0
	s_cbranch_execz .LBB82_375
; %bb.372:
	v_mov_b64_e32 v[22:23], v[0:1]
	v_lshl_add_u32 v24, v0, 2, 0x54
	s_mov_b32 s2, 0
.LBB82_373:                             ; =>This Inner Loop Header: Depth=1
	s_delay_alu instid0(VALU_DEP_2)
	v_add_nc_u64_e32 v[22:23], 1, v[22:23]
	ds_load_b32 v26, v24
	v_add_nc_u32_e32 v24, 4, v24
	v_cmp_eq_u32_e32 vcc_lo, 1, v22
	v_cndmask_b32_e32 v25, v2, v3, vcc_lo
	v_cmp_eq_u32_e32 vcc_lo, 2, v22
	s_delay_alu instid0(VALU_DEP_2) | instskip(SKIP_1) | instid1(VALU_DEP_2)
	v_cndmask_b32_e32 v25, v25, v4, vcc_lo
	v_cmp_eq_u32_e32 vcc_lo, 3, v22
	v_cndmask_b32_e32 v25, v25, v5, vcc_lo
	v_cmp_eq_u32_e32 vcc_lo, 4, v22
	s_delay_alu instid0(VALU_DEP_2) | instskip(SKIP_1) | instid1(VALU_DEP_2)
	v_cndmask_b32_e32 v25, v25, v6, vcc_lo
	;; [unrolled: 5-line block ×8, first 2 shown]
	v_cmp_eq_u32_e32 vcc_lo, 17, v22
	v_cndmask_b32_e32 v25, v25, v19, vcc_lo
	v_cmp_eq_u32_e32 vcc_lo, 18, v22
	s_delay_alu instid0(VALU_DEP_2) | instskip(SKIP_2) | instid1(VALU_DEP_2)
	v_cndmask_b32_e32 v25, v25, v20, vcc_lo
	v_cmp_lt_u32_e32 vcc_lo, 8, v22
	s_wait_dscnt 0x0
	v_fmac_f32_e32 v21, v25, v26
	s_or_b32 s2, vcc_lo, s2
	s_delay_alu instid0(SALU_CYCLE_1)
	s_and_not1_b32 exec_lo, exec_lo, s2
	s_cbranch_execnz .LBB82_373
; %bb.374:
	s_or_b32 exec_lo, exec_lo, s2
.LBB82_375:
	s_delay_alu instid0(SALU_CYCLE_1)
	s_or_b32 exec_lo, exec_lo, s1
	v_mov_b32_e32 v12, 0
	ds_load_b32 v12, v12 offset:40
	s_wait_dscnt 0x0
	v_mul_f32_e32 v12, v21, v12
.LBB82_376:
	s_or_b32 exec_lo, exec_lo, s0
	s_delay_alu instid0(SALU_CYCLE_1)
	s_mov_b32 s0, exec_lo
	ds_store_b32 v107, v13
	s_wait_dscnt 0x0
	s_barrier_signal -1
	s_barrier_wait -1
	v_cmpx_gt_u32_e32 11, v0
	s_cbranch_execz .LBB82_386
; %bb.377:
	v_cmp_ne_u32_e32 vcc_lo, 1, v34
	s_cbranch_vccnz .LBB82_379
; %bb.378:
	v_cmp_eq_u32_e32 vcc_lo, 1, v0
	ds_load_b32 v22, v107
	v_cndmask_b32_e32 v21, v2, v3, vcc_lo
	v_cmp_eq_u32_e32 vcc_lo, 2, v0
	s_delay_alu instid0(VALU_DEP_2) | instskip(SKIP_1) | instid1(VALU_DEP_2)
	v_cndmask_b32_e32 v21, v21, v4, vcc_lo
	v_cmp_eq_u32_e32 vcc_lo, 3, v0
	v_cndmask_b32_e32 v21, v21, v5, vcc_lo
	v_cmp_eq_u32_e32 vcc_lo, 4, v0
	s_delay_alu instid0(VALU_DEP_2) | instskip(SKIP_1) | instid1(VALU_DEP_2)
	v_cndmask_b32_e32 v21, v21, v6, vcc_lo
	v_cmp_eq_u32_e32 vcc_lo, 5, v0
	;; [unrolled: 5-line block ×8, first 2 shown]
	v_cndmask_b32_e32 v21, v21, v19, vcc_lo
	v_cmp_eq_u32_e32 vcc_lo, 18, v0
	s_delay_alu instid0(VALU_DEP_2) | instskip(SKIP_1) | instid1(VALU_DEP_1)
	v_cndmask_b32_e32 v21, v21, v20, vcc_lo
	s_wait_dscnt 0x0
	v_mul_f32_e32 v21, v21, v22
	s_cbranch_execz .LBB82_380
	s_branch .LBB82_381
.LBB82_379:
                                        ; implicit-def: $vgpr21
.LBB82_380:
	ds_load_b32 v21, v107
.LBB82_381:
	s_mov_b32 s1, exec_lo
	v_cmpx_ne_u32_e32 10, v0
	s_cbranch_execz .LBB82_385
; %bb.382:
	v_mov_b64_e32 v[22:23], v[0:1]
	v_lshl_add_u32 v24, v0, 2, 0x54
	s_mov_b32 s2, 0
.LBB82_383:                             ; =>This Inner Loop Header: Depth=1
	s_delay_alu instid0(VALU_DEP_2)
	v_add_nc_u64_e32 v[22:23], 1, v[22:23]
	ds_load_b32 v26, v24
	v_add_nc_u32_e32 v24, 4, v24
	v_cmp_eq_u32_e32 vcc_lo, 1, v22
	v_cndmask_b32_e32 v25, v2, v3, vcc_lo
	v_cmp_eq_u32_e32 vcc_lo, 2, v22
	s_delay_alu instid0(VALU_DEP_2) | instskip(SKIP_1) | instid1(VALU_DEP_2)
	v_cndmask_b32_e32 v25, v25, v4, vcc_lo
	v_cmp_eq_u32_e32 vcc_lo, 3, v22
	v_cndmask_b32_e32 v25, v25, v5, vcc_lo
	v_cmp_eq_u32_e32 vcc_lo, 4, v22
	s_delay_alu instid0(VALU_DEP_2) | instskip(SKIP_1) | instid1(VALU_DEP_2)
	v_cndmask_b32_e32 v25, v25, v6, vcc_lo
	;; [unrolled: 5-line block ×8, first 2 shown]
	v_cmp_eq_u32_e32 vcc_lo, 17, v22
	v_cndmask_b32_e32 v25, v25, v19, vcc_lo
	v_cmp_eq_u32_e32 vcc_lo, 18, v22
	s_delay_alu instid0(VALU_DEP_2) | instskip(SKIP_2) | instid1(VALU_DEP_2)
	v_cndmask_b32_e32 v25, v25, v20, vcc_lo
	v_cmp_lt_u32_e32 vcc_lo, 9, v22
	s_wait_dscnt 0x0
	v_fmac_f32_e32 v21, v25, v26
	s_or_b32 s2, vcc_lo, s2
	s_delay_alu instid0(SALU_CYCLE_1)
	s_and_not1_b32 exec_lo, exec_lo, s2
	s_cbranch_execnz .LBB82_383
; %bb.384:
	s_or_b32 exec_lo, exec_lo, s2
.LBB82_385:
	s_delay_alu instid0(SALU_CYCLE_1)
	s_or_b32 exec_lo, exec_lo, s1
	v_mov_b32_e32 v13, 0
	ds_load_b32 v13, v13 offset:44
	s_wait_dscnt 0x0
	v_mul_f32_e32 v13, v21, v13
.LBB82_386:
	s_or_b32 exec_lo, exec_lo, s0
	s_delay_alu instid0(SALU_CYCLE_1)
	s_mov_b32 s0, exec_lo
	ds_store_b32 v107, v14
	s_wait_dscnt 0x0
	s_barrier_signal -1
	s_barrier_wait -1
	v_cmpx_gt_u32_e32 12, v0
	s_cbranch_execz .LBB82_396
; %bb.387:
	v_cmp_ne_u32_e32 vcc_lo, 1, v34
	s_cbranch_vccnz .LBB82_389
; %bb.388:
	v_cmp_eq_u32_e32 vcc_lo, 1, v0
	ds_load_b32 v22, v107
	v_cndmask_b32_e32 v21, v2, v3, vcc_lo
	v_cmp_eq_u32_e32 vcc_lo, 2, v0
	s_delay_alu instid0(VALU_DEP_2) | instskip(SKIP_1) | instid1(VALU_DEP_2)
	v_cndmask_b32_e32 v21, v21, v4, vcc_lo
	v_cmp_eq_u32_e32 vcc_lo, 3, v0
	v_cndmask_b32_e32 v21, v21, v5, vcc_lo
	v_cmp_eq_u32_e32 vcc_lo, 4, v0
	s_delay_alu instid0(VALU_DEP_2) | instskip(SKIP_1) | instid1(VALU_DEP_2)
	v_cndmask_b32_e32 v21, v21, v6, vcc_lo
	v_cmp_eq_u32_e32 vcc_lo, 5, v0
	;; [unrolled: 5-line block ×8, first 2 shown]
	v_cndmask_b32_e32 v21, v21, v19, vcc_lo
	v_cmp_eq_u32_e32 vcc_lo, 18, v0
	s_delay_alu instid0(VALU_DEP_2) | instskip(SKIP_1) | instid1(VALU_DEP_1)
	v_cndmask_b32_e32 v21, v21, v20, vcc_lo
	s_wait_dscnt 0x0
	v_mul_f32_e32 v21, v21, v22
	s_cbranch_execz .LBB82_390
	s_branch .LBB82_391
.LBB82_389:
                                        ; implicit-def: $vgpr21
.LBB82_390:
	ds_load_b32 v21, v107
.LBB82_391:
	s_mov_b32 s1, exec_lo
	v_cmpx_ne_u32_e32 11, v0
	s_cbranch_execz .LBB82_395
; %bb.392:
	v_mov_b64_e32 v[22:23], v[0:1]
	v_lshl_add_u32 v24, v0, 2, 0x54
	s_mov_b32 s2, 0
.LBB82_393:                             ; =>This Inner Loop Header: Depth=1
	s_delay_alu instid0(VALU_DEP_2)
	v_add_nc_u64_e32 v[22:23], 1, v[22:23]
	ds_load_b32 v26, v24
	v_add_nc_u32_e32 v24, 4, v24
	v_cmp_eq_u32_e32 vcc_lo, 1, v22
	v_cndmask_b32_e32 v25, v2, v3, vcc_lo
	v_cmp_eq_u32_e32 vcc_lo, 2, v22
	s_delay_alu instid0(VALU_DEP_2) | instskip(SKIP_1) | instid1(VALU_DEP_2)
	v_cndmask_b32_e32 v25, v25, v4, vcc_lo
	v_cmp_eq_u32_e32 vcc_lo, 3, v22
	v_cndmask_b32_e32 v25, v25, v5, vcc_lo
	v_cmp_eq_u32_e32 vcc_lo, 4, v22
	s_delay_alu instid0(VALU_DEP_2) | instskip(SKIP_1) | instid1(VALU_DEP_2)
	v_cndmask_b32_e32 v25, v25, v6, vcc_lo
	;; [unrolled: 5-line block ×8, first 2 shown]
	v_cmp_eq_u32_e32 vcc_lo, 17, v22
	v_cndmask_b32_e32 v25, v25, v19, vcc_lo
	v_cmp_eq_u32_e32 vcc_lo, 18, v22
	s_delay_alu instid0(VALU_DEP_2) | instskip(SKIP_2) | instid1(VALU_DEP_2)
	v_cndmask_b32_e32 v25, v25, v20, vcc_lo
	v_cmp_lt_u32_e32 vcc_lo, 10, v22
	s_wait_dscnt 0x0
	v_fmac_f32_e32 v21, v25, v26
	s_or_b32 s2, vcc_lo, s2
	s_delay_alu instid0(SALU_CYCLE_1)
	s_and_not1_b32 exec_lo, exec_lo, s2
	s_cbranch_execnz .LBB82_393
; %bb.394:
	s_or_b32 exec_lo, exec_lo, s2
.LBB82_395:
	s_delay_alu instid0(SALU_CYCLE_1)
	s_or_b32 exec_lo, exec_lo, s1
	v_mov_b32_e32 v14, 0
	ds_load_b32 v14, v14 offset:48
	s_wait_dscnt 0x0
	v_mul_f32_e32 v14, v21, v14
.LBB82_396:
	s_or_b32 exec_lo, exec_lo, s0
	s_delay_alu instid0(SALU_CYCLE_1)
	s_mov_b32 s0, exec_lo
	ds_store_b32 v107, v15
	s_wait_dscnt 0x0
	s_barrier_signal -1
	s_barrier_wait -1
	v_cmpx_gt_u32_e32 13, v0
	s_cbranch_execz .LBB82_406
; %bb.397:
	v_cmp_ne_u32_e32 vcc_lo, 1, v34
	s_cbranch_vccnz .LBB82_399
; %bb.398:
	v_cmp_eq_u32_e32 vcc_lo, 1, v0
	ds_load_b32 v22, v107
	v_cndmask_b32_e32 v21, v2, v3, vcc_lo
	v_cmp_eq_u32_e32 vcc_lo, 2, v0
	s_delay_alu instid0(VALU_DEP_2) | instskip(SKIP_1) | instid1(VALU_DEP_2)
	v_cndmask_b32_e32 v21, v21, v4, vcc_lo
	v_cmp_eq_u32_e32 vcc_lo, 3, v0
	v_cndmask_b32_e32 v21, v21, v5, vcc_lo
	v_cmp_eq_u32_e32 vcc_lo, 4, v0
	s_delay_alu instid0(VALU_DEP_2) | instskip(SKIP_1) | instid1(VALU_DEP_2)
	v_cndmask_b32_e32 v21, v21, v6, vcc_lo
	v_cmp_eq_u32_e32 vcc_lo, 5, v0
	;; [unrolled: 5-line block ×8, first 2 shown]
	v_cndmask_b32_e32 v21, v21, v19, vcc_lo
	v_cmp_eq_u32_e32 vcc_lo, 18, v0
	s_delay_alu instid0(VALU_DEP_2) | instskip(SKIP_1) | instid1(VALU_DEP_1)
	v_cndmask_b32_e32 v21, v21, v20, vcc_lo
	s_wait_dscnt 0x0
	v_mul_f32_e32 v21, v21, v22
	s_cbranch_execz .LBB82_400
	s_branch .LBB82_401
.LBB82_399:
                                        ; implicit-def: $vgpr21
.LBB82_400:
	ds_load_b32 v21, v107
.LBB82_401:
	s_mov_b32 s1, exec_lo
	v_cmpx_ne_u32_e32 12, v0
	s_cbranch_execz .LBB82_405
; %bb.402:
	v_mov_b64_e32 v[22:23], v[0:1]
	v_lshl_add_u32 v24, v0, 2, 0x54
	s_mov_b32 s2, 0
.LBB82_403:                             ; =>This Inner Loop Header: Depth=1
	s_delay_alu instid0(VALU_DEP_2)
	v_add_nc_u64_e32 v[22:23], 1, v[22:23]
	ds_load_b32 v26, v24
	v_add_nc_u32_e32 v24, 4, v24
	v_cmp_eq_u32_e32 vcc_lo, 1, v22
	v_cndmask_b32_e32 v25, v2, v3, vcc_lo
	v_cmp_eq_u32_e32 vcc_lo, 2, v22
	s_delay_alu instid0(VALU_DEP_2) | instskip(SKIP_1) | instid1(VALU_DEP_2)
	v_cndmask_b32_e32 v25, v25, v4, vcc_lo
	v_cmp_eq_u32_e32 vcc_lo, 3, v22
	v_cndmask_b32_e32 v25, v25, v5, vcc_lo
	v_cmp_eq_u32_e32 vcc_lo, 4, v22
	s_delay_alu instid0(VALU_DEP_2) | instskip(SKIP_1) | instid1(VALU_DEP_2)
	v_cndmask_b32_e32 v25, v25, v6, vcc_lo
	;; [unrolled: 5-line block ×8, first 2 shown]
	v_cmp_eq_u32_e32 vcc_lo, 17, v22
	v_cndmask_b32_e32 v25, v25, v19, vcc_lo
	v_cmp_eq_u32_e32 vcc_lo, 18, v22
	s_delay_alu instid0(VALU_DEP_2) | instskip(SKIP_2) | instid1(VALU_DEP_2)
	v_cndmask_b32_e32 v25, v25, v20, vcc_lo
	v_cmp_lt_u32_e32 vcc_lo, 11, v22
	s_wait_dscnt 0x0
	v_fmac_f32_e32 v21, v25, v26
	s_or_b32 s2, vcc_lo, s2
	s_delay_alu instid0(SALU_CYCLE_1)
	s_and_not1_b32 exec_lo, exec_lo, s2
	s_cbranch_execnz .LBB82_403
; %bb.404:
	s_or_b32 exec_lo, exec_lo, s2
.LBB82_405:
	s_delay_alu instid0(SALU_CYCLE_1)
	s_or_b32 exec_lo, exec_lo, s1
	v_mov_b32_e32 v15, 0
	ds_load_b32 v15, v15 offset:52
	s_wait_dscnt 0x0
	v_mul_f32_e32 v15, v21, v15
.LBB82_406:
	s_or_b32 exec_lo, exec_lo, s0
	s_delay_alu instid0(SALU_CYCLE_1)
	s_mov_b32 s0, exec_lo
	ds_store_b32 v107, v16
	s_wait_dscnt 0x0
	s_barrier_signal -1
	s_barrier_wait -1
	v_cmpx_gt_u32_e32 14, v0
	s_cbranch_execz .LBB82_416
; %bb.407:
	v_cmp_ne_u32_e32 vcc_lo, 1, v34
	s_cbranch_vccnz .LBB82_409
; %bb.408:
	v_cmp_eq_u32_e32 vcc_lo, 1, v0
	ds_load_b32 v22, v107
	v_cndmask_b32_e32 v21, v2, v3, vcc_lo
	v_cmp_eq_u32_e32 vcc_lo, 2, v0
	s_delay_alu instid0(VALU_DEP_2) | instskip(SKIP_1) | instid1(VALU_DEP_2)
	v_cndmask_b32_e32 v21, v21, v4, vcc_lo
	v_cmp_eq_u32_e32 vcc_lo, 3, v0
	v_cndmask_b32_e32 v21, v21, v5, vcc_lo
	v_cmp_eq_u32_e32 vcc_lo, 4, v0
	s_delay_alu instid0(VALU_DEP_2) | instskip(SKIP_1) | instid1(VALU_DEP_2)
	v_cndmask_b32_e32 v21, v21, v6, vcc_lo
	v_cmp_eq_u32_e32 vcc_lo, 5, v0
	;; [unrolled: 5-line block ×8, first 2 shown]
	v_cndmask_b32_e32 v21, v21, v19, vcc_lo
	v_cmp_eq_u32_e32 vcc_lo, 18, v0
	s_delay_alu instid0(VALU_DEP_2) | instskip(SKIP_1) | instid1(VALU_DEP_1)
	v_cndmask_b32_e32 v21, v21, v20, vcc_lo
	s_wait_dscnt 0x0
	v_mul_f32_e32 v21, v21, v22
	s_cbranch_execz .LBB82_410
	s_branch .LBB82_411
.LBB82_409:
                                        ; implicit-def: $vgpr21
.LBB82_410:
	ds_load_b32 v21, v107
.LBB82_411:
	s_mov_b32 s1, exec_lo
	v_cmpx_ne_u32_e32 13, v0
	s_cbranch_execz .LBB82_415
; %bb.412:
	v_mov_b64_e32 v[22:23], v[0:1]
	v_lshl_add_u32 v24, v0, 2, 0x54
	s_mov_b32 s2, 0
.LBB82_413:                             ; =>This Inner Loop Header: Depth=1
	s_delay_alu instid0(VALU_DEP_2)
	v_add_nc_u64_e32 v[22:23], 1, v[22:23]
	ds_load_b32 v26, v24
	v_add_nc_u32_e32 v24, 4, v24
	v_cmp_eq_u32_e32 vcc_lo, 1, v22
	v_cndmask_b32_e32 v25, v2, v3, vcc_lo
	v_cmp_eq_u32_e32 vcc_lo, 2, v22
	s_delay_alu instid0(VALU_DEP_2) | instskip(SKIP_1) | instid1(VALU_DEP_2)
	v_cndmask_b32_e32 v25, v25, v4, vcc_lo
	v_cmp_eq_u32_e32 vcc_lo, 3, v22
	v_cndmask_b32_e32 v25, v25, v5, vcc_lo
	v_cmp_eq_u32_e32 vcc_lo, 4, v22
	s_delay_alu instid0(VALU_DEP_2) | instskip(SKIP_1) | instid1(VALU_DEP_2)
	v_cndmask_b32_e32 v25, v25, v6, vcc_lo
	v_cmp_eq_u32_e32 vcc_lo, 5, v22
	v_cndmask_b32_e32 v25, v25, v7, vcc_lo
	v_cmp_eq_u32_e32 vcc_lo, 6, v22
	s_delay_alu instid0(VALU_DEP_2) | instskip(SKIP_1) | instid1(VALU_DEP_2)
	v_cndmask_b32_e32 v25, v25, v8, vcc_lo
	v_cmp_eq_u32_e32 vcc_lo, 7, v22
	v_cndmask_b32_e32 v25, v25, v9, vcc_lo
	v_cmp_eq_u32_e32 vcc_lo, 8, v22
	s_delay_alu instid0(VALU_DEP_2) | instskip(SKIP_1) | instid1(VALU_DEP_2)
	v_cndmask_b32_e32 v25, v25, v10, vcc_lo
	v_cmp_eq_u32_e32 vcc_lo, 9, v22
	v_cndmask_b32_e32 v25, v25, v11, vcc_lo
	v_cmp_eq_u32_e32 vcc_lo, 10, v22
	s_delay_alu instid0(VALU_DEP_2) | instskip(SKIP_1) | instid1(VALU_DEP_2)
	v_cndmask_b32_e32 v25, v25, v12, vcc_lo
	v_cmp_eq_u32_e32 vcc_lo, 11, v22
	v_cndmask_b32_e32 v25, v25, v13, vcc_lo
	v_cmp_eq_u32_e32 vcc_lo, 12, v22
	s_delay_alu instid0(VALU_DEP_2) | instskip(SKIP_1) | instid1(VALU_DEP_2)
	v_cndmask_b32_e32 v25, v25, v14, vcc_lo
	v_cmp_eq_u32_e32 vcc_lo, 13, v22
	v_cndmask_b32_e32 v25, v25, v15, vcc_lo
	v_cmp_eq_u32_e32 vcc_lo, 14, v22
	s_delay_alu instid0(VALU_DEP_2) | instskip(SKIP_1) | instid1(VALU_DEP_2)
	v_cndmask_b32_e32 v25, v25, v16, vcc_lo
	v_cmp_eq_u32_e32 vcc_lo, 15, v22
	v_cndmask_b32_e32 v25, v25, v17, vcc_lo
	v_cmp_eq_u32_e32 vcc_lo, 16, v22
	s_delay_alu instid0(VALU_DEP_2) | instskip(SKIP_1) | instid1(VALU_DEP_2)
	v_cndmask_b32_e32 v25, v25, v18, vcc_lo
	v_cmp_eq_u32_e32 vcc_lo, 17, v22
	v_cndmask_b32_e32 v25, v25, v19, vcc_lo
	v_cmp_eq_u32_e32 vcc_lo, 18, v22
	s_delay_alu instid0(VALU_DEP_2) | instskip(SKIP_2) | instid1(VALU_DEP_2)
	v_cndmask_b32_e32 v25, v25, v20, vcc_lo
	v_cmp_lt_u32_e32 vcc_lo, 12, v22
	s_wait_dscnt 0x0
	v_fmac_f32_e32 v21, v25, v26
	s_or_b32 s2, vcc_lo, s2
	s_delay_alu instid0(SALU_CYCLE_1)
	s_and_not1_b32 exec_lo, exec_lo, s2
	s_cbranch_execnz .LBB82_413
; %bb.414:
	s_or_b32 exec_lo, exec_lo, s2
.LBB82_415:
	s_delay_alu instid0(SALU_CYCLE_1)
	s_or_b32 exec_lo, exec_lo, s1
	v_mov_b32_e32 v16, 0
	ds_load_b32 v16, v16 offset:56
	s_wait_dscnt 0x0
	v_mul_f32_e32 v16, v21, v16
.LBB82_416:
	s_or_b32 exec_lo, exec_lo, s0
	s_delay_alu instid0(SALU_CYCLE_1)
	s_mov_b32 s0, exec_lo
	ds_store_b32 v107, v17
	s_wait_dscnt 0x0
	s_barrier_signal -1
	s_barrier_wait -1
	v_cmpx_gt_u32_e32 15, v0
	s_cbranch_execz .LBB82_426
; %bb.417:
	v_cmp_ne_u32_e32 vcc_lo, 1, v34
	s_cbranch_vccnz .LBB82_419
; %bb.418:
	v_cmp_eq_u32_e32 vcc_lo, 1, v0
	ds_load_b32 v22, v107
	v_cndmask_b32_e32 v21, v2, v3, vcc_lo
	v_cmp_eq_u32_e32 vcc_lo, 2, v0
	s_delay_alu instid0(VALU_DEP_2) | instskip(SKIP_1) | instid1(VALU_DEP_2)
	v_cndmask_b32_e32 v21, v21, v4, vcc_lo
	v_cmp_eq_u32_e32 vcc_lo, 3, v0
	v_cndmask_b32_e32 v21, v21, v5, vcc_lo
	v_cmp_eq_u32_e32 vcc_lo, 4, v0
	s_delay_alu instid0(VALU_DEP_2) | instskip(SKIP_1) | instid1(VALU_DEP_2)
	v_cndmask_b32_e32 v21, v21, v6, vcc_lo
	v_cmp_eq_u32_e32 vcc_lo, 5, v0
	;; [unrolled: 5-line block ×8, first 2 shown]
	v_cndmask_b32_e32 v21, v21, v19, vcc_lo
	v_cmp_eq_u32_e32 vcc_lo, 18, v0
	s_delay_alu instid0(VALU_DEP_2) | instskip(SKIP_1) | instid1(VALU_DEP_1)
	v_cndmask_b32_e32 v21, v21, v20, vcc_lo
	s_wait_dscnt 0x0
	v_mul_f32_e32 v21, v21, v22
	s_cbranch_execz .LBB82_420
	s_branch .LBB82_421
.LBB82_419:
                                        ; implicit-def: $vgpr21
.LBB82_420:
	ds_load_b32 v21, v107
.LBB82_421:
	s_mov_b32 s1, exec_lo
	v_cmpx_ne_u32_e32 14, v0
	s_cbranch_execz .LBB82_425
; %bb.422:
	v_mov_b64_e32 v[22:23], v[0:1]
	v_lshl_add_u32 v24, v0, 2, 0x54
	s_mov_b32 s2, 0
.LBB82_423:                             ; =>This Inner Loop Header: Depth=1
	s_delay_alu instid0(VALU_DEP_2)
	v_add_nc_u64_e32 v[22:23], 1, v[22:23]
	ds_load_b32 v26, v24
	v_add_nc_u32_e32 v24, 4, v24
	v_cmp_eq_u32_e32 vcc_lo, 1, v22
	v_cndmask_b32_e32 v25, v2, v3, vcc_lo
	v_cmp_eq_u32_e32 vcc_lo, 2, v22
	s_delay_alu instid0(VALU_DEP_2) | instskip(SKIP_1) | instid1(VALU_DEP_2)
	v_cndmask_b32_e32 v25, v25, v4, vcc_lo
	v_cmp_eq_u32_e32 vcc_lo, 3, v22
	v_cndmask_b32_e32 v25, v25, v5, vcc_lo
	v_cmp_eq_u32_e32 vcc_lo, 4, v22
	s_delay_alu instid0(VALU_DEP_2) | instskip(SKIP_1) | instid1(VALU_DEP_2)
	v_cndmask_b32_e32 v25, v25, v6, vcc_lo
	;; [unrolled: 5-line block ×8, first 2 shown]
	v_cmp_eq_u32_e32 vcc_lo, 17, v22
	v_cndmask_b32_e32 v25, v25, v19, vcc_lo
	v_cmp_eq_u32_e32 vcc_lo, 18, v22
	s_delay_alu instid0(VALU_DEP_2) | instskip(SKIP_2) | instid1(VALU_DEP_2)
	v_cndmask_b32_e32 v25, v25, v20, vcc_lo
	v_cmp_lt_u32_e32 vcc_lo, 13, v22
	s_wait_dscnt 0x0
	v_fmac_f32_e32 v21, v25, v26
	s_or_b32 s2, vcc_lo, s2
	s_delay_alu instid0(SALU_CYCLE_1)
	s_and_not1_b32 exec_lo, exec_lo, s2
	s_cbranch_execnz .LBB82_423
; %bb.424:
	s_or_b32 exec_lo, exec_lo, s2
.LBB82_425:
	s_delay_alu instid0(SALU_CYCLE_1)
	s_or_b32 exec_lo, exec_lo, s1
	v_mov_b32_e32 v17, 0
	ds_load_b32 v17, v17 offset:60
	s_wait_dscnt 0x0
	v_mul_f32_e32 v17, v21, v17
.LBB82_426:
	s_or_b32 exec_lo, exec_lo, s0
	s_delay_alu instid0(SALU_CYCLE_1)
	s_mov_b32 s0, exec_lo
	ds_store_b32 v107, v18
	s_wait_dscnt 0x0
	s_barrier_signal -1
	s_barrier_wait -1
	v_cmpx_gt_u32_e32 16, v0
	s_cbranch_execz .LBB82_436
; %bb.427:
	v_cmp_ne_u32_e32 vcc_lo, 1, v34
	s_cbranch_vccnz .LBB82_429
; %bb.428:
	v_cmp_eq_u32_e32 vcc_lo, 1, v0
	ds_load_b32 v22, v107
	v_cndmask_b32_e32 v21, v2, v3, vcc_lo
	v_cmp_eq_u32_e32 vcc_lo, 2, v0
	s_delay_alu instid0(VALU_DEP_2) | instskip(SKIP_1) | instid1(VALU_DEP_2)
	v_cndmask_b32_e32 v21, v21, v4, vcc_lo
	v_cmp_eq_u32_e32 vcc_lo, 3, v0
	v_cndmask_b32_e32 v21, v21, v5, vcc_lo
	v_cmp_eq_u32_e32 vcc_lo, 4, v0
	s_delay_alu instid0(VALU_DEP_2) | instskip(SKIP_1) | instid1(VALU_DEP_2)
	v_cndmask_b32_e32 v21, v21, v6, vcc_lo
	v_cmp_eq_u32_e32 vcc_lo, 5, v0
	;; [unrolled: 5-line block ×8, first 2 shown]
	v_cndmask_b32_e32 v21, v21, v19, vcc_lo
	v_cmp_eq_u32_e32 vcc_lo, 18, v0
	s_delay_alu instid0(VALU_DEP_2) | instskip(SKIP_1) | instid1(VALU_DEP_1)
	v_cndmask_b32_e32 v21, v21, v20, vcc_lo
	s_wait_dscnt 0x0
	v_mul_f32_e32 v21, v21, v22
	s_cbranch_execz .LBB82_430
	s_branch .LBB82_431
.LBB82_429:
                                        ; implicit-def: $vgpr21
.LBB82_430:
	ds_load_b32 v21, v107
.LBB82_431:
	s_mov_b32 s1, exec_lo
	v_cmpx_ne_u32_e32 15, v0
	s_cbranch_execz .LBB82_435
; %bb.432:
	v_mov_b64_e32 v[22:23], v[0:1]
	v_lshl_add_u32 v24, v0, 2, 0x54
	s_mov_b32 s2, 0
.LBB82_433:                             ; =>This Inner Loop Header: Depth=1
	s_delay_alu instid0(VALU_DEP_2)
	v_add_nc_u64_e32 v[22:23], 1, v[22:23]
	ds_load_b32 v26, v24
	v_add_nc_u32_e32 v24, 4, v24
	v_cmp_eq_u32_e32 vcc_lo, 1, v22
	v_cndmask_b32_e32 v25, v2, v3, vcc_lo
	v_cmp_eq_u32_e32 vcc_lo, 2, v22
	s_delay_alu instid0(VALU_DEP_2) | instskip(SKIP_1) | instid1(VALU_DEP_2)
	v_cndmask_b32_e32 v25, v25, v4, vcc_lo
	v_cmp_eq_u32_e32 vcc_lo, 3, v22
	v_cndmask_b32_e32 v25, v25, v5, vcc_lo
	v_cmp_eq_u32_e32 vcc_lo, 4, v22
	s_delay_alu instid0(VALU_DEP_2) | instskip(SKIP_1) | instid1(VALU_DEP_2)
	v_cndmask_b32_e32 v25, v25, v6, vcc_lo
	;; [unrolled: 5-line block ×8, first 2 shown]
	v_cmp_eq_u32_e32 vcc_lo, 17, v22
	v_cndmask_b32_e32 v25, v25, v19, vcc_lo
	v_cmp_eq_u32_e32 vcc_lo, 18, v22
	s_delay_alu instid0(VALU_DEP_2) | instskip(SKIP_2) | instid1(VALU_DEP_2)
	v_cndmask_b32_e32 v25, v25, v20, vcc_lo
	v_cmp_lt_u32_e32 vcc_lo, 14, v22
	s_wait_dscnt 0x0
	v_fmac_f32_e32 v21, v25, v26
	s_or_b32 s2, vcc_lo, s2
	s_delay_alu instid0(SALU_CYCLE_1)
	s_and_not1_b32 exec_lo, exec_lo, s2
	s_cbranch_execnz .LBB82_433
; %bb.434:
	s_or_b32 exec_lo, exec_lo, s2
.LBB82_435:
	s_delay_alu instid0(SALU_CYCLE_1)
	s_or_b32 exec_lo, exec_lo, s1
	v_mov_b32_e32 v18, 0
	ds_load_b32 v18, v18 offset:64
	s_wait_dscnt 0x0
	v_mul_f32_e32 v18, v21, v18
.LBB82_436:
	s_or_b32 exec_lo, exec_lo, s0
	v_cmp_gt_u32_e64 s0, 17, v0
	ds_store_b32 v107, v19
	s_wait_dscnt 0x0
	s_barrier_signal -1
	s_barrier_wait -1
	s_and_saveexec_b32 s1, s0
	s_cbranch_execz .LBB82_446
; %bb.437:
	v_cmp_ne_u32_e32 vcc_lo, 1, v34
	s_cbranch_vccnz .LBB82_439
; %bb.438:
	v_cmp_eq_u32_e32 vcc_lo, 1, v0
	ds_load_b32 v22, v107
	v_cndmask_b32_e32 v21, v2, v3, vcc_lo
	v_cmp_eq_u32_e32 vcc_lo, 2, v0
	s_delay_alu instid0(VALU_DEP_2) | instskip(SKIP_1) | instid1(VALU_DEP_2)
	v_cndmask_b32_e32 v21, v21, v4, vcc_lo
	v_cmp_eq_u32_e32 vcc_lo, 3, v0
	v_cndmask_b32_e32 v21, v21, v5, vcc_lo
	v_cmp_eq_u32_e32 vcc_lo, 4, v0
	s_delay_alu instid0(VALU_DEP_2) | instskip(SKIP_1) | instid1(VALU_DEP_2)
	v_cndmask_b32_e32 v21, v21, v6, vcc_lo
	v_cmp_eq_u32_e32 vcc_lo, 5, v0
	;; [unrolled: 5-line block ×8, first 2 shown]
	v_cndmask_b32_e32 v21, v21, v19, vcc_lo
	v_cmp_eq_u32_e32 vcc_lo, 18, v0
	s_delay_alu instid0(VALU_DEP_2) | instskip(SKIP_1) | instid1(VALU_DEP_1)
	v_cndmask_b32_e32 v21, v21, v20, vcc_lo
	s_wait_dscnt 0x0
	v_mul_f32_e32 v21, v21, v22
	s_cbranch_execz .LBB82_440
	s_branch .LBB82_441
.LBB82_439:
                                        ; implicit-def: $vgpr21
.LBB82_440:
	ds_load_b32 v21, v107
.LBB82_441:
	s_mov_b32 s2, exec_lo
	v_cmpx_ne_u32_e32 16, v0
	s_cbranch_execz .LBB82_445
; %bb.442:
	v_mov_b64_e32 v[22:23], v[0:1]
	v_lshl_add_u32 v24, v0, 2, 0x54
	s_mov_b32 s3, 0
.LBB82_443:                             ; =>This Inner Loop Header: Depth=1
	s_delay_alu instid0(VALU_DEP_2)
	v_add_nc_u64_e32 v[22:23], 1, v[22:23]
	ds_load_b32 v26, v24
	v_add_nc_u32_e32 v24, 4, v24
	v_cmp_eq_u32_e32 vcc_lo, 1, v22
	v_cndmask_b32_e32 v25, v2, v3, vcc_lo
	v_cmp_eq_u32_e32 vcc_lo, 2, v22
	s_delay_alu instid0(VALU_DEP_2) | instskip(SKIP_1) | instid1(VALU_DEP_2)
	v_cndmask_b32_e32 v25, v25, v4, vcc_lo
	v_cmp_eq_u32_e32 vcc_lo, 3, v22
	v_cndmask_b32_e32 v25, v25, v5, vcc_lo
	v_cmp_eq_u32_e32 vcc_lo, 4, v22
	s_delay_alu instid0(VALU_DEP_2) | instskip(SKIP_1) | instid1(VALU_DEP_2)
	v_cndmask_b32_e32 v25, v25, v6, vcc_lo
	;; [unrolled: 5-line block ×8, first 2 shown]
	v_cmp_eq_u32_e32 vcc_lo, 17, v22
	v_cndmask_b32_e32 v25, v25, v19, vcc_lo
	v_cmp_eq_u32_e32 vcc_lo, 18, v22
	s_delay_alu instid0(VALU_DEP_2) | instskip(SKIP_2) | instid1(VALU_DEP_2)
	v_cndmask_b32_e32 v25, v25, v20, vcc_lo
	v_cmp_lt_u32_e32 vcc_lo, 15, v22
	s_wait_dscnt 0x0
	v_fmac_f32_e32 v21, v25, v26
	s_or_b32 s3, vcc_lo, s3
	s_delay_alu instid0(SALU_CYCLE_1)
	s_and_not1_b32 exec_lo, exec_lo, s3
	s_cbranch_execnz .LBB82_443
; %bb.444:
	s_or_b32 exec_lo, exec_lo, s3
.LBB82_445:
	s_delay_alu instid0(SALU_CYCLE_1)
	s_or_b32 exec_lo, exec_lo, s2
	v_mov_b32_e32 v19, 0
	ds_load_b32 v19, v19 offset:68
	s_wait_dscnt 0x0
	v_mul_f32_e32 v19, v21, v19
.LBB82_446:
	s_or_b32 exec_lo, exec_lo, s1
	s_delay_alu instid0(SALU_CYCLE_1)
	s_mov_b32 s1, exec_lo
	ds_store_b32 v107, v20
	s_wait_dscnt 0x0
	s_barrier_signal -1
	s_barrier_wait -1
	v_cmpx_ne_u32_e32 18, v0
	s_cbranch_execz .LBB82_456
; %bb.447:
	v_cmp_ne_u32_e32 vcc_lo, 1, v34
	s_cbranch_vccnz .LBB82_449
; %bb.448:
	v_cmp_eq_u32_e32 vcc_lo, 1, v0
	ds_load_b32 v22, v107
	v_cndmask_b32_e32 v21, v2, v3, vcc_lo
	v_cmp_eq_u32_e32 vcc_lo, 2, v0
	s_delay_alu instid0(VALU_DEP_2) | instskip(SKIP_1) | instid1(VALU_DEP_2)
	v_cndmask_b32_e32 v21, v21, v4, vcc_lo
	v_cmp_eq_u32_e32 vcc_lo, 3, v0
	v_cndmask_b32_e32 v21, v21, v5, vcc_lo
	v_cmp_eq_u32_e32 vcc_lo, 4, v0
	s_delay_alu instid0(VALU_DEP_2) | instskip(SKIP_1) | instid1(VALU_DEP_2)
	v_cndmask_b32_e32 v21, v21, v6, vcc_lo
	v_cmp_eq_u32_e32 vcc_lo, 5, v0
	;; [unrolled: 5-line block ×8, first 2 shown]
	v_cndmask_b32_e32 v21, v21, v19, vcc_lo
	v_cmp_eq_u32_e32 vcc_lo, 18, v0
	s_delay_alu instid0(VALU_DEP_2) | instskip(SKIP_1) | instid1(VALU_DEP_1)
	v_cndmask_b32_e32 v21, v21, v20, vcc_lo
	s_wait_dscnt 0x0
	v_mul_f32_e32 v21, v21, v22
	s_cbranch_execz .LBB82_450
	s_branch .LBB82_451
.LBB82_449:
                                        ; implicit-def: $vgpr21
.LBB82_450:
	ds_load_b32 v21, v107
.LBB82_451:
	s_and_saveexec_b32 s2, s0
	s_cbranch_execz .LBB82_455
; %bb.452:
	v_lshl_add_u32 v22, v0, 2, 0x54
	s_mov_b32 s0, 0
.LBB82_453:                             ; =>This Inner Loop Header: Depth=1
	v_add_nc_u64_e32 v[0:1], 1, v[0:1]
	ds_load_b32 v24, v22
	v_add_nc_u32_e32 v22, 4, v22
	v_cmp_eq_u32_e32 vcc_lo, 1, v0
	v_cndmask_b32_e32 v23, v2, v3, vcc_lo
	v_cmp_eq_u32_e32 vcc_lo, 2, v0
	s_delay_alu instid0(VALU_DEP_2) | instskip(SKIP_1) | instid1(VALU_DEP_2)
	v_cndmask_b32_e32 v23, v23, v4, vcc_lo
	v_cmp_eq_u32_e32 vcc_lo, 3, v0
	v_cndmask_b32_e32 v23, v23, v5, vcc_lo
	v_cmp_eq_u32_e32 vcc_lo, 4, v0
	s_delay_alu instid0(VALU_DEP_2) | instskip(SKIP_1) | instid1(VALU_DEP_2)
	v_cndmask_b32_e32 v23, v23, v6, vcc_lo
	v_cmp_eq_u32_e32 vcc_lo, 5, v0
	v_cndmask_b32_e32 v23, v23, v7, vcc_lo
	v_cmp_eq_u32_e32 vcc_lo, 6, v0
	s_delay_alu instid0(VALU_DEP_2) | instskip(SKIP_1) | instid1(VALU_DEP_2)
	v_cndmask_b32_e32 v23, v23, v8, vcc_lo
	v_cmp_eq_u32_e32 vcc_lo, 7, v0
	v_cndmask_b32_e32 v23, v23, v9, vcc_lo
	v_cmp_eq_u32_e32 vcc_lo, 8, v0
	s_delay_alu instid0(VALU_DEP_2) | instskip(SKIP_1) | instid1(VALU_DEP_2)
	v_cndmask_b32_e32 v23, v23, v10, vcc_lo
	v_cmp_eq_u32_e32 vcc_lo, 9, v0
	v_cndmask_b32_e32 v23, v23, v11, vcc_lo
	v_cmp_eq_u32_e32 vcc_lo, 10, v0
	s_delay_alu instid0(VALU_DEP_2) | instskip(SKIP_1) | instid1(VALU_DEP_2)
	v_cndmask_b32_e32 v23, v23, v12, vcc_lo
	v_cmp_eq_u32_e32 vcc_lo, 11, v0
	v_cndmask_b32_e32 v23, v23, v13, vcc_lo
	v_cmp_eq_u32_e32 vcc_lo, 12, v0
	s_delay_alu instid0(VALU_DEP_2) | instskip(SKIP_1) | instid1(VALU_DEP_2)
	v_cndmask_b32_e32 v23, v23, v14, vcc_lo
	v_cmp_eq_u32_e32 vcc_lo, 13, v0
	v_cndmask_b32_e32 v23, v23, v15, vcc_lo
	v_cmp_eq_u32_e32 vcc_lo, 14, v0
	s_delay_alu instid0(VALU_DEP_2) | instskip(SKIP_1) | instid1(VALU_DEP_2)
	v_cndmask_b32_e32 v23, v23, v16, vcc_lo
	v_cmp_eq_u32_e32 vcc_lo, 15, v0
	v_cndmask_b32_e32 v23, v23, v17, vcc_lo
	v_cmp_eq_u32_e32 vcc_lo, 16, v0
	s_delay_alu instid0(VALU_DEP_2) | instskip(SKIP_1) | instid1(VALU_DEP_2)
	v_cndmask_b32_e32 v23, v23, v18, vcc_lo
	v_cmp_eq_u32_e32 vcc_lo, 17, v0
	v_cndmask_b32_e32 v23, v23, v19, vcc_lo
	v_cmp_eq_u32_e32 vcc_lo, 18, v0
	s_delay_alu instid0(VALU_DEP_2) | instskip(SKIP_2) | instid1(VALU_DEP_2)
	v_cndmask_b32_e32 v23, v23, v20, vcc_lo
	v_cmp_lt_u32_e32 vcc_lo, 16, v0
	s_wait_dscnt 0x0
	v_fmac_f32_e32 v21, v23, v24
	s_or_b32 s0, vcc_lo, s0
	s_delay_alu instid0(SALU_CYCLE_1)
	s_and_not1_b32 exec_lo, exec_lo, s0
	s_cbranch_execnz .LBB82_453
; %bb.454:
	s_or_b32 exec_lo, exec_lo, s0
.LBB82_455:
	s_delay_alu instid0(SALU_CYCLE_1)
	s_or_b32 exec_lo, exec_lo, s2
	v_mov_b32_e32 v0, 0
	ds_load_b32 v0, v0 offset:72
	s_wait_dscnt 0x0
	v_mul_f32_e32 v20, v21, v0
.LBB82_456:
	s_or_b32 exec_lo, exec_lo, s1
	v_mov_b64_e32 v[64:65], v[32:33]
	s_delay_alu instid0(VALU_DEP_2)
	v_mov_b64_e32 v[52:53], v[20:21]
	v_mov_b64_e32 v[50:51], v[18:19]
	;; [unrolled: 1-line block ×15, first 2 shown]
.LBB82_457:
	s_wait_xcnt 0x2
	v_lshl_add_u64 v[0:1], v[66:67], 2, s[22:23]
	s_wait_loadcnt_dscnt 0x203
	v_lshl_add_u64 v[2:3], v[68:69], 2, s[22:23]
	v_lshl_add_u64 v[4:5], v[70:71], 2, s[22:23]
	;; [unrolled: 1-line block ×8, first 2 shown]
	s_wait_loadcnt_dscnt 0x102
	v_lshl_add_u64 v[18:19], v[84:85], 2, s[22:23]
	s_wait_loadcnt_dscnt 0x1
	v_lshl_add_u64 v[20:21], v[86:87], 2, s[22:23]
	v_lshl_add_u64 v[22:23], v[90:91], 2, s[22:23]
	;; [unrolled: 1-line block ×7, first 2 shown]
	s_clause 0x12
	flat_store_b32 v[88:89], v34
	flat_store_b32 v[94:95], v35
	;; [unrolled: 1-line block ×19, first 2 shown]
.LBB82_458:
	s_sendmsg sendmsg(MSG_DEALLOC_VGPRS)
	s_endpgm
	.section	.rodata,"a",@progbits
	.p2align	6, 0x0
	.amdhsa_kernel _ZN9rocsolver6v33100L18trti2_kernel_smallILi19EfPKPfEEv13rocblas_fill_17rocblas_diagonal_T1_iil
		.amdhsa_group_segment_fixed_size 156
		.amdhsa_private_segment_fixed_size 0
		.amdhsa_kernarg_size 32
		.amdhsa_user_sgpr_count 2
		.amdhsa_user_sgpr_dispatch_ptr 0
		.amdhsa_user_sgpr_queue_ptr 0
		.amdhsa_user_sgpr_kernarg_segment_ptr 1
		.amdhsa_user_sgpr_dispatch_id 0
		.amdhsa_user_sgpr_kernarg_preload_length 0
		.amdhsa_user_sgpr_kernarg_preload_offset 0
		.amdhsa_user_sgpr_private_segment_size 0
		.amdhsa_wavefront_size32 1
		.amdhsa_uses_dynamic_stack 0
		.amdhsa_enable_private_segment 0
		.amdhsa_system_sgpr_workgroup_id_x 1
		.amdhsa_system_sgpr_workgroup_id_y 0
		.amdhsa_system_sgpr_workgroup_id_z 0
		.amdhsa_system_sgpr_workgroup_info 0
		.amdhsa_system_vgpr_workitem_id 0
		.amdhsa_next_free_vgpr 119
		.amdhsa_next_free_sgpr 24
		.amdhsa_named_barrier_count 0
		.amdhsa_reserve_vcc 1
		.amdhsa_float_round_mode_32 0
		.amdhsa_float_round_mode_16_64 0
		.amdhsa_float_denorm_mode_32 3
		.amdhsa_float_denorm_mode_16_64 3
		.amdhsa_fp16_overflow 0
		.amdhsa_memory_ordered 1
		.amdhsa_forward_progress 1
		.amdhsa_inst_pref_size 207
		.amdhsa_round_robin_scheduling 0
		.amdhsa_exception_fp_ieee_invalid_op 0
		.amdhsa_exception_fp_denorm_src 0
		.amdhsa_exception_fp_ieee_div_zero 0
		.amdhsa_exception_fp_ieee_overflow 0
		.amdhsa_exception_fp_ieee_underflow 0
		.amdhsa_exception_fp_ieee_inexact 0
		.amdhsa_exception_int_div_zero 0
	.end_amdhsa_kernel
	.section	.text._ZN9rocsolver6v33100L18trti2_kernel_smallILi19EfPKPfEEv13rocblas_fill_17rocblas_diagonal_T1_iil,"axG",@progbits,_ZN9rocsolver6v33100L18trti2_kernel_smallILi19EfPKPfEEv13rocblas_fill_17rocblas_diagonal_T1_iil,comdat
.Lfunc_end82:
	.size	_ZN9rocsolver6v33100L18trti2_kernel_smallILi19EfPKPfEEv13rocblas_fill_17rocblas_diagonal_T1_iil, .Lfunc_end82-_ZN9rocsolver6v33100L18trti2_kernel_smallILi19EfPKPfEEv13rocblas_fill_17rocblas_diagonal_T1_iil
                                        ; -- End function
	.set _ZN9rocsolver6v33100L18trti2_kernel_smallILi19EfPKPfEEv13rocblas_fill_17rocblas_diagonal_T1_iil.num_vgpr, 119
	.set _ZN9rocsolver6v33100L18trti2_kernel_smallILi19EfPKPfEEv13rocblas_fill_17rocblas_diagonal_T1_iil.num_agpr, 0
	.set _ZN9rocsolver6v33100L18trti2_kernel_smallILi19EfPKPfEEv13rocblas_fill_17rocblas_diagonal_T1_iil.numbered_sgpr, 24
	.set _ZN9rocsolver6v33100L18trti2_kernel_smallILi19EfPKPfEEv13rocblas_fill_17rocblas_diagonal_T1_iil.num_named_barrier, 0
	.set _ZN9rocsolver6v33100L18trti2_kernel_smallILi19EfPKPfEEv13rocblas_fill_17rocblas_diagonal_T1_iil.private_seg_size, 0
	.set _ZN9rocsolver6v33100L18trti2_kernel_smallILi19EfPKPfEEv13rocblas_fill_17rocblas_diagonal_T1_iil.uses_vcc, 1
	.set _ZN9rocsolver6v33100L18trti2_kernel_smallILi19EfPKPfEEv13rocblas_fill_17rocblas_diagonal_T1_iil.uses_flat_scratch, 1
	.set _ZN9rocsolver6v33100L18trti2_kernel_smallILi19EfPKPfEEv13rocblas_fill_17rocblas_diagonal_T1_iil.has_dyn_sized_stack, 0
	.set _ZN9rocsolver6v33100L18trti2_kernel_smallILi19EfPKPfEEv13rocblas_fill_17rocblas_diagonal_T1_iil.has_recursion, 0
	.set _ZN9rocsolver6v33100L18trti2_kernel_smallILi19EfPKPfEEv13rocblas_fill_17rocblas_diagonal_T1_iil.has_indirect_call, 0
	.section	.AMDGPU.csdata,"",@progbits
; Kernel info:
; codeLenInByte = 26432
; TotalNumSgprs: 26
; NumVgprs: 119
; ScratchSize: 0
; MemoryBound: 0
; FloatMode: 240
; IeeeMode: 1
; LDSByteSize: 156 bytes/workgroup (compile time only)
; SGPRBlocks: 0
; VGPRBlocks: 7
; NumSGPRsForWavesPerEU: 26
; NumVGPRsForWavesPerEU: 119
; NamedBarCnt: 0
; Occupancy: 8
; WaveLimiterHint : 1
; COMPUTE_PGM_RSRC2:SCRATCH_EN: 0
; COMPUTE_PGM_RSRC2:USER_SGPR: 2
; COMPUTE_PGM_RSRC2:TRAP_HANDLER: 0
; COMPUTE_PGM_RSRC2:TGID_X_EN: 1
; COMPUTE_PGM_RSRC2:TGID_Y_EN: 0
; COMPUTE_PGM_RSRC2:TGID_Z_EN: 0
; COMPUTE_PGM_RSRC2:TIDIG_COMP_CNT: 0
	.section	.text._ZN9rocsolver6v33100L18trti2_kernel_smallILi20EfPKPfEEv13rocblas_fill_17rocblas_diagonal_T1_iil,"axG",@progbits,_ZN9rocsolver6v33100L18trti2_kernel_smallILi20EfPKPfEEv13rocblas_fill_17rocblas_diagonal_T1_iil,comdat
	.globl	_ZN9rocsolver6v33100L18trti2_kernel_smallILi20EfPKPfEEv13rocblas_fill_17rocblas_diagonal_T1_iil ; -- Begin function _ZN9rocsolver6v33100L18trti2_kernel_smallILi20EfPKPfEEv13rocblas_fill_17rocblas_diagonal_T1_iil
	.p2align	8
	.type	_ZN9rocsolver6v33100L18trti2_kernel_smallILi20EfPKPfEEv13rocblas_fill_17rocblas_diagonal_T1_iil,@function
_ZN9rocsolver6v33100L18trti2_kernel_smallILi20EfPKPfEEv13rocblas_fill_17rocblas_diagonal_T1_iil: ; @_ZN9rocsolver6v33100L18trti2_kernel_smallILi20EfPKPfEEv13rocblas_fill_17rocblas_diagonal_T1_iil
; %bb.0:
	s_mov_b32 s2, exec_lo
	v_cmpx_gt_u32_e32 20, v0
	s_cbranch_execz .LBB83_484
; %bb.1:
	s_clause 0x1
	s_load_b64 s[2:3], s[0:1], 0x10
	s_load_b128 s[20:23], s[0:1], 0x0
	s_wait_xcnt 0x0
	s_bfe_u32 s0, ttmp6, 0x4000c
	s_and_b32 s1, ttmp6, 15
	s_add_co_i32 s0, s0, 1
	s_getreg_b32 s4, hwreg(HW_REG_IB_STS2, 6, 4)
	s_mul_i32 s0, ttmp9, s0
	v_mov_b32_e32 v1, 0
	s_add_co_i32 s0, s1, s0
	s_delay_alu instid0(VALU_DEP_1)
	v_mov_b32_e32 v35, v1
	s_wait_kmcnt 0x0
	v_add3_u32 v66, s3, s3, v0
	s_ashr_i32 s1, s2, 31
	s_cmp_eq_u32 s4, 0
	s_cselect_b32 s4, ttmp9, s0
	s_delay_alu instid0(VALU_DEP_1)
	v_add_nc_u32_e32 v68, s3, v66
	s_ashr_i32 s5, s4, 31
	s_mov_b32 s0, s2
	s_lshl_b64 s[4:5], s[4:5], 3
	s_lshl_b64 s[0:1], s[0:1], 2
	v_add_nc_u32_e32 v70, s3, v68
	s_add_nc_u64 s[4:5], s[22:23], s[4:5]
	s_load_b64 s[4:5], s[4:5], 0x0
	s_delay_alu instid0(VALU_DEP_1) | instskip(NEXT) | instid1(VALU_DEP_1)
	v_add_nc_u32_e32 v72, s3, v70
	v_add_nc_u32_e32 v74, s3, v72
	s_delay_alu instid0(VALU_DEP_1) | instskip(NEXT) | instid1(VALU_DEP_1)
	v_add_nc_u32_e32 v76, s3, v74
	v_add_nc_u32_e32 v78, s3, v76
	s_wait_kmcnt 0x0
	s_add_nc_u64 s[22:23], s[4:5], s[0:1]
	s_mov_b32 s0, s3
	s_delay_alu instid0(VALU_DEP_1) | instskip(SKIP_3) | instid1(VALU_DEP_1)
	v_add_nc_u32_e32 v80, s3, v78
	s_ashr_i32 s1, s3, 31
	s_cmp_lg_u32 s21, 0x84
	s_cselect_b32 s24, -1, 0
	v_add_nc_u32_e32 v82, s3, v80
	s_cmp_eq_u32 s21, 0x84
	s_delay_alu instid0(VALU_DEP_1) | instskip(NEXT) | instid1(VALU_DEP_1)
	v_add_nc_u32_e32 v84, s3, v82
	v_add_nc_u32_e32 v86, s3, v84
	s_delay_alu instid0(VALU_DEP_1) | instskip(NEXT) | instid1(VALU_DEP_1)
	v_add_nc_u32_e32 v88, s3, v86
	v_add_nc_u32_e32 v92, s3, v88
	s_delay_alu instid0(VALU_DEP_1) | instskip(NEXT) | instid1(VALU_DEP_1)
	v_add_nc_u32_e32 v94, s3, v92
	v_dual_lshlrev_b32 v34, 2, v0 :: v_dual_add_nc_u32 v98, s3, v94
	s_delay_alu instid0(VALU_DEP_1) | instskip(NEXT) | instid1(VALU_DEP_2)
	v_add_nc_u64_e32 v[90:91], s[22:23], v[34:35]
	v_dual_mov_b32 v35, -1.0 :: v_dual_add_nc_u32 v100, s3, v98
	s_delay_alu instid0(VALU_DEP_2) | instskip(SKIP_1) | instid1(VALU_DEP_3)
	v_lshl_add_u64 v[96:97], s[0:1], 2, v[90:91]
	v_cmp_eq_u32_e64 s0, 0, v0
	v_add_nc_u32_e32 v102, s3, v100
	s_clause 0x7
	flat_load_b32 v3, v[96:97]
	flat_load_b32 v4, v66, s[22:23] scale_offset
	flat_load_b32 v5, v68, s[22:23] scale_offset
	;; [unrolled: 1-line block ×7, first 2 shown]
	v_add_nc_u32_e32 v104, s3, v102
	s_clause 0xb
	flat_load_b32 v11, v80, s[22:23] scale_offset
	flat_load_b32 v12, v82, s[22:23] scale_offset
	;; [unrolled: 1-line block ×12, first 2 shown]
	s_cbranch_scc1 .LBB83_3
; %bb.2:
	v_cmp_eq_u32_e64 s1, 1, v0
	v_cmp_eq_u32_e64 s2, 2, v0
	;; [unrolled: 1-line block ×5, first 2 shown]
	s_wait_loadcnt_dscnt 0x303
	v_cndmask_b32_e64 v22, v2, v3, s1
	v_cmp_eq_u32_e64 s6, 6, v0
	v_cmp_eq_u32_e64 s7, 7, v0
	v_cmp_eq_u32_e64 s8, 8, v0
	v_cmp_eq_u32_e64 s9, 9, v0
	v_cndmask_b32_e64 v22, v22, v4, s2
	v_cmp_eq_u32_e64 s10, 10, v0
	v_cmp_eq_u32_e64 s11, 11, v0
	v_cmp_eq_u32_e64 s12, 12, v0
	v_cmp_eq_u32_e64 s13, 13, v0
	v_cndmask_b32_e64 v22, v22, v5, s3
	v_cmp_eq_u32_e64 s14, 14, v0
	v_cmp_eq_u32_e64 s15, 15, v0
	v_cmp_eq_u32_e64 s16, 16, v0
	v_cmp_eq_u32_e64 s17, 17, v0
	v_cndmask_b32_e64 v22, v22, v6, s4
	v_cmp_eq_u32_e64 s18, 18, v0
	v_cmp_eq_u32_e64 s19, 19, v0
	s_delay_alu instid0(VALU_DEP_3) | instskip(NEXT) | instid1(VALU_DEP_1)
	v_cndmask_b32_e64 v22, v22, v7, s5
	v_cndmask_b32_e64 v22, v22, v8, s6
	s_delay_alu instid0(VALU_DEP_1) | instskip(NEXT) | instid1(VALU_DEP_1)
	v_cndmask_b32_e64 v22, v22, v9, s7
	v_cndmask_b32_e64 v22, v22, v10, s8
	s_delay_alu instid0(VALU_DEP_1) | instskip(NEXT) | instid1(VALU_DEP_1)
	;; [unrolled: 3-line block ×5, first 2 shown]
	v_cndmask_b32_e64 v22, v22, v17, s15
	v_cndmask_b32_e64 v22, v22, v18, s16
	s_wait_loadcnt_dscnt 0x202
	s_delay_alu instid0(VALU_DEP_1) | instskip(SKIP_1) | instid1(VALU_DEP_1)
	v_cndmask_b32_e64 v22, v22, v19, s17
	s_wait_loadcnt_dscnt 0x101
	v_cndmask_b32_e64 v22, v22, v20, s18
	s_wait_loadcnt_dscnt 0x0
	s_delay_alu instid0(VALU_DEP_1) | instskip(NEXT) | instid1(VALU_DEP_1)
	v_cndmask_b32_e64 v22, v22, v21, s19
	v_div_scale_f32 v23, null, v22, v22, 1.0
	v_div_scale_f32 v26, vcc_lo, 1.0, v22, 1.0
	s_delay_alu instid0(VALU_DEP_2) | instskip(SKIP_1) | instid1(TRANS32_DEP_1)
	v_rcp_f32_e32 v24, v23
	v_nop
	v_fma_f32 v25, -v23, v24, 1.0
	s_delay_alu instid0(VALU_DEP_1) | instskip(NEXT) | instid1(VALU_DEP_1)
	v_fmac_f32_e32 v24, v25, v24
	v_mul_f32_e32 v25, v26, v24
	s_delay_alu instid0(VALU_DEP_1) | instskip(NEXT) | instid1(VALU_DEP_1)
	v_fma_f32 v27, -v23, v25, v26
	v_fmac_f32_e32 v25, v27, v24
	s_delay_alu instid0(VALU_DEP_1) | instskip(NEXT) | instid1(VALU_DEP_1)
	v_fma_f32 v23, -v23, v25, v26
	v_div_fmas_f32 v23, v23, v24, v25
	s_delay_alu instid0(VALU_DEP_1) | instskip(NEXT) | instid1(VALU_DEP_1)
	v_div_fixup_f32 v22, v23, v22, 1.0
	v_dual_cndmask_b32 v21, v21, v22, s19 :: v_dual_cndmask_b32 v20, v20, v22, s18
	v_dual_cndmask_b32 v19, v19, v22, s17 :: v_dual_cndmask_b32 v18, v18, v22, s16
	;; [unrolled: 1-line block ×10, first 2 shown]
	v_xor_b32_e32 v35, 0x80000000, v22
.LBB83_3:
	v_dual_ashrrev_i32 v67, 31, v66 :: v_dual_ashrrev_i32 v69, 31, v68
	v_dual_ashrrev_i32 v71, 31, v70 :: v_dual_ashrrev_i32 v73, 31, v72
	;; [unrolled: 1-line block ×9, first 2 shown]
	v_add_nc_u32_e32 v109, 0x50, v34
	s_cmp_eq_u32 s20, 0x79
	ds_store_b32 v34, v35
	s_cbranch_scc1 .LBB83_7
; %bb.4:
	s_wait_loadcnt_dscnt 0x1
	v_mov_b64_e32 v[64:65], v[32:33]
	v_mov_b64_e32 v[62:63], v[30:31]
	;; [unrolled: 1-line block ×16, first 2 shown]
	v_cmp_eq_u32_e64 s0, 19, v0
	ds_store_b32 v109, v20
	s_wait_dscnt 0x0
	s_barrier_signal -1
	s_barrier_wait -1
	s_and_saveexec_b32 s1, s0
	s_cbranch_execz .LBB83_11
; %bb.5:
	s_and_b32 vcc_lo, exec_lo, s24
	s_cbranch_vccz .LBB83_8
; %bb.6:
	v_cmp_eq_u32_e32 vcc_lo, 1, v0
	ds_load_b32 v35, v109
	v_cndmask_b32_e32 v34, v2, v3, vcc_lo
	v_cmp_eq_u32_e32 vcc_lo, 2, v0
	s_delay_alu instid0(VALU_DEP_2) | instskip(SKIP_1) | instid1(VALU_DEP_2)
	v_cndmask_b32_e32 v34, v34, v4, vcc_lo
	v_cmp_eq_u32_e32 vcc_lo, 3, v0
	v_cndmask_b32_e32 v34, v34, v5, vcc_lo
	v_cmp_eq_u32_e32 vcc_lo, 4, v0
	s_delay_alu instid0(VALU_DEP_2) | instskip(SKIP_1) | instid1(VALU_DEP_2)
	v_cndmask_b32_e32 v34, v34, v6, vcc_lo
	v_cmp_eq_u32_e32 vcc_lo, 5, v0
	v_cndmask_b32_e32 v34, v34, v7, vcc_lo
	v_cmp_eq_u32_e32 vcc_lo, 6, v0
	s_delay_alu instid0(VALU_DEP_2) | instskip(SKIP_1) | instid1(VALU_DEP_2)
	v_cndmask_b32_e32 v34, v34, v8, vcc_lo
	v_cmp_eq_u32_e32 vcc_lo, 7, v0
	v_cndmask_b32_e32 v34, v34, v9, vcc_lo
	v_cmp_eq_u32_e32 vcc_lo, 8, v0
	s_delay_alu instid0(VALU_DEP_2) | instskip(SKIP_1) | instid1(VALU_DEP_2)
	v_cndmask_b32_e32 v34, v34, v10, vcc_lo
	v_cmp_eq_u32_e32 vcc_lo, 9, v0
	v_cndmask_b32_e32 v34, v34, v11, vcc_lo
	v_cmp_eq_u32_e32 vcc_lo, 10, v0
	s_delay_alu instid0(VALU_DEP_2) | instskip(SKIP_1) | instid1(VALU_DEP_2)
	v_cndmask_b32_e32 v34, v34, v12, vcc_lo
	v_cmp_eq_u32_e32 vcc_lo, 11, v0
	v_cndmask_b32_e32 v34, v34, v13, vcc_lo
	v_cmp_eq_u32_e32 vcc_lo, 12, v0
	s_delay_alu instid0(VALU_DEP_2) | instskip(SKIP_1) | instid1(VALU_DEP_2)
	v_cndmask_b32_e32 v34, v34, v14, vcc_lo
	v_cmp_eq_u32_e32 vcc_lo, 13, v0
	v_cndmask_b32_e32 v34, v34, v15, vcc_lo
	v_cmp_eq_u32_e32 vcc_lo, 14, v0
	s_delay_alu instid0(VALU_DEP_2) | instskip(SKIP_1) | instid1(VALU_DEP_2)
	v_cndmask_b32_e32 v34, v34, v16, vcc_lo
	v_cmp_eq_u32_e32 vcc_lo, 15, v0
	v_cndmask_b32_e32 v34, v34, v17, vcc_lo
	v_cmp_eq_u32_e32 vcc_lo, 16, v0
	s_delay_alu instid0(VALU_DEP_2) | instskip(SKIP_1) | instid1(VALU_DEP_2)
	v_cndmask_b32_e32 v34, v34, v18, vcc_lo
	v_cmp_eq_u32_e32 vcc_lo, 17, v0
	v_cndmask_b32_e32 v34, v34, v19, vcc_lo
	v_cmp_eq_u32_e32 vcc_lo, 18, v0
	s_delay_alu instid0(VALU_DEP_2) | instskip(SKIP_1) | instid1(VALU_DEP_2)
	v_cndmask_b32_e32 v34, v34, v20, vcc_lo
	v_cmp_eq_u32_e32 vcc_lo, 19, v0
	v_cndmask_b32_e32 v34, v34, v21, vcc_lo
	s_wait_dscnt 0x0
	s_delay_alu instid0(VALU_DEP_1)
	v_mul_f32_e32 v52, v34, v35
	s_cbranch_execz .LBB83_9
	s_branch .LBB83_10
.LBB83_7:
                                        ; implicit-def: $vgpr34_vgpr35_vgpr36_vgpr37_vgpr38_vgpr39_vgpr40_vgpr41_vgpr42_vgpr43_vgpr44_vgpr45_vgpr46_vgpr47_vgpr48_vgpr49_vgpr50_vgpr51_vgpr52_vgpr53_vgpr54_vgpr55_vgpr56_vgpr57_vgpr58_vgpr59_vgpr60_vgpr61_vgpr62_vgpr63_vgpr64_vgpr65
	s_cbranch_execnz .LBB83_290
	s_branch .LBB83_483
.LBB83_8:
                                        ; implicit-def: $vgpr52
.LBB83_9:
	ds_load_b32 v52, v109
.LBB83_10:
	v_dual_mov_b32 v34, 0 :: v_dual_mov_b32 v35, v3
	v_dual_mov_b32 v37, v5 :: v_dual_mov_b32 v38, v6
	;; [unrolled: 1-line block ×3, first 2 shown]
	ds_load_b32 v53, v34 offset:72
	v_dual_mov_b32 v34, v2 :: v_dual_mov_b32 v36, v4
	v_dual_mov_b32 v41, v9 :: v_dual_mov_b32 v42, v10
	;; [unrolled: 1-line block ×6, first 2 shown]
	s_wait_dscnt 0x0
	v_dual_mov_b32 v51, v19 :: v_dual_mul_f32 v52, v52, v53
	v_mov_b32_e32 v53, v21
.LBB83_11:
	s_or_b32 exec_lo, exec_lo, s1
	v_cmp_lt_u32_e64 s1, 17, v0
	ds_store_b32 v109, v51
	s_wait_dscnt 0x0
	s_barrier_signal -1
	s_barrier_wait -1
	s_and_saveexec_b32 s2, s1
	s_cbranch_execz .LBB83_17
; %bb.12:
	s_and_not1_b32 vcc_lo, exec_lo, s24
	s_cbranch_vccnz .LBB83_14
; %bb.13:
	v_cmp_eq_u32_e32 vcc_lo, 1, v0
	ds_load_b32 v55, v109
	v_cndmask_b32_e32 v54, v34, v35, vcc_lo
	v_cmp_eq_u32_e32 vcc_lo, 2, v0
	s_delay_alu instid0(VALU_DEP_2) | instskip(SKIP_1) | instid1(VALU_DEP_2)
	v_cndmask_b32_e32 v54, v54, v36, vcc_lo
	v_cmp_eq_u32_e32 vcc_lo, 3, v0
	v_cndmask_b32_e32 v54, v54, v37, vcc_lo
	v_cmp_eq_u32_e32 vcc_lo, 4, v0
	s_delay_alu instid0(VALU_DEP_2) | instskip(SKIP_1) | instid1(VALU_DEP_2)
	v_cndmask_b32_e32 v54, v54, v38, vcc_lo
	v_cmp_eq_u32_e32 vcc_lo, 5, v0
	;; [unrolled: 5-line block ×9, first 2 shown]
	v_cndmask_b32_e32 v51, v51, v53, vcc_lo
	s_wait_dscnt 0x0
	s_delay_alu instid0(VALU_DEP_1)
	v_mul_f32_e32 v51, v51, v55
	s_cbranch_execz .LBB83_15
	s_branch .LBB83_16
.LBB83_14:
                                        ; implicit-def: $vgpr51
.LBB83_15:
	ds_load_b32 v51, v109
.LBB83_16:
	v_mov_b32_e32 v54, 0
	ds_load_2addr_b32 v[54:55], v54 offset0:17 offset1:38
	s_wait_dscnt 0x0
	v_fma_f32 v55, v52, v55, v51
	s_delay_alu instid0(VALU_DEP_1) | instskip(NEXT) | instid1(VALU_DEP_1)
	v_cndmask_b32_e64 v51, v51, v55, s0
	v_mul_f32_e32 v51, v51, v54
.LBB83_17:
	s_or_b32 exec_lo, exec_lo, s2
	v_cmp_lt_u32_e64 s0, 16, v0
	ds_store_b32 v109, v50
	s_wait_dscnt 0x0
	s_barrier_signal -1
	s_barrier_wait -1
	s_and_saveexec_b32 s4, s0
	s_cbranch_execz .LBB83_33
; %bb.18:
	s_and_not1_b32 vcc_lo, exec_lo, s24
	s_cbranch_vccnz .LBB83_20
; %bb.19:
	v_cmp_eq_u32_e32 vcc_lo, 1, v0
	ds_load_b32 v107, v109
	v_cndmask_b32_e32 v106, v34, v35, vcc_lo
	v_cmp_eq_u32_e32 vcc_lo, 2, v0
	s_delay_alu instid0(VALU_DEP_2) | instskip(SKIP_1) | instid1(VALU_DEP_2)
	v_cndmask_b32_e32 v106, v106, v36, vcc_lo
	v_cmp_eq_u32_e32 vcc_lo, 3, v0
	v_cndmask_b32_e32 v106, v106, v37, vcc_lo
	v_cmp_eq_u32_e32 vcc_lo, 4, v0
	s_delay_alu instid0(VALU_DEP_2) | instskip(SKIP_1) | instid1(VALU_DEP_2)
	v_cndmask_b32_e32 v106, v106, v38, vcc_lo
	v_cmp_eq_u32_e32 vcc_lo, 5, v0
	;; [unrolled: 5-line block ×9, first 2 shown]
	v_cndmask_b32_e32 v106, v106, v53, vcc_lo
	s_wait_dscnt 0x0
	s_delay_alu instid0(VALU_DEP_1)
	v_mul_f32_e32 v110, v106, v107
	s_cbranch_execz .LBB83_21
	s_branch .LBB83_22
.LBB83_20:
                                        ; implicit-def: $vgpr110
.LBB83_21:
	ds_load_b32 v110, v109
.LBB83_22:
	s_and_saveexec_b32 s5, s1
	s_cbranch_execz .LBB83_32
; %bb.23:
	v_subrev_nc_u32_e32 v108, 18, v0
	v_mov_b32_e32 v106, 17
	v_subrev_nc_u32_e32 v107, 17, v0
	s_mov_b32 s1, exec_lo
	s_delay_alu instid0(VALU_DEP_3)
	v_cmpx_lt_u32_e32 6, v108
	s_cbranch_execz .LBB83_27
; %bb.24:
	s_delay_alu instid0(VALU_DEP_2) | instskip(SKIP_3) | instid1(VALU_DEP_1)
	v_and_b32_e32 v106, -8, v107
	s_mov_b32 s6, 0
	s_mov_b64 s[2:3], 24
	s_movk_i32 s7, 0x94
	v_sub_nc_u32_e32 v108, 0, v106
.LBB83_25:                              ; =>This Inner Loop Header: Depth=1
	s_add_co_i32 m0, s2, -7
	v_movrels_b32_e32 v111, v34
	v_mov_b32_e32 v106, s7
	s_add_co_i32 m0, s2, -6
	s_add_co_i32 s7, s7, 32
	v_movrels_b32_e32 v120, v34
	ds_load_2addr_b32 v[112:113], v106 offset1:1
	ds_load_2addr_b32 v[114:115], v106 offset0:2 offset1:3
	s_add_co_i32 m0, s2, -5
	s_wait_dscnt 0x1
	v_fmac_f32_e32 v110, v111, v112
	ds_load_2addr_b32 v[116:117], v106 offset0:4 offset1:5
	ds_load_2addr_b32 v[118:119], v106 offset0:6 offset1:7
	v_movrels_b32_e32 v106, v34
	s_add_co_i32 m0, s2, -4
	v_fmac_f32_e32 v110, v120, v113
	v_movrels_b32_e32 v111, v34
	s_add_co_i32 m0, s2, -3
	s_wait_dscnt 0x2
	s_delay_alu instid0(VALU_DEP_2) | instskip(SKIP_2) | instid1(VALU_DEP_2)
	v_fmac_f32_e32 v110, v106, v114
	v_movrels_b32_e32 v106, v34
	s_add_co_i32 m0, s2, -2
	v_fmac_f32_e32 v110, v111, v115
	v_movrels_b32_e32 v111, v34
	s_add_co_i32 m0, s2, -1
	s_wait_dscnt 0x1
	s_delay_alu instid0(VALU_DEP_2)
	v_fmac_f32_e32 v110, v106, v116
	v_movrels_b32_e32 v106, v34
	s_mov_b32 m0, s2
	s_add_nc_u64 s[2:3], s[2:3], 8
	v_movrels_b32_e32 v112, v34
	v_dual_fmac_f32 v110, v111, v117 :: v_dual_add_nc_u32 v111, s2, v108
	s_add_co_i32 s8, s2, -7
	s_wait_dscnt 0x0
	s_delay_alu instid0(VALU_DEP_1) | instskip(NEXT) | instid1(VALU_DEP_2)
	v_fmac_f32_e32 v110, v106, v118
	v_cmp_eq_u32_e32 vcc_lo, 24, v111
	s_delay_alu instid0(VALU_DEP_2) | instskip(SKIP_1) | instid1(SALU_CYCLE_1)
	v_dual_mov_b32 v106, s8 :: v_dual_fmac_f32 v110, v112, v119
	s_or_b32 s6, vcc_lo, s6
	s_and_not1_b32 exec_lo, exec_lo, s6
	s_cbranch_execnz .LBB83_25
; %bb.26:
	s_or_b32 exec_lo, exec_lo, s6
.LBB83_27:
	s_delay_alu instid0(SALU_CYCLE_1) | instskip(SKIP_3) | instid1(VALU_DEP_1)
	s_or_b32 exec_lo, exec_lo, s1
	v_and_b32_e32 v54, 7, v107
	s_mov_b32 s2, 0
	s_mov_b32 s1, exec_lo
	v_cmpx_ne_u32_e32 0, v54
	s_cbranch_execz .LBB83_31
; %bb.28:
	v_lshl_add_u32 v55, v106, 2, 0x50
	v_mov_b32_e32 v107, 0
.LBB83_29:                              ; =>This Inner Loop Header: Depth=1
	v_cmp_eq_u32_e32 vcc_lo, 1, v106
	ds_load_b32 v57, v55
	v_dual_add_nc_u32 v54, -1, v54 :: v_dual_add_nc_u32 v55, 4, v55
	v_cndmask_b32_e32 v56, v34, v35, vcc_lo
	v_cmp_eq_u32_e32 vcc_lo, 2, v106
	s_delay_alu instid0(VALU_DEP_2) | instskip(SKIP_1) | instid1(VALU_DEP_2)
	v_cndmask_b32_e32 v56, v56, v36, vcc_lo
	v_cmp_eq_u32_e32 vcc_lo, 3, v106
	v_cndmask_b32_e32 v56, v56, v37, vcc_lo
	v_cmp_eq_u32_e32 vcc_lo, 4, v106
	s_delay_alu instid0(VALU_DEP_2) | instskip(SKIP_1) | instid1(VALU_DEP_2)
	v_cndmask_b32_e32 v56, v56, v38, vcc_lo
	v_cmp_eq_u32_e32 vcc_lo, 5, v106
	;; [unrolled: 5-line block ×8, first 2 shown]
	v_cndmask_b32_e32 v56, v56, v51, vcc_lo
	v_cmp_eq_u32_e32 vcc_lo, 18, v106
	s_delay_alu instid0(VALU_DEP_2) | instskip(SKIP_2) | instid1(VALU_DEP_3)
	v_cndmask_b32_e32 v56, v56, v52, vcc_lo
	v_cmp_eq_u32_e32 vcc_lo, 19, v106
	v_add_nc_u64_e32 v[106:107], 1, v[106:107]
	v_cndmask_b32_e32 v56, v56, v53, vcc_lo
	v_cmp_eq_u32_e32 vcc_lo, 0, v54
	s_wait_dscnt 0x0
	s_delay_alu instid0(VALU_DEP_2) | instskip(SKIP_1) | instid1(SALU_CYCLE_1)
	v_fmac_f32_e32 v110, v56, v57
	s_or_b32 s2, vcc_lo, s2
	s_and_not1_b32 exec_lo, exec_lo, s2
	s_cbranch_execnz .LBB83_29
; %bb.30:
	s_or_b32 exec_lo, exec_lo, s2
.LBB83_31:
	s_delay_alu instid0(SALU_CYCLE_1)
	s_or_b32 exec_lo, exec_lo, s1
.LBB83_32:
	s_delay_alu instid0(SALU_CYCLE_1)
	s_or_b32 exec_lo, exec_lo, s5
	v_mov_b32_e32 v50, 0
	ds_load_b32 v50, v50 offset:64
	s_wait_dscnt 0x0
	v_mul_f32_e32 v50, v110, v50
.LBB83_33:
	s_or_b32 exec_lo, exec_lo, s4
	v_cmp_lt_u32_e64 s1, 15, v0
	ds_store_b32 v109, v49
	s_wait_dscnt 0x0
	s_barrier_signal -1
	s_barrier_wait -1
	s_and_saveexec_b32 s4, s1
	s_cbranch_execz .LBB83_49
; %bb.34:
	s_and_not1_b32 vcc_lo, exec_lo, s24
	s_cbranch_vccnz .LBB83_36
; %bb.35:
	v_cmp_eq_u32_e32 vcc_lo, 1, v0
	ds_load_b32 v107, v109
	v_cndmask_b32_e32 v106, v34, v35, vcc_lo
	v_cmp_eq_u32_e32 vcc_lo, 2, v0
	s_delay_alu instid0(VALU_DEP_2) | instskip(SKIP_1) | instid1(VALU_DEP_2)
	v_cndmask_b32_e32 v106, v106, v36, vcc_lo
	v_cmp_eq_u32_e32 vcc_lo, 3, v0
	v_cndmask_b32_e32 v106, v106, v37, vcc_lo
	v_cmp_eq_u32_e32 vcc_lo, 4, v0
	s_delay_alu instid0(VALU_DEP_2) | instskip(SKIP_1) | instid1(VALU_DEP_2)
	v_cndmask_b32_e32 v106, v106, v38, vcc_lo
	v_cmp_eq_u32_e32 vcc_lo, 5, v0
	;; [unrolled: 5-line block ×9, first 2 shown]
	v_cndmask_b32_e32 v106, v106, v53, vcc_lo
	s_wait_dscnt 0x0
	s_delay_alu instid0(VALU_DEP_1)
	v_mul_f32_e32 v110, v106, v107
	s_cbranch_execz .LBB83_37
	s_branch .LBB83_38
.LBB83_36:
                                        ; implicit-def: $vgpr110
.LBB83_37:
	ds_load_b32 v110, v109
.LBB83_38:
	s_and_saveexec_b32 s5, s0
	s_cbranch_execz .LBB83_48
; %bb.39:
	v_subrev_nc_u32_e32 v106, 17, v0
	s_delay_alu instid0(VALU_DEP_1)
	v_cmp_lt_u32_e32 vcc_lo, 6, v106
	v_mov_b32_e32 v106, 16
	s_and_saveexec_b32 s0, vcc_lo
	s_cbranch_execz .LBB83_43
; %bb.40:
	v_and_b32_e32 v106, 24, v0
	s_mov_b32 s6, 0
	s_mov_b64 s[2:3], 23
	s_movk_i32 s7, 0x90
	s_delay_alu instid0(VALU_DEP_1)
	v_sub_nc_u32_e32 v108, 0, v106
.LBB83_41:                              ; =>This Inner Loop Header: Depth=1
	s_add_co_i32 m0, s2, -7
	v_movrels_b32_e32 v107, v34
	v_mov_b32_e32 v106, s7
	s_add_co_i32 m0, s2, -6
	s_add_co_i32 s7, s7, 32
	v_movrels_b32_e32 v111, v34
	s_add_co_i32 m0, s2, -5
	ds_load_b128 v[112:115], v106
	ds_load_b128 v[116:119], v106 offset:16
	v_movrels_b32_e32 v106, v34
	s_add_co_i32 m0, s2, -4
	s_wait_dscnt 0x1
	v_fmac_f32_e32 v110, v107, v112
	v_movrels_b32_e32 v107, v34
	s_add_co_i32 m0, s2, -3
	s_delay_alu instid0(VALU_DEP_2) | instskip(NEXT) | instid1(VALU_DEP_1)
	v_fmac_f32_e32 v110, v111, v113
	v_fmac_f32_e32 v110, v106, v114
	v_movrels_b32_e32 v106, v34
	s_add_co_i32 m0, s2, -2
	s_delay_alu instid0(VALU_DEP_2) | instskip(SKIP_3) | instid1(VALU_DEP_2)
	v_fmac_f32_e32 v110, v107, v115
	v_movrels_b32_e32 v107, v34
	s_add_co_i32 m0, s2, -1
	s_wait_dscnt 0x0
	v_fmac_f32_e32 v110, v106, v116
	v_movrels_b32_e32 v106, v34
	s_mov_b32 m0, s2
	s_add_nc_u64 s[2:3], s[2:3], 8
	v_movrels_b32_e32 v111, v34
	v_dual_fmac_f32 v110, v107, v117 :: v_dual_add_nc_u32 v107, s2, v108
	s_add_co_i32 s8, s2, -7
	s_delay_alu instid0(VALU_DEP_1) | instskip(NEXT) | instid1(VALU_DEP_2)
	v_fmac_f32_e32 v110, v106, v118
	v_cmp_eq_u32_e32 vcc_lo, 7, v107
	s_delay_alu instid0(VALU_DEP_2) | instskip(SKIP_1) | instid1(SALU_CYCLE_1)
	v_dual_mov_b32 v106, s8 :: v_dual_fmac_f32 v110, v111, v119
	s_or_b32 s6, vcc_lo, s6
	s_and_not1_b32 exec_lo, exec_lo, s6
	s_cbranch_execnz .LBB83_41
; %bb.42:
	s_or_b32 exec_lo, exec_lo, s6
.LBB83_43:
	s_delay_alu instid0(SALU_CYCLE_1) | instskip(SKIP_3) | instid1(VALU_DEP_1)
	s_or_b32 exec_lo, exec_lo, s0
	v_and_b32_e32 v54, 7, v0
	s_mov_b32 s2, 0
	s_mov_b32 s0, exec_lo
	v_cmpx_ne_u32_e32 0, v54
	s_cbranch_execz .LBB83_47
; %bb.44:
	v_lshl_add_u32 v55, v106, 2, 0x50
	v_mov_b32_e32 v107, 0
.LBB83_45:                              ; =>This Inner Loop Header: Depth=1
	v_cmp_eq_u32_e32 vcc_lo, 1, v106
	ds_load_b32 v57, v55
	v_dual_add_nc_u32 v54, -1, v54 :: v_dual_add_nc_u32 v55, 4, v55
	v_cndmask_b32_e32 v56, v34, v35, vcc_lo
	v_cmp_eq_u32_e32 vcc_lo, 2, v106
	s_delay_alu instid0(VALU_DEP_2) | instskip(SKIP_1) | instid1(VALU_DEP_2)
	v_cndmask_b32_e32 v56, v56, v36, vcc_lo
	v_cmp_eq_u32_e32 vcc_lo, 3, v106
	v_cndmask_b32_e32 v56, v56, v37, vcc_lo
	v_cmp_eq_u32_e32 vcc_lo, 4, v106
	s_delay_alu instid0(VALU_DEP_2) | instskip(SKIP_1) | instid1(VALU_DEP_2)
	v_cndmask_b32_e32 v56, v56, v38, vcc_lo
	v_cmp_eq_u32_e32 vcc_lo, 5, v106
	;; [unrolled: 5-line block ×8, first 2 shown]
	v_cndmask_b32_e32 v56, v56, v51, vcc_lo
	v_cmp_eq_u32_e32 vcc_lo, 18, v106
	s_delay_alu instid0(VALU_DEP_2) | instskip(SKIP_2) | instid1(VALU_DEP_3)
	v_cndmask_b32_e32 v56, v56, v52, vcc_lo
	v_cmp_eq_u32_e32 vcc_lo, 19, v106
	v_add_nc_u64_e32 v[106:107], 1, v[106:107]
	v_cndmask_b32_e32 v56, v56, v53, vcc_lo
	v_cmp_eq_u32_e32 vcc_lo, 0, v54
	s_wait_dscnt 0x0
	s_delay_alu instid0(VALU_DEP_2) | instskip(SKIP_1) | instid1(SALU_CYCLE_1)
	v_fmac_f32_e32 v110, v56, v57
	s_or_b32 s2, vcc_lo, s2
	s_and_not1_b32 exec_lo, exec_lo, s2
	s_cbranch_execnz .LBB83_45
; %bb.46:
	s_or_b32 exec_lo, exec_lo, s2
.LBB83_47:
	s_delay_alu instid0(SALU_CYCLE_1)
	s_or_b32 exec_lo, exec_lo, s0
.LBB83_48:
	s_delay_alu instid0(SALU_CYCLE_1)
	s_or_b32 exec_lo, exec_lo, s5
	v_mov_b32_e32 v49, 0
	ds_load_b32 v49, v49 offset:60
	s_wait_dscnt 0x0
	v_mul_f32_e32 v49, v110, v49
.LBB83_49:
	s_or_b32 exec_lo, exec_lo, s4
	v_cmp_lt_u32_e64 s0, 14, v0
	ds_store_b32 v109, v48
	s_wait_dscnt 0x0
	s_barrier_signal -1
	s_barrier_wait -1
	s_and_saveexec_b32 s4, s0
	s_cbranch_execz .LBB83_65
; %bb.50:
	s_and_not1_b32 vcc_lo, exec_lo, s24
	s_cbranch_vccnz .LBB83_52
; %bb.51:
	v_cmp_eq_u32_e32 vcc_lo, 1, v0
	ds_load_b32 v107, v109
	v_cndmask_b32_e32 v106, v34, v35, vcc_lo
	v_cmp_eq_u32_e32 vcc_lo, 2, v0
	s_delay_alu instid0(VALU_DEP_2) | instskip(SKIP_1) | instid1(VALU_DEP_2)
	v_cndmask_b32_e32 v106, v106, v36, vcc_lo
	v_cmp_eq_u32_e32 vcc_lo, 3, v0
	v_cndmask_b32_e32 v106, v106, v37, vcc_lo
	v_cmp_eq_u32_e32 vcc_lo, 4, v0
	s_delay_alu instid0(VALU_DEP_2) | instskip(SKIP_1) | instid1(VALU_DEP_2)
	v_cndmask_b32_e32 v106, v106, v38, vcc_lo
	v_cmp_eq_u32_e32 vcc_lo, 5, v0
	;; [unrolled: 5-line block ×9, first 2 shown]
	v_cndmask_b32_e32 v106, v106, v53, vcc_lo
	s_wait_dscnt 0x0
	s_delay_alu instid0(VALU_DEP_1)
	v_mul_f32_e32 v110, v106, v107
	s_cbranch_execz .LBB83_53
	s_branch .LBB83_54
.LBB83_52:
                                        ; implicit-def: $vgpr110
.LBB83_53:
	ds_load_b32 v110, v109
.LBB83_54:
	s_and_saveexec_b32 s5, s1
	s_cbranch_execz .LBB83_64
; %bb.55:
	v_dual_add_nc_u32 v106, -16, v0 :: v_dual_add_nc_u32 v107, -15, v0
	s_delay_alu instid0(VALU_DEP_1)
	v_cmp_lt_u32_e32 vcc_lo, 6, v106
	v_mov_b32_e32 v106, 15
	s_and_saveexec_b32 s1, vcc_lo
	s_cbranch_execz .LBB83_59
; %bb.56:
	v_and_b32_e32 v106, -8, v107
	s_mov_b32 s6, 0
	s_mov_b64 s[2:3], 22
	s_movk_i32 s7, 0x8c
	s_delay_alu instid0(VALU_DEP_1)
	v_sub_nc_u32_e32 v108, 0, v106
.LBB83_57:                              ; =>This Inner Loop Header: Depth=1
	s_add_co_i32 m0, s2, -7
	v_movrels_b32_e32 v111, v34
	v_mov_b32_e32 v106, s7
	s_add_co_i32 m0, s2, -6
	s_add_co_i32 s7, s7, 32
	v_movrels_b32_e32 v120, v34
	ds_load_2addr_b32 v[112:113], v106 offset1:1
	ds_load_2addr_b32 v[114:115], v106 offset0:2 offset1:3
	s_add_co_i32 m0, s2, -5
	s_wait_dscnt 0x1
	v_fmac_f32_e32 v110, v111, v112
	ds_load_2addr_b32 v[116:117], v106 offset0:4 offset1:5
	ds_load_2addr_b32 v[118:119], v106 offset0:6 offset1:7
	v_movrels_b32_e32 v106, v34
	s_add_co_i32 m0, s2, -4
	v_fmac_f32_e32 v110, v120, v113
	v_movrels_b32_e32 v111, v34
	s_add_co_i32 m0, s2, -3
	s_wait_dscnt 0x2
	s_delay_alu instid0(VALU_DEP_2) | instskip(SKIP_2) | instid1(VALU_DEP_2)
	v_fmac_f32_e32 v110, v106, v114
	v_movrels_b32_e32 v106, v34
	s_add_co_i32 m0, s2, -2
	v_fmac_f32_e32 v110, v111, v115
	v_movrels_b32_e32 v111, v34
	s_add_co_i32 m0, s2, -1
	s_wait_dscnt 0x1
	s_delay_alu instid0(VALU_DEP_2)
	v_fmac_f32_e32 v110, v106, v116
	v_movrels_b32_e32 v106, v34
	s_mov_b32 m0, s2
	s_add_nc_u64 s[2:3], s[2:3], 8
	v_movrels_b32_e32 v112, v34
	v_dual_fmac_f32 v110, v111, v117 :: v_dual_add_nc_u32 v111, s2, v108
	s_add_co_i32 s8, s2, -7
	s_wait_dscnt 0x0
	s_delay_alu instid0(VALU_DEP_1) | instskip(NEXT) | instid1(VALU_DEP_2)
	v_fmac_f32_e32 v110, v106, v118
	v_cmp_eq_u32_e32 vcc_lo, 22, v111
	s_delay_alu instid0(VALU_DEP_2) | instskip(SKIP_1) | instid1(SALU_CYCLE_1)
	v_dual_mov_b32 v106, s8 :: v_dual_fmac_f32 v110, v112, v119
	s_or_b32 s6, vcc_lo, s6
	s_and_not1_b32 exec_lo, exec_lo, s6
	s_cbranch_execnz .LBB83_57
; %bb.58:
	s_or_b32 exec_lo, exec_lo, s6
.LBB83_59:
	s_delay_alu instid0(SALU_CYCLE_1) | instskip(SKIP_3) | instid1(VALU_DEP_1)
	s_or_b32 exec_lo, exec_lo, s1
	v_and_b32_e32 v54, 7, v107
	s_mov_b32 s2, 0
	s_mov_b32 s1, exec_lo
	v_cmpx_ne_u32_e32 0, v54
	s_cbranch_execz .LBB83_63
; %bb.60:
	v_lshl_add_u32 v55, v106, 2, 0x50
	v_mov_b32_e32 v107, 0
.LBB83_61:                              ; =>This Inner Loop Header: Depth=1
	v_cmp_eq_u32_e32 vcc_lo, 1, v106
	ds_load_b32 v57, v55
	v_dual_add_nc_u32 v54, -1, v54 :: v_dual_add_nc_u32 v55, 4, v55
	v_cndmask_b32_e32 v56, v34, v35, vcc_lo
	v_cmp_eq_u32_e32 vcc_lo, 2, v106
	s_delay_alu instid0(VALU_DEP_2) | instskip(SKIP_1) | instid1(VALU_DEP_2)
	v_cndmask_b32_e32 v56, v56, v36, vcc_lo
	v_cmp_eq_u32_e32 vcc_lo, 3, v106
	v_cndmask_b32_e32 v56, v56, v37, vcc_lo
	v_cmp_eq_u32_e32 vcc_lo, 4, v106
	s_delay_alu instid0(VALU_DEP_2) | instskip(SKIP_1) | instid1(VALU_DEP_2)
	v_cndmask_b32_e32 v56, v56, v38, vcc_lo
	v_cmp_eq_u32_e32 vcc_lo, 5, v106
	;; [unrolled: 5-line block ×8, first 2 shown]
	v_cndmask_b32_e32 v56, v56, v51, vcc_lo
	v_cmp_eq_u32_e32 vcc_lo, 18, v106
	s_delay_alu instid0(VALU_DEP_2) | instskip(SKIP_2) | instid1(VALU_DEP_3)
	v_cndmask_b32_e32 v56, v56, v52, vcc_lo
	v_cmp_eq_u32_e32 vcc_lo, 19, v106
	v_add_nc_u64_e32 v[106:107], 1, v[106:107]
	v_cndmask_b32_e32 v56, v56, v53, vcc_lo
	v_cmp_eq_u32_e32 vcc_lo, 0, v54
	s_wait_dscnt 0x0
	s_delay_alu instid0(VALU_DEP_2) | instskip(SKIP_1) | instid1(SALU_CYCLE_1)
	v_fmac_f32_e32 v110, v56, v57
	s_or_b32 s2, vcc_lo, s2
	s_and_not1_b32 exec_lo, exec_lo, s2
	s_cbranch_execnz .LBB83_61
; %bb.62:
	s_or_b32 exec_lo, exec_lo, s2
.LBB83_63:
	s_delay_alu instid0(SALU_CYCLE_1)
	s_or_b32 exec_lo, exec_lo, s1
.LBB83_64:
	s_delay_alu instid0(SALU_CYCLE_1)
	s_or_b32 exec_lo, exec_lo, s5
	v_mov_b32_e32 v48, 0
	ds_load_b32 v48, v48 offset:56
	s_wait_dscnt 0x0
	v_mul_f32_e32 v48, v110, v48
.LBB83_65:
	s_or_b32 exec_lo, exec_lo, s4
	v_cmp_lt_u32_e64 s1, 13, v0
	ds_store_b32 v109, v47
	s_wait_dscnt 0x0
	s_barrier_signal -1
	s_barrier_wait -1
	s_and_saveexec_b32 s4, s1
	s_cbranch_execz .LBB83_81
; %bb.66:
	s_and_not1_b32 vcc_lo, exec_lo, s24
	s_cbranch_vccnz .LBB83_68
; %bb.67:
	v_cmp_eq_u32_e32 vcc_lo, 1, v0
	ds_load_b32 v107, v109
	v_cndmask_b32_e32 v106, v34, v35, vcc_lo
	v_cmp_eq_u32_e32 vcc_lo, 2, v0
	s_delay_alu instid0(VALU_DEP_2) | instskip(SKIP_1) | instid1(VALU_DEP_2)
	v_cndmask_b32_e32 v106, v106, v36, vcc_lo
	v_cmp_eq_u32_e32 vcc_lo, 3, v0
	v_cndmask_b32_e32 v106, v106, v37, vcc_lo
	v_cmp_eq_u32_e32 vcc_lo, 4, v0
	s_delay_alu instid0(VALU_DEP_2) | instskip(SKIP_1) | instid1(VALU_DEP_2)
	v_cndmask_b32_e32 v106, v106, v38, vcc_lo
	v_cmp_eq_u32_e32 vcc_lo, 5, v0
	;; [unrolled: 5-line block ×9, first 2 shown]
	v_cndmask_b32_e32 v106, v106, v53, vcc_lo
	s_wait_dscnt 0x0
	s_delay_alu instid0(VALU_DEP_1)
	v_mul_f32_e32 v110, v106, v107
	s_cbranch_execz .LBB83_69
	s_branch .LBB83_70
.LBB83_68:
                                        ; implicit-def: $vgpr110
.LBB83_69:
	ds_load_b32 v110, v109
.LBB83_70:
	s_and_saveexec_b32 s5, s0
	s_cbranch_execz .LBB83_80
; %bb.71:
	v_dual_add_nc_u32 v106, -15, v0 :: v_dual_add_nc_u32 v107, -14, v0
	s_delay_alu instid0(VALU_DEP_1)
	v_cmp_lt_u32_e32 vcc_lo, 6, v106
	v_mov_b32_e32 v106, 14
	s_and_saveexec_b32 s0, vcc_lo
	s_cbranch_execz .LBB83_75
; %bb.72:
	v_and_b32_e32 v106, -8, v107
	s_mov_b32 s6, 0
	s_mov_b64 s[2:3], 21
	s_movk_i32 s7, 0x88
	s_delay_alu instid0(VALU_DEP_1)
	v_sub_nc_u32_e32 v108, 0, v106
.LBB83_73:                              ; =>This Inner Loop Header: Depth=1
	s_add_co_i32 m0, s2, -7
	v_movrels_b32_e32 v111, v34
	v_mov_b32_e32 v106, s7
	s_add_co_i32 m0, s2, -6
	s_add_co_i32 s7, s7, 32
	v_movrels_b32_e32 v120, v34
	s_add_co_i32 m0, s2, -5
	ds_load_2addr_b64 v[112:115], v106 offset1:1
	ds_load_2addr_b64 v[116:119], v106 offset0:2 offset1:3
	v_movrels_b32_e32 v106, v34
	s_add_co_i32 m0, s2, -4
	s_wait_dscnt 0x1
	v_fmac_f32_e32 v110, v111, v112
	v_movrels_b32_e32 v111, v34
	s_add_co_i32 m0, s2, -3
	s_delay_alu instid0(VALU_DEP_2) | instskip(NEXT) | instid1(VALU_DEP_1)
	v_fmac_f32_e32 v110, v120, v113
	v_fmac_f32_e32 v110, v106, v114
	v_movrels_b32_e32 v106, v34
	s_add_co_i32 m0, s2, -2
	s_delay_alu instid0(VALU_DEP_2) | instskip(SKIP_3) | instid1(VALU_DEP_2)
	v_fmac_f32_e32 v110, v111, v115
	v_movrels_b32_e32 v111, v34
	s_add_co_i32 m0, s2, -1
	s_wait_dscnt 0x0
	v_fmac_f32_e32 v110, v106, v116
	v_movrels_b32_e32 v106, v34
	s_mov_b32 m0, s2
	s_add_nc_u64 s[2:3], s[2:3], 8
	v_movrels_b32_e32 v112, v34
	v_dual_fmac_f32 v110, v111, v117 :: v_dual_add_nc_u32 v111, s2, v108
	s_add_co_i32 s8, s2, -7
	s_delay_alu instid0(VALU_DEP_1) | instskip(NEXT) | instid1(VALU_DEP_2)
	v_fmac_f32_e32 v110, v106, v118
	v_cmp_eq_u32_e32 vcc_lo, 21, v111
	s_delay_alu instid0(VALU_DEP_2) | instskip(SKIP_1) | instid1(SALU_CYCLE_1)
	v_dual_mov_b32 v106, s8 :: v_dual_fmac_f32 v110, v112, v119
	s_or_b32 s6, vcc_lo, s6
	s_and_not1_b32 exec_lo, exec_lo, s6
	s_cbranch_execnz .LBB83_73
; %bb.74:
	s_or_b32 exec_lo, exec_lo, s6
.LBB83_75:
	s_delay_alu instid0(SALU_CYCLE_1) | instskip(SKIP_3) | instid1(VALU_DEP_1)
	s_or_b32 exec_lo, exec_lo, s0
	v_and_b32_e32 v54, 7, v107
	s_mov_b32 s2, 0
	s_mov_b32 s0, exec_lo
	v_cmpx_ne_u32_e32 0, v54
	s_cbranch_execz .LBB83_79
; %bb.76:
	v_lshl_add_u32 v55, v106, 2, 0x50
	v_mov_b32_e32 v107, 0
.LBB83_77:                              ; =>This Inner Loop Header: Depth=1
	v_cmp_eq_u32_e32 vcc_lo, 1, v106
	ds_load_b32 v57, v55
	v_dual_add_nc_u32 v54, -1, v54 :: v_dual_add_nc_u32 v55, 4, v55
	v_cndmask_b32_e32 v56, v34, v35, vcc_lo
	v_cmp_eq_u32_e32 vcc_lo, 2, v106
	s_delay_alu instid0(VALU_DEP_2) | instskip(SKIP_1) | instid1(VALU_DEP_2)
	v_cndmask_b32_e32 v56, v56, v36, vcc_lo
	v_cmp_eq_u32_e32 vcc_lo, 3, v106
	v_cndmask_b32_e32 v56, v56, v37, vcc_lo
	v_cmp_eq_u32_e32 vcc_lo, 4, v106
	s_delay_alu instid0(VALU_DEP_2) | instskip(SKIP_1) | instid1(VALU_DEP_2)
	v_cndmask_b32_e32 v56, v56, v38, vcc_lo
	v_cmp_eq_u32_e32 vcc_lo, 5, v106
	;; [unrolled: 5-line block ×8, first 2 shown]
	v_cndmask_b32_e32 v56, v56, v51, vcc_lo
	v_cmp_eq_u32_e32 vcc_lo, 18, v106
	s_delay_alu instid0(VALU_DEP_2) | instskip(SKIP_2) | instid1(VALU_DEP_3)
	v_cndmask_b32_e32 v56, v56, v52, vcc_lo
	v_cmp_eq_u32_e32 vcc_lo, 19, v106
	v_add_nc_u64_e32 v[106:107], 1, v[106:107]
	v_cndmask_b32_e32 v56, v56, v53, vcc_lo
	v_cmp_eq_u32_e32 vcc_lo, 0, v54
	s_wait_dscnt 0x0
	s_delay_alu instid0(VALU_DEP_2) | instskip(SKIP_1) | instid1(SALU_CYCLE_1)
	v_fmac_f32_e32 v110, v56, v57
	s_or_b32 s2, vcc_lo, s2
	s_and_not1_b32 exec_lo, exec_lo, s2
	s_cbranch_execnz .LBB83_77
; %bb.78:
	s_or_b32 exec_lo, exec_lo, s2
.LBB83_79:
	s_delay_alu instid0(SALU_CYCLE_1)
	s_or_b32 exec_lo, exec_lo, s0
.LBB83_80:
	s_delay_alu instid0(SALU_CYCLE_1)
	s_or_b32 exec_lo, exec_lo, s5
	v_mov_b32_e32 v47, 0
	ds_load_b32 v47, v47 offset:52
	s_wait_dscnt 0x0
	v_mul_f32_e32 v47, v110, v47
.LBB83_81:
	s_or_b32 exec_lo, exec_lo, s4
	v_cmp_lt_u32_e64 s0, 12, v0
	ds_store_b32 v109, v46
	s_wait_dscnt 0x0
	s_barrier_signal -1
	s_barrier_wait -1
	s_and_saveexec_b32 s4, s0
	s_cbranch_execz .LBB83_97
; %bb.82:
	s_and_not1_b32 vcc_lo, exec_lo, s24
	s_cbranch_vccnz .LBB83_84
; %bb.83:
	v_cmp_eq_u32_e32 vcc_lo, 1, v0
	ds_load_b32 v107, v109
	v_cndmask_b32_e32 v106, v34, v35, vcc_lo
	v_cmp_eq_u32_e32 vcc_lo, 2, v0
	s_delay_alu instid0(VALU_DEP_2) | instskip(SKIP_1) | instid1(VALU_DEP_2)
	v_cndmask_b32_e32 v106, v106, v36, vcc_lo
	v_cmp_eq_u32_e32 vcc_lo, 3, v0
	v_cndmask_b32_e32 v106, v106, v37, vcc_lo
	v_cmp_eq_u32_e32 vcc_lo, 4, v0
	s_delay_alu instid0(VALU_DEP_2) | instskip(SKIP_1) | instid1(VALU_DEP_2)
	v_cndmask_b32_e32 v106, v106, v38, vcc_lo
	v_cmp_eq_u32_e32 vcc_lo, 5, v0
	;; [unrolled: 5-line block ×9, first 2 shown]
	v_cndmask_b32_e32 v106, v106, v53, vcc_lo
	s_wait_dscnt 0x0
	s_delay_alu instid0(VALU_DEP_1)
	v_mul_f32_e32 v110, v106, v107
	s_cbranch_execz .LBB83_85
	s_branch .LBB83_86
.LBB83_84:
                                        ; implicit-def: $vgpr110
.LBB83_85:
	ds_load_b32 v110, v109
.LBB83_86:
	s_and_saveexec_b32 s5, s1
	s_cbranch_execz .LBB83_96
; %bb.87:
	v_dual_add_nc_u32 v106, -14, v0 :: v_dual_add_nc_u32 v107, -13, v0
	s_delay_alu instid0(VALU_DEP_1)
	v_cmp_lt_u32_e32 vcc_lo, 6, v106
	v_mov_b32_e32 v106, 13
	s_and_saveexec_b32 s1, vcc_lo
	s_cbranch_execz .LBB83_91
; %bb.88:
	v_and_b32_e32 v106, -8, v107
	s_mov_b32 s6, 0
	s_mov_b64 s[2:3], 20
	s_movk_i32 s7, 0x84
	s_delay_alu instid0(VALU_DEP_1)
	v_sub_nc_u32_e32 v108, 0, v106
.LBB83_89:                              ; =>This Inner Loop Header: Depth=1
	s_add_co_i32 m0, s2, -7
	v_movrels_b32_e32 v111, v34
	v_mov_b32_e32 v106, s7
	s_add_co_i32 m0, s2, -6
	s_add_co_i32 s7, s7, 32
	v_movrels_b32_e32 v120, v34
	ds_load_2addr_b32 v[112:113], v106 offset1:1
	ds_load_2addr_b32 v[114:115], v106 offset0:2 offset1:3
	s_add_co_i32 m0, s2, -5
	s_wait_dscnt 0x1
	v_fmac_f32_e32 v110, v111, v112
	ds_load_2addr_b32 v[116:117], v106 offset0:4 offset1:5
	ds_load_2addr_b32 v[118:119], v106 offset0:6 offset1:7
	v_movrels_b32_e32 v106, v34
	s_add_co_i32 m0, s2, -4
	v_fmac_f32_e32 v110, v120, v113
	v_movrels_b32_e32 v111, v34
	s_add_co_i32 m0, s2, -3
	s_wait_dscnt 0x2
	s_delay_alu instid0(VALU_DEP_2) | instskip(SKIP_2) | instid1(VALU_DEP_2)
	v_fmac_f32_e32 v110, v106, v114
	v_movrels_b32_e32 v106, v34
	s_add_co_i32 m0, s2, -2
	v_fmac_f32_e32 v110, v111, v115
	v_movrels_b32_e32 v111, v34
	s_add_co_i32 m0, s2, -1
	s_wait_dscnt 0x1
	s_delay_alu instid0(VALU_DEP_2)
	v_fmac_f32_e32 v110, v106, v116
	v_movrels_b32_e32 v106, v34
	s_mov_b32 m0, s2
	s_add_nc_u64 s[2:3], s[2:3], 8
	v_movrels_b32_e32 v112, v34
	v_dual_fmac_f32 v110, v111, v117 :: v_dual_add_nc_u32 v111, s2, v108
	s_add_co_i32 s8, s2, -7
	s_wait_dscnt 0x0
	s_delay_alu instid0(VALU_DEP_1) | instskip(NEXT) | instid1(VALU_DEP_2)
	v_fmac_f32_e32 v110, v106, v118
	v_cmp_eq_u32_e32 vcc_lo, 20, v111
	s_delay_alu instid0(VALU_DEP_2) | instskip(SKIP_1) | instid1(SALU_CYCLE_1)
	v_dual_mov_b32 v106, s8 :: v_dual_fmac_f32 v110, v112, v119
	s_or_b32 s6, vcc_lo, s6
	s_and_not1_b32 exec_lo, exec_lo, s6
	s_cbranch_execnz .LBB83_89
; %bb.90:
	s_or_b32 exec_lo, exec_lo, s6
.LBB83_91:
	s_delay_alu instid0(SALU_CYCLE_1) | instskip(SKIP_3) | instid1(VALU_DEP_1)
	s_or_b32 exec_lo, exec_lo, s1
	v_and_b32_e32 v54, 7, v107
	s_mov_b32 s2, 0
	s_mov_b32 s1, exec_lo
	v_cmpx_ne_u32_e32 0, v54
	s_cbranch_execz .LBB83_95
; %bb.92:
	v_lshl_add_u32 v55, v106, 2, 0x50
	v_mov_b32_e32 v107, 0
.LBB83_93:                              ; =>This Inner Loop Header: Depth=1
	v_cmp_eq_u32_e32 vcc_lo, 1, v106
	ds_load_b32 v57, v55
	v_dual_add_nc_u32 v54, -1, v54 :: v_dual_add_nc_u32 v55, 4, v55
	v_cndmask_b32_e32 v56, v34, v35, vcc_lo
	v_cmp_eq_u32_e32 vcc_lo, 2, v106
	s_delay_alu instid0(VALU_DEP_2) | instskip(SKIP_1) | instid1(VALU_DEP_2)
	v_cndmask_b32_e32 v56, v56, v36, vcc_lo
	v_cmp_eq_u32_e32 vcc_lo, 3, v106
	v_cndmask_b32_e32 v56, v56, v37, vcc_lo
	v_cmp_eq_u32_e32 vcc_lo, 4, v106
	s_delay_alu instid0(VALU_DEP_2) | instskip(SKIP_1) | instid1(VALU_DEP_2)
	v_cndmask_b32_e32 v56, v56, v38, vcc_lo
	v_cmp_eq_u32_e32 vcc_lo, 5, v106
	;; [unrolled: 5-line block ×8, first 2 shown]
	v_cndmask_b32_e32 v56, v56, v51, vcc_lo
	v_cmp_eq_u32_e32 vcc_lo, 18, v106
	s_delay_alu instid0(VALU_DEP_2) | instskip(SKIP_2) | instid1(VALU_DEP_3)
	v_cndmask_b32_e32 v56, v56, v52, vcc_lo
	v_cmp_eq_u32_e32 vcc_lo, 19, v106
	v_add_nc_u64_e32 v[106:107], 1, v[106:107]
	v_cndmask_b32_e32 v56, v56, v53, vcc_lo
	v_cmp_eq_u32_e32 vcc_lo, 0, v54
	s_wait_dscnt 0x0
	s_delay_alu instid0(VALU_DEP_2) | instskip(SKIP_1) | instid1(SALU_CYCLE_1)
	v_fmac_f32_e32 v110, v56, v57
	s_or_b32 s2, vcc_lo, s2
	s_and_not1_b32 exec_lo, exec_lo, s2
	s_cbranch_execnz .LBB83_93
; %bb.94:
	s_or_b32 exec_lo, exec_lo, s2
.LBB83_95:
	s_delay_alu instid0(SALU_CYCLE_1)
	s_or_b32 exec_lo, exec_lo, s1
.LBB83_96:
	s_delay_alu instid0(SALU_CYCLE_1)
	s_or_b32 exec_lo, exec_lo, s5
	v_mov_b32_e32 v46, 0
	ds_load_b32 v46, v46 offset:48
	s_wait_dscnt 0x0
	v_mul_f32_e32 v46, v110, v46
.LBB83_97:
	s_or_b32 exec_lo, exec_lo, s4
	v_cmp_lt_u32_e64 s1, 11, v0
	ds_store_b32 v109, v45
	s_wait_dscnt 0x0
	s_barrier_signal -1
	s_barrier_wait -1
	s_and_saveexec_b32 s4, s1
	s_cbranch_execz .LBB83_113
; %bb.98:
	s_and_not1_b32 vcc_lo, exec_lo, s24
	s_cbranch_vccnz .LBB83_100
; %bb.99:
	v_cmp_eq_u32_e32 vcc_lo, 1, v0
	ds_load_b32 v107, v109
	v_cndmask_b32_e32 v106, v34, v35, vcc_lo
	v_cmp_eq_u32_e32 vcc_lo, 2, v0
	s_delay_alu instid0(VALU_DEP_2) | instskip(SKIP_1) | instid1(VALU_DEP_2)
	v_cndmask_b32_e32 v106, v106, v36, vcc_lo
	v_cmp_eq_u32_e32 vcc_lo, 3, v0
	v_cndmask_b32_e32 v106, v106, v37, vcc_lo
	v_cmp_eq_u32_e32 vcc_lo, 4, v0
	s_delay_alu instid0(VALU_DEP_2) | instskip(SKIP_1) | instid1(VALU_DEP_2)
	v_cndmask_b32_e32 v106, v106, v38, vcc_lo
	v_cmp_eq_u32_e32 vcc_lo, 5, v0
	;; [unrolled: 5-line block ×9, first 2 shown]
	v_cndmask_b32_e32 v106, v106, v53, vcc_lo
	s_wait_dscnt 0x0
	s_delay_alu instid0(VALU_DEP_1)
	v_mul_f32_e32 v110, v106, v107
	s_cbranch_execz .LBB83_101
	s_branch .LBB83_102
.LBB83_100:
                                        ; implicit-def: $vgpr110
.LBB83_101:
	ds_load_b32 v110, v109
.LBB83_102:
	s_and_saveexec_b32 s5, s0
	s_cbranch_execz .LBB83_112
; %bb.103:
	v_dual_add_nc_u32 v106, -13, v0 :: v_dual_add_nc_u32 v107, -12, v0
	s_delay_alu instid0(VALU_DEP_1)
	v_cmp_lt_u32_e32 vcc_lo, 6, v106
	v_mov_b32_e32 v106, 12
	s_and_saveexec_b32 s0, vcc_lo
	s_cbranch_execz .LBB83_107
; %bb.104:
	v_and_b32_e32 v106, -8, v107
	s_mov_b32 s6, 0
	s_mov_b64 s[2:3], 19
	s_movk_i32 s7, 0x80
	s_delay_alu instid0(VALU_DEP_1)
	v_sub_nc_u32_e32 v108, 0, v106
.LBB83_105:                             ; =>This Inner Loop Header: Depth=1
	s_add_co_i32 m0, s2, -7
	v_movrels_b32_e32 v111, v34
	v_mov_b32_e32 v106, s7
	s_add_co_i32 m0, s2, -6
	s_add_co_i32 s7, s7, 32
	v_movrels_b32_e32 v120, v34
	s_add_co_i32 m0, s2, -5
	ds_load_b128 v[112:115], v106
	ds_load_b128 v[116:119], v106 offset:16
	v_movrels_b32_e32 v106, v34
	s_add_co_i32 m0, s2, -4
	s_wait_dscnt 0x1
	v_fmac_f32_e32 v110, v111, v112
	v_movrels_b32_e32 v111, v34
	s_add_co_i32 m0, s2, -3
	s_delay_alu instid0(VALU_DEP_2) | instskip(NEXT) | instid1(VALU_DEP_1)
	v_fmac_f32_e32 v110, v120, v113
	v_fmac_f32_e32 v110, v106, v114
	v_movrels_b32_e32 v106, v34
	s_add_co_i32 m0, s2, -2
	s_delay_alu instid0(VALU_DEP_2) | instskip(SKIP_3) | instid1(VALU_DEP_2)
	v_fmac_f32_e32 v110, v111, v115
	v_movrels_b32_e32 v111, v34
	s_add_co_i32 m0, s2, -1
	s_wait_dscnt 0x0
	v_fmac_f32_e32 v110, v106, v116
	v_movrels_b32_e32 v106, v34
	s_mov_b32 m0, s2
	s_add_nc_u64 s[2:3], s[2:3], 8
	v_movrels_b32_e32 v112, v34
	v_dual_fmac_f32 v110, v111, v117 :: v_dual_add_nc_u32 v111, s2, v108
	s_add_co_i32 s8, s2, -7
	s_delay_alu instid0(VALU_DEP_1) | instskip(NEXT) | instid1(VALU_DEP_2)
	v_fmac_f32_e32 v110, v106, v118
	v_cmp_eq_u32_e32 vcc_lo, 19, v111
	s_delay_alu instid0(VALU_DEP_2) | instskip(SKIP_1) | instid1(SALU_CYCLE_1)
	v_dual_mov_b32 v106, s8 :: v_dual_fmac_f32 v110, v112, v119
	s_or_b32 s6, vcc_lo, s6
	s_and_not1_b32 exec_lo, exec_lo, s6
	s_cbranch_execnz .LBB83_105
; %bb.106:
	s_or_b32 exec_lo, exec_lo, s6
.LBB83_107:
	s_delay_alu instid0(SALU_CYCLE_1) | instskip(SKIP_3) | instid1(VALU_DEP_1)
	s_or_b32 exec_lo, exec_lo, s0
	v_and_b32_e32 v54, 7, v107
	s_mov_b32 s2, 0
	s_mov_b32 s0, exec_lo
	v_cmpx_ne_u32_e32 0, v54
	s_cbranch_execz .LBB83_111
; %bb.108:
	v_lshl_add_u32 v55, v106, 2, 0x50
	v_mov_b32_e32 v107, 0
.LBB83_109:                             ; =>This Inner Loop Header: Depth=1
	v_cmp_eq_u32_e32 vcc_lo, 1, v106
	ds_load_b32 v57, v55
	v_dual_add_nc_u32 v54, -1, v54 :: v_dual_add_nc_u32 v55, 4, v55
	v_cndmask_b32_e32 v56, v34, v35, vcc_lo
	v_cmp_eq_u32_e32 vcc_lo, 2, v106
	s_delay_alu instid0(VALU_DEP_2) | instskip(SKIP_1) | instid1(VALU_DEP_2)
	v_cndmask_b32_e32 v56, v56, v36, vcc_lo
	v_cmp_eq_u32_e32 vcc_lo, 3, v106
	v_cndmask_b32_e32 v56, v56, v37, vcc_lo
	v_cmp_eq_u32_e32 vcc_lo, 4, v106
	s_delay_alu instid0(VALU_DEP_2) | instskip(SKIP_1) | instid1(VALU_DEP_2)
	v_cndmask_b32_e32 v56, v56, v38, vcc_lo
	v_cmp_eq_u32_e32 vcc_lo, 5, v106
	;; [unrolled: 5-line block ×8, first 2 shown]
	v_cndmask_b32_e32 v56, v56, v51, vcc_lo
	v_cmp_eq_u32_e32 vcc_lo, 18, v106
	s_delay_alu instid0(VALU_DEP_2) | instskip(SKIP_2) | instid1(VALU_DEP_3)
	v_cndmask_b32_e32 v56, v56, v52, vcc_lo
	v_cmp_eq_u32_e32 vcc_lo, 19, v106
	v_add_nc_u64_e32 v[106:107], 1, v[106:107]
	v_cndmask_b32_e32 v56, v56, v53, vcc_lo
	v_cmp_eq_u32_e32 vcc_lo, 0, v54
	s_wait_dscnt 0x0
	s_delay_alu instid0(VALU_DEP_2) | instskip(SKIP_1) | instid1(SALU_CYCLE_1)
	v_fmac_f32_e32 v110, v56, v57
	s_or_b32 s2, vcc_lo, s2
	s_and_not1_b32 exec_lo, exec_lo, s2
	s_cbranch_execnz .LBB83_109
; %bb.110:
	s_or_b32 exec_lo, exec_lo, s2
.LBB83_111:
	s_delay_alu instid0(SALU_CYCLE_1)
	s_or_b32 exec_lo, exec_lo, s0
.LBB83_112:
	s_delay_alu instid0(SALU_CYCLE_1)
	s_or_b32 exec_lo, exec_lo, s5
	v_mov_b32_e32 v45, 0
	ds_load_b32 v45, v45 offset:44
	s_wait_dscnt 0x0
	v_mul_f32_e32 v45, v110, v45
.LBB83_113:
	s_or_b32 exec_lo, exec_lo, s4
	v_cmp_lt_u32_e64 s0, 10, v0
	ds_store_b32 v109, v44
	s_wait_dscnt 0x0
	s_barrier_signal -1
	s_barrier_wait -1
	s_and_saveexec_b32 s4, s0
	s_cbranch_execz .LBB83_129
; %bb.114:
	s_and_not1_b32 vcc_lo, exec_lo, s24
	s_cbranch_vccnz .LBB83_116
; %bb.115:
	v_cmp_eq_u32_e32 vcc_lo, 1, v0
	ds_load_b32 v107, v109
	v_cndmask_b32_e32 v106, v34, v35, vcc_lo
	v_cmp_eq_u32_e32 vcc_lo, 2, v0
	s_delay_alu instid0(VALU_DEP_2) | instskip(SKIP_1) | instid1(VALU_DEP_2)
	v_cndmask_b32_e32 v106, v106, v36, vcc_lo
	v_cmp_eq_u32_e32 vcc_lo, 3, v0
	v_cndmask_b32_e32 v106, v106, v37, vcc_lo
	v_cmp_eq_u32_e32 vcc_lo, 4, v0
	s_delay_alu instid0(VALU_DEP_2) | instskip(SKIP_1) | instid1(VALU_DEP_2)
	v_cndmask_b32_e32 v106, v106, v38, vcc_lo
	v_cmp_eq_u32_e32 vcc_lo, 5, v0
	;; [unrolled: 5-line block ×9, first 2 shown]
	v_cndmask_b32_e32 v106, v106, v53, vcc_lo
	s_wait_dscnt 0x0
	s_delay_alu instid0(VALU_DEP_1)
	v_mul_f32_e32 v110, v106, v107
	s_cbranch_execz .LBB83_117
	s_branch .LBB83_118
.LBB83_116:
                                        ; implicit-def: $vgpr110
.LBB83_117:
	ds_load_b32 v110, v109
.LBB83_118:
	s_and_saveexec_b32 s5, s1
	s_cbranch_execz .LBB83_128
; %bb.119:
	v_dual_add_nc_u32 v106, -12, v0 :: v_dual_add_nc_u32 v107, -11, v0
	s_delay_alu instid0(VALU_DEP_1)
	v_cmp_lt_u32_e32 vcc_lo, 6, v106
	v_mov_b32_e32 v106, 11
	s_and_saveexec_b32 s1, vcc_lo
	s_cbranch_execz .LBB83_123
; %bb.120:
	v_and_b32_e32 v106, -8, v107
	s_mov_b32 s6, 0
	s_mov_b64 s[2:3], 18
	s_movk_i32 s7, 0x7c
	s_delay_alu instid0(VALU_DEP_1)
	v_sub_nc_u32_e32 v108, 0, v106
.LBB83_121:                             ; =>This Inner Loop Header: Depth=1
	s_add_co_i32 m0, s2, -7
	v_movrels_b32_e32 v111, v34
	v_mov_b32_e32 v106, s7
	s_add_co_i32 m0, s2, -6
	s_add_co_i32 s7, s7, 32
	v_movrels_b32_e32 v120, v34
	ds_load_2addr_b32 v[112:113], v106 offset1:1
	ds_load_2addr_b32 v[114:115], v106 offset0:2 offset1:3
	s_add_co_i32 m0, s2, -5
	s_wait_dscnt 0x1
	v_fmac_f32_e32 v110, v111, v112
	ds_load_2addr_b32 v[116:117], v106 offset0:4 offset1:5
	ds_load_2addr_b32 v[118:119], v106 offset0:6 offset1:7
	v_movrels_b32_e32 v106, v34
	s_add_co_i32 m0, s2, -4
	v_fmac_f32_e32 v110, v120, v113
	v_movrels_b32_e32 v111, v34
	s_add_co_i32 m0, s2, -3
	s_wait_dscnt 0x2
	s_delay_alu instid0(VALU_DEP_2) | instskip(SKIP_2) | instid1(VALU_DEP_2)
	v_fmac_f32_e32 v110, v106, v114
	v_movrels_b32_e32 v106, v34
	s_add_co_i32 m0, s2, -2
	v_fmac_f32_e32 v110, v111, v115
	v_movrels_b32_e32 v111, v34
	s_add_co_i32 m0, s2, -1
	s_wait_dscnt 0x1
	s_delay_alu instid0(VALU_DEP_2)
	v_fmac_f32_e32 v110, v106, v116
	v_movrels_b32_e32 v106, v34
	s_mov_b32 m0, s2
	s_add_nc_u64 s[2:3], s[2:3], 8
	v_movrels_b32_e32 v112, v34
	v_dual_fmac_f32 v110, v111, v117 :: v_dual_add_nc_u32 v111, s2, v108
	s_add_co_i32 s8, s2, -7
	s_wait_dscnt 0x0
	s_delay_alu instid0(VALU_DEP_1) | instskip(NEXT) | instid1(VALU_DEP_2)
	v_fmac_f32_e32 v110, v106, v118
	v_cmp_eq_u32_e32 vcc_lo, 18, v111
	s_delay_alu instid0(VALU_DEP_2) | instskip(SKIP_1) | instid1(SALU_CYCLE_1)
	v_dual_mov_b32 v106, s8 :: v_dual_fmac_f32 v110, v112, v119
	s_or_b32 s6, vcc_lo, s6
	s_and_not1_b32 exec_lo, exec_lo, s6
	s_cbranch_execnz .LBB83_121
; %bb.122:
	s_or_b32 exec_lo, exec_lo, s6
.LBB83_123:
	s_delay_alu instid0(SALU_CYCLE_1) | instskip(SKIP_3) | instid1(VALU_DEP_1)
	s_or_b32 exec_lo, exec_lo, s1
	v_and_b32_e32 v54, 7, v107
	s_mov_b32 s2, 0
	s_mov_b32 s1, exec_lo
	v_cmpx_ne_u32_e32 0, v54
	s_cbranch_execz .LBB83_127
; %bb.124:
	v_lshl_add_u32 v55, v106, 2, 0x50
	v_mov_b32_e32 v107, 0
.LBB83_125:                             ; =>This Inner Loop Header: Depth=1
	v_cmp_eq_u32_e32 vcc_lo, 1, v106
	ds_load_b32 v57, v55
	v_dual_add_nc_u32 v54, -1, v54 :: v_dual_add_nc_u32 v55, 4, v55
	v_cndmask_b32_e32 v56, v34, v35, vcc_lo
	v_cmp_eq_u32_e32 vcc_lo, 2, v106
	s_delay_alu instid0(VALU_DEP_2) | instskip(SKIP_1) | instid1(VALU_DEP_2)
	v_cndmask_b32_e32 v56, v56, v36, vcc_lo
	v_cmp_eq_u32_e32 vcc_lo, 3, v106
	v_cndmask_b32_e32 v56, v56, v37, vcc_lo
	v_cmp_eq_u32_e32 vcc_lo, 4, v106
	s_delay_alu instid0(VALU_DEP_2) | instskip(SKIP_1) | instid1(VALU_DEP_2)
	v_cndmask_b32_e32 v56, v56, v38, vcc_lo
	v_cmp_eq_u32_e32 vcc_lo, 5, v106
	;; [unrolled: 5-line block ×8, first 2 shown]
	v_cndmask_b32_e32 v56, v56, v51, vcc_lo
	v_cmp_eq_u32_e32 vcc_lo, 18, v106
	s_delay_alu instid0(VALU_DEP_2) | instskip(SKIP_2) | instid1(VALU_DEP_3)
	v_cndmask_b32_e32 v56, v56, v52, vcc_lo
	v_cmp_eq_u32_e32 vcc_lo, 19, v106
	v_add_nc_u64_e32 v[106:107], 1, v[106:107]
	v_cndmask_b32_e32 v56, v56, v53, vcc_lo
	v_cmp_eq_u32_e32 vcc_lo, 0, v54
	s_wait_dscnt 0x0
	s_delay_alu instid0(VALU_DEP_2) | instskip(SKIP_1) | instid1(SALU_CYCLE_1)
	v_fmac_f32_e32 v110, v56, v57
	s_or_b32 s2, vcc_lo, s2
	s_and_not1_b32 exec_lo, exec_lo, s2
	s_cbranch_execnz .LBB83_125
; %bb.126:
	s_or_b32 exec_lo, exec_lo, s2
.LBB83_127:
	s_delay_alu instid0(SALU_CYCLE_1)
	s_or_b32 exec_lo, exec_lo, s1
.LBB83_128:
	s_delay_alu instid0(SALU_CYCLE_1)
	s_or_b32 exec_lo, exec_lo, s5
	v_mov_b32_e32 v44, 0
	ds_load_b32 v44, v44 offset:40
	s_wait_dscnt 0x0
	v_mul_f32_e32 v44, v110, v44
.LBB83_129:
	s_or_b32 exec_lo, exec_lo, s4
	v_cmp_lt_u32_e64 s1, 9, v0
	ds_store_b32 v109, v43
	s_wait_dscnt 0x0
	s_barrier_signal -1
	s_barrier_wait -1
	s_and_saveexec_b32 s4, s1
	s_cbranch_execz .LBB83_145
; %bb.130:
	s_and_not1_b32 vcc_lo, exec_lo, s24
	s_cbranch_vccnz .LBB83_132
; %bb.131:
	v_cmp_eq_u32_e32 vcc_lo, 1, v0
	ds_load_b32 v107, v109
	v_cndmask_b32_e32 v106, v34, v35, vcc_lo
	v_cmp_eq_u32_e32 vcc_lo, 2, v0
	s_delay_alu instid0(VALU_DEP_2) | instskip(SKIP_1) | instid1(VALU_DEP_2)
	v_cndmask_b32_e32 v106, v106, v36, vcc_lo
	v_cmp_eq_u32_e32 vcc_lo, 3, v0
	v_cndmask_b32_e32 v106, v106, v37, vcc_lo
	v_cmp_eq_u32_e32 vcc_lo, 4, v0
	s_delay_alu instid0(VALU_DEP_2) | instskip(SKIP_1) | instid1(VALU_DEP_2)
	v_cndmask_b32_e32 v106, v106, v38, vcc_lo
	v_cmp_eq_u32_e32 vcc_lo, 5, v0
	;; [unrolled: 5-line block ×9, first 2 shown]
	v_cndmask_b32_e32 v106, v106, v53, vcc_lo
	s_wait_dscnt 0x0
	s_delay_alu instid0(VALU_DEP_1)
	v_mul_f32_e32 v110, v106, v107
	s_cbranch_execz .LBB83_133
	s_branch .LBB83_134
.LBB83_132:
                                        ; implicit-def: $vgpr110
.LBB83_133:
	ds_load_b32 v110, v109
.LBB83_134:
	s_and_saveexec_b32 s5, s0
	s_cbranch_execz .LBB83_144
; %bb.135:
	v_dual_add_nc_u32 v106, -11, v0 :: v_dual_add_nc_u32 v107, -10, v0
	s_delay_alu instid0(VALU_DEP_1)
	v_cmp_lt_u32_e32 vcc_lo, 6, v106
	v_mov_b32_e32 v106, 10
	s_and_saveexec_b32 s0, vcc_lo
	s_cbranch_execz .LBB83_139
; %bb.136:
	v_and_b32_e32 v106, -8, v107
	s_mov_b32 s6, 0
	s_mov_b64 s[2:3], 17
	s_movk_i32 s7, 0x78
	s_delay_alu instid0(VALU_DEP_1)
	v_sub_nc_u32_e32 v108, 0, v106
.LBB83_137:                             ; =>This Inner Loop Header: Depth=1
	s_add_co_i32 m0, s2, -7
	v_movrels_b32_e32 v111, v34
	v_mov_b32_e32 v106, s7
	s_add_co_i32 m0, s2, -6
	s_add_co_i32 s7, s7, 32
	v_movrels_b32_e32 v120, v34
	s_add_co_i32 m0, s2, -5
	ds_load_2addr_b64 v[112:115], v106 offset1:1
	ds_load_2addr_b64 v[116:119], v106 offset0:2 offset1:3
	v_movrels_b32_e32 v106, v34
	s_add_co_i32 m0, s2, -4
	s_wait_dscnt 0x1
	v_fmac_f32_e32 v110, v111, v112
	v_movrels_b32_e32 v111, v34
	s_add_co_i32 m0, s2, -3
	s_delay_alu instid0(VALU_DEP_2) | instskip(NEXT) | instid1(VALU_DEP_1)
	v_fmac_f32_e32 v110, v120, v113
	v_fmac_f32_e32 v110, v106, v114
	v_movrels_b32_e32 v106, v34
	s_add_co_i32 m0, s2, -2
	s_delay_alu instid0(VALU_DEP_2) | instskip(SKIP_3) | instid1(VALU_DEP_2)
	v_fmac_f32_e32 v110, v111, v115
	v_movrels_b32_e32 v111, v34
	s_add_co_i32 m0, s2, -1
	s_wait_dscnt 0x0
	v_fmac_f32_e32 v110, v106, v116
	v_movrels_b32_e32 v106, v34
	s_mov_b32 m0, s2
	s_add_nc_u64 s[2:3], s[2:3], 8
	v_movrels_b32_e32 v112, v34
	v_dual_fmac_f32 v110, v111, v117 :: v_dual_add_nc_u32 v111, s2, v108
	s_add_co_i32 s8, s2, -7
	s_delay_alu instid0(VALU_DEP_1) | instskip(NEXT) | instid1(VALU_DEP_2)
	v_fmac_f32_e32 v110, v106, v118
	v_cmp_eq_u32_e32 vcc_lo, 17, v111
	s_delay_alu instid0(VALU_DEP_2) | instskip(SKIP_1) | instid1(SALU_CYCLE_1)
	v_dual_mov_b32 v106, s8 :: v_dual_fmac_f32 v110, v112, v119
	s_or_b32 s6, vcc_lo, s6
	s_and_not1_b32 exec_lo, exec_lo, s6
	s_cbranch_execnz .LBB83_137
; %bb.138:
	s_or_b32 exec_lo, exec_lo, s6
.LBB83_139:
	s_delay_alu instid0(SALU_CYCLE_1) | instskip(SKIP_3) | instid1(VALU_DEP_1)
	s_or_b32 exec_lo, exec_lo, s0
	v_and_b32_e32 v54, 7, v107
	s_mov_b32 s2, 0
	s_mov_b32 s0, exec_lo
	v_cmpx_ne_u32_e32 0, v54
	s_cbranch_execz .LBB83_143
; %bb.140:
	v_lshl_add_u32 v55, v106, 2, 0x50
	v_mov_b32_e32 v107, 0
.LBB83_141:                             ; =>This Inner Loop Header: Depth=1
	v_cmp_eq_u32_e32 vcc_lo, 1, v106
	ds_load_b32 v57, v55
	v_dual_add_nc_u32 v54, -1, v54 :: v_dual_add_nc_u32 v55, 4, v55
	v_cndmask_b32_e32 v56, v34, v35, vcc_lo
	v_cmp_eq_u32_e32 vcc_lo, 2, v106
	s_delay_alu instid0(VALU_DEP_2) | instskip(SKIP_1) | instid1(VALU_DEP_2)
	v_cndmask_b32_e32 v56, v56, v36, vcc_lo
	v_cmp_eq_u32_e32 vcc_lo, 3, v106
	v_cndmask_b32_e32 v56, v56, v37, vcc_lo
	v_cmp_eq_u32_e32 vcc_lo, 4, v106
	s_delay_alu instid0(VALU_DEP_2) | instskip(SKIP_1) | instid1(VALU_DEP_2)
	v_cndmask_b32_e32 v56, v56, v38, vcc_lo
	v_cmp_eq_u32_e32 vcc_lo, 5, v106
	;; [unrolled: 5-line block ×8, first 2 shown]
	v_cndmask_b32_e32 v56, v56, v51, vcc_lo
	v_cmp_eq_u32_e32 vcc_lo, 18, v106
	s_delay_alu instid0(VALU_DEP_2) | instskip(SKIP_2) | instid1(VALU_DEP_3)
	v_cndmask_b32_e32 v56, v56, v52, vcc_lo
	v_cmp_eq_u32_e32 vcc_lo, 19, v106
	v_add_nc_u64_e32 v[106:107], 1, v[106:107]
	v_cndmask_b32_e32 v56, v56, v53, vcc_lo
	v_cmp_eq_u32_e32 vcc_lo, 0, v54
	s_wait_dscnt 0x0
	s_delay_alu instid0(VALU_DEP_2) | instskip(SKIP_1) | instid1(SALU_CYCLE_1)
	v_fmac_f32_e32 v110, v56, v57
	s_or_b32 s2, vcc_lo, s2
	s_and_not1_b32 exec_lo, exec_lo, s2
	s_cbranch_execnz .LBB83_141
; %bb.142:
	s_or_b32 exec_lo, exec_lo, s2
.LBB83_143:
	s_delay_alu instid0(SALU_CYCLE_1)
	s_or_b32 exec_lo, exec_lo, s0
.LBB83_144:
	s_delay_alu instid0(SALU_CYCLE_1)
	s_or_b32 exec_lo, exec_lo, s5
	v_mov_b32_e32 v43, 0
	ds_load_b32 v43, v43 offset:36
	s_wait_dscnt 0x0
	v_mul_f32_e32 v43, v110, v43
.LBB83_145:
	s_or_b32 exec_lo, exec_lo, s4
	v_cmp_lt_u32_e64 s0, 8, v0
	ds_store_b32 v109, v42
	s_wait_dscnt 0x0
	s_barrier_signal -1
	s_barrier_wait -1
	s_and_saveexec_b32 s4, s0
	s_cbranch_execz .LBB83_161
; %bb.146:
	s_and_not1_b32 vcc_lo, exec_lo, s24
	s_cbranch_vccnz .LBB83_148
; %bb.147:
	v_cmp_eq_u32_e32 vcc_lo, 1, v0
	ds_load_b32 v107, v109
	v_cndmask_b32_e32 v106, v34, v35, vcc_lo
	v_cmp_eq_u32_e32 vcc_lo, 2, v0
	s_delay_alu instid0(VALU_DEP_2) | instskip(SKIP_1) | instid1(VALU_DEP_2)
	v_cndmask_b32_e32 v106, v106, v36, vcc_lo
	v_cmp_eq_u32_e32 vcc_lo, 3, v0
	v_cndmask_b32_e32 v106, v106, v37, vcc_lo
	v_cmp_eq_u32_e32 vcc_lo, 4, v0
	s_delay_alu instid0(VALU_DEP_2) | instskip(SKIP_1) | instid1(VALU_DEP_2)
	v_cndmask_b32_e32 v106, v106, v38, vcc_lo
	v_cmp_eq_u32_e32 vcc_lo, 5, v0
	v_cndmask_b32_e32 v106, v106, v39, vcc_lo
	v_cmp_eq_u32_e32 vcc_lo, 6, v0
	s_delay_alu instid0(VALU_DEP_2) | instskip(SKIP_1) | instid1(VALU_DEP_2)
	v_cndmask_b32_e32 v106, v106, v40, vcc_lo
	v_cmp_eq_u32_e32 vcc_lo, 7, v0
	v_cndmask_b32_e32 v106, v106, v41, vcc_lo
	v_cmp_eq_u32_e32 vcc_lo, 8, v0
	s_delay_alu instid0(VALU_DEP_2) | instskip(SKIP_1) | instid1(VALU_DEP_2)
	v_cndmask_b32_e32 v106, v106, v42, vcc_lo
	v_cmp_eq_u32_e32 vcc_lo, 9, v0
	v_cndmask_b32_e32 v106, v106, v43, vcc_lo
	v_cmp_eq_u32_e32 vcc_lo, 10, v0
	s_delay_alu instid0(VALU_DEP_2) | instskip(SKIP_1) | instid1(VALU_DEP_2)
	v_cndmask_b32_e32 v106, v106, v44, vcc_lo
	v_cmp_eq_u32_e32 vcc_lo, 11, v0
	v_cndmask_b32_e32 v106, v106, v45, vcc_lo
	v_cmp_eq_u32_e32 vcc_lo, 12, v0
	s_delay_alu instid0(VALU_DEP_2) | instskip(SKIP_1) | instid1(VALU_DEP_2)
	v_cndmask_b32_e32 v106, v106, v46, vcc_lo
	v_cmp_eq_u32_e32 vcc_lo, 13, v0
	v_cndmask_b32_e32 v106, v106, v47, vcc_lo
	v_cmp_eq_u32_e32 vcc_lo, 14, v0
	s_delay_alu instid0(VALU_DEP_2) | instskip(SKIP_1) | instid1(VALU_DEP_2)
	v_cndmask_b32_e32 v106, v106, v48, vcc_lo
	v_cmp_eq_u32_e32 vcc_lo, 15, v0
	v_cndmask_b32_e32 v106, v106, v49, vcc_lo
	v_cmp_eq_u32_e32 vcc_lo, 16, v0
	s_delay_alu instid0(VALU_DEP_2) | instskip(SKIP_1) | instid1(VALU_DEP_2)
	v_cndmask_b32_e32 v106, v106, v50, vcc_lo
	v_cmp_eq_u32_e32 vcc_lo, 17, v0
	v_cndmask_b32_e32 v106, v106, v51, vcc_lo
	v_cmp_eq_u32_e32 vcc_lo, 18, v0
	s_delay_alu instid0(VALU_DEP_2) | instskip(SKIP_1) | instid1(VALU_DEP_2)
	v_cndmask_b32_e32 v106, v106, v52, vcc_lo
	v_cmp_eq_u32_e32 vcc_lo, 19, v0
	v_cndmask_b32_e32 v106, v106, v53, vcc_lo
	s_wait_dscnt 0x0
	s_delay_alu instid0(VALU_DEP_1)
	v_mul_f32_e32 v110, v106, v107
	s_cbranch_execz .LBB83_149
	s_branch .LBB83_150
.LBB83_148:
                                        ; implicit-def: $vgpr110
.LBB83_149:
	ds_load_b32 v110, v109
.LBB83_150:
	s_and_saveexec_b32 s5, s1
	s_cbranch_execz .LBB83_160
; %bb.151:
	v_dual_add_nc_u32 v106, -10, v0 :: v_dual_add_nc_u32 v107, -9, v0
	s_delay_alu instid0(VALU_DEP_1)
	v_cmp_lt_u32_e32 vcc_lo, 6, v106
	v_mov_b32_e32 v106, 9
	s_and_saveexec_b32 s1, vcc_lo
	s_cbranch_execz .LBB83_155
; %bb.152:
	v_and_b32_e32 v106, -8, v107
	s_mov_b32 s6, 0
	s_mov_b64 s[2:3], 16
	s_movk_i32 s7, 0x74
	s_delay_alu instid0(VALU_DEP_1)
	v_sub_nc_u32_e32 v108, 0, v106
.LBB83_153:                             ; =>This Inner Loop Header: Depth=1
	s_add_co_i32 m0, s2, -7
	v_movrels_b32_e32 v111, v34
	v_mov_b32_e32 v106, s7
	s_add_co_i32 m0, s2, -6
	s_add_co_i32 s7, s7, 32
	v_movrels_b32_e32 v120, v34
	ds_load_2addr_b32 v[112:113], v106 offset1:1
	ds_load_2addr_b32 v[114:115], v106 offset0:2 offset1:3
	s_add_co_i32 m0, s2, -5
	s_wait_dscnt 0x1
	v_fmac_f32_e32 v110, v111, v112
	ds_load_2addr_b32 v[116:117], v106 offset0:4 offset1:5
	ds_load_2addr_b32 v[118:119], v106 offset0:6 offset1:7
	v_movrels_b32_e32 v106, v34
	s_add_co_i32 m0, s2, -4
	v_fmac_f32_e32 v110, v120, v113
	v_movrels_b32_e32 v111, v34
	s_add_co_i32 m0, s2, -3
	s_wait_dscnt 0x2
	s_delay_alu instid0(VALU_DEP_2) | instskip(SKIP_2) | instid1(VALU_DEP_2)
	v_fmac_f32_e32 v110, v106, v114
	v_movrels_b32_e32 v106, v34
	s_add_co_i32 m0, s2, -2
	v_fmac_f32_e32 v110, v111, v115
	v_movrels_b32_e32 v111, v34
	s_add_co_i32 m0, s2, -1
	s_wait_dscnt 0x1
	s_delay_alu instid0(VALU_DEP_2)
	v_fmac_f32_e32 v110, v106, v116
	v_movrels_b32_e32 v106, v34
	s_mov_b32 m0, s2
	s_add_nc_u64 s[2:3], s[2:3], 8
	v_movrels_b32_e32 v112, v34
	v_dual_fmac_f32 v110, v111, v117 :: v_dual_add_nc_u32 v111, s2, v108
	s_add_co_i32 s8, s2, -7
	s_wait_dscnt 0x0
	s_delay_alu instid0(VALU_DEP_1) | instskip(NEXT) | instid1(VALU_DEP_2)
	v_fmac_f32_e32 v110, v106, v118
	v_cmp_eq_u32_e32 vcc_lo, 16, v111
	s_delay_alu instid0(VALU_DEP_2) | instskip(SKIP_1) | instid1(SALU_CYCLE_1)
	v_dual_mov_b32 v106, s8 :: v_dual_fmac_f32 v110, v112, v119
	s_or_b32 s6, vcc_lo, s6
	s_and_not1_b32 exec_lo, exec_lo, s6
	s_cbranch_execnz .LBB83_153
; %bb.154:
	s_or_b32 exec_lo, exec_lo, s6
.LBB83_155:
	s_delay_alu instid0(SALU_CYCLE_1) | instskip(SKIP_3) | instid1(VALU_DEP_1)
	s_or_b32 exec_lo, exec_lo, s1
	v_and_b32_e32 v54, 7, v107
	s_mov_b32 s2, 0
	s_mov_b32 s1, exec_lo
	v_cmpx_ne_u32_e32 0, v54
	s_cbranch_execz .LBB83_159
; %bb.156:
	v_lshl_add_u32 v55, v106, 2, 0x50
	v_mov_b32_e32 v107, 0
.LBB83_157:                             ; =>This Inner Loop Header: Depth=1
	v_cmp_eq_u32_e32 vcc_lo, 1, v106
	ds_load_b32 v57, v55
	v_dual_add_nc_u32 v54, -1, v54 :: v_dual_add_nc_u32 v55, 4, v55
	v_cndmask_b32_e32 v56, v34, v35, vcc_lo
	v_cmp_eq_u32_e32 vcc_lo, 2, v106
	s_delay_alu instid0(VALU_DEP_2) | instskip(SKIP_1) | instid1(VALU_DEP_2)
	v_cndmask_b32_e32 v56, v56, v36, vcc_lo
	v_cmp_eq_u32_e32 vcc_lo, 3, v106
	v_cndmask_b32_e32 v56, v56, v37, vcc_lo
	v_cmp_eq_u32_e32 vcc_lo, 4, v106
	s_delay_alu instid0(VALU_DEP_2) | instskip(SKIP_1) | instid1(VALU_DEP_2)
	v_cndmask_b32_e32 v56, v56, v38, vcc_lo
	v_cmp_eq_u32_e32 vcc_lo, 5, v106
	;; [unrolled: 5-line block ×8, first 2 shown]
	v_cndmask_b32_e32 v56, v56, v51, vcc_lo
	v_cmp_eq_u32_e32 vcc_lo, 18, v106
	s_delay_alu instid0(VALU_DEP_2) | instskip(SKIP_2) | instid1(VALU_DEP_3)
	v_cndmask_b32_e32 v56, v56, v52, vcc_lo
	v_cmp_eq_u32_e32 vcc_lo, 19, v106
	v_add_nc_u64_e32 v[106:107], 1, v[106:107]
	v_cndmask_b32_e32 v56, v56, v53, vcc_lo
	v_cmp_eq_u32_e32 vcc_lo, 0, v54
	s_wait_dscnt 0x0
	s_delay_alu instid0(VALU_DEP_2) | instskip(SKIP_1) | instid1(SALU_CYCLE_1)
	v_fmac_f32_e32 v110, v56, v57
	s_or_b32 s2, vcc_lo, s2
	s_and_not1_b32 exec_lo, exec_lo, s2
	s_cbranch_execnz .LBB83_157
; %bb.158:
	s_or_b32 exec_lo, exec_lo, s2
.LBB83_159:
	s_delay_alu instid0(SALU_CYCLE_1)
	s_or_b32 exec_lo, exec_lo, s1
.LBB83_160:
	s_delay_alu instid0(SALU_CYCLE_1)
	s_or_b32 exec_lo, exec_lo, s5
	v_mov_b32_e32 v42, 0
	ds_load_b32 v42, v42 offset:32
	s_wait_dscnt 0x0
	v_mul_f32_e32 v42, v110, v42
.LBB83_161:
	s_or_b32 exec_lo, exec_lo, s4
	v_cmp_lt_u32_e64 s1, 7, v0
	ds_store_b32 v109, v41
	s_wait_dscnt 0x0
	s_barrier_signal -1
	s_barrier_wait -1
	s_and_saveexec_b32 s4, s1
	s_cbranch_execz .LBB83_177
; %bb.162:
	s_and_not1_b32 vcc_lo, exec_lo, s24
	s_cbranch_vccnz .LBB83_164
; %bb.163:
	v_cmp_eq_u32_e32 vcc_lo, 1, v0
	ds_load_b32 v107, v109
	v_cndmask_b32_e32 v106, v34, v35, vcc_lo
	v_cmp_eq_u32_e32 vcc_lo, 2, v0
	s_delay_alu instid0(VALU_DEP_2) | instskip(SKIP_1) | instid1(VALU_DEP_2)
	v_cndmask_b32_e32 v106, v106, v36, vcc_lo
	v_cmp_eq_u32_e32 vcc_lo, 3, v0
	v_cndmask_b32_e32 v106, v106, v37, vcc_lo
	v_cmp_eq_u32_e32 vcc_lo, 4, v0
	s_delay_alu instid0(VALU_DEP_2) | instskip(SKIP_1) | instid1(VALU_DEP_2)
	v_cndmask_b32_e32 v106, v106, v38, vcc_lo
	v_cmp_eq_u32_e32 vcc_lo, 5, v0
	;; [unrolled: 5-line block ×9, first 2 shown]
	v_cndmask_b32_e32 v106, v106, v53, vcc_lo
	s_wait_dscnt 0x0
	s_delay_alu instid0(VALU_DEP_1)
	v_mul_f32_e32 v110, v106, v107
	s_cbranch_execz .LBB83_165
	s_branch .LBB83_166
.LBB83_164:
                                        ; implicit-def: $vgpr110
.LBB83_165:
	ds_load_b32 v110, v109
.LBB83_166:
	s_and_saveexec_b32 s5, s0
	s_cbranch_execz .LBB83_176
; %bb.167:
	v_add_nc_u32_e32 v106, -9, v0
	s_delay_alu instid0(VALU_DEP_1)
	v_cmp_lt_u32_e32 vcc_lo, 6, v106
	v_mov_b32_e32 v106, 8
	s_and_saveexec_b32 s0, vcc_lo
	s_cbranch_execz .LBB83_171
; %bb.168:
	v_and_b32_e32 v106, 24, v0
	s_mov_b32 s6, 0
	s_mov_b64 s[2:3], 15
	s_movk_i32 s7, 0x70
	s_delay_alu instid0(VALU_DEP_1)
	v_sub_nc_u32_e32 v108, 0, v106
.LBB83_169:                             ; =>This Inner Loop Header: Depth=1
	s_add_co_i32 m0, s2, -7
	v_movrels_b32_e32 v107, v34
	v_mov_b32_e32 v106, s7
	s_add_co_i32 m0, s2, -6
	s_add_co_i32 s7, s7, 32
	v_movrels_b32_e32 v111, v34
	s_add_co_i32 m0, s2, -5
	ds_load_b128 v[112:115], v106
	ds_load_b128 v[116:119], v106 offset:16
	v_movrels_b32_e32 v106, v34
	s_add_co_i32 m0, s2, -4
	s_wait_dscnt 0x1
	v_fmac_f32_e32 v110, v107, v112
	v_movrels_b32_e32 v107, v34
	s_add_co_i32 m0, s2, -3
	s_delay_alu instid0(VALU_DEP_2) | instskip(NEXT) | instid1(VALU_DEP_1)
	v_fmac_f32_e32 v110, v111, v113
	v_fmac_f32_e32 v110, v106, v114
	v_movrels_b32_e32 v106, v34
	s_add_co_i32 m0, s2, -2
	s_delay_alu instid0(VALU_DEP_2) | instskip(SKIP_3) | instid1(VALU_DEP_2)
	v_fmac_f32_e32 v110, v107, v115
	v_movrels_b32_e32 v107, v34
	s_add_co_i32 m0, s2, -1
	s_wait_dscnt 0x0
	v_fmac_f32_e32 v110, v106, v116
	v_movrels_b32_e32 v106, v34
	s_mov_b32 m0, s2
	s_add_nc_u64 s[2:3], s[2:3], 8
	v_movrels_b32_e32 v111, v34
	v_dual_fmac_f32 v110, v107, v117 :: v_dual_add_nc_u32 v107, s2, v108
	s_add_co_i32 s8, s2, -7
	s_delay_alu instid0(VALU_DEP_1) | instskip(NEXT) | instid1(VALU_DEP_2)
	v_fmac_f32_e32 v110, v106, v118
	v_cmp_eq_u32_e32 vcc_lo, 7, v107
	s_delay_alu instid0(VALU_DEP_2) | instskip(SKIP_1) | instid1(SALU_CYCLE_1)
	v_dual_mov_b32 v106, s8 :: v_dual_fmac_f32 v110, v111, v119
	s_or_b32 s6, vcc_lo, s6
	s_and_not1_b32 exec_lo, exec_lo, s6
	s_cbranch_execnz .LBB83_169
; %bb.170:
	s_or_b32 exec_lo, exec_lo, s6
.LBB83_171:
	s_delay_alu instid0(SALU_CYCLE_1) | instskip(SKIP_3) | instid1(VALU_DEP_1)
	s_or_b32 exec_lo, exec_lo, s0
	v_and_b32_e32 v54, 7, v0
	s_mov_b32 s2, 0
	s_mov_b32 s0, exec_lo
	v_cmpx_ne_u32_e32 0, v54
	s_cbranch_execz .LBB83_175
; %bb.172:
	v_lshl_add_u32 v55, v106, 2, 0x50
	v_mov_b32_e32 v107, 0
.LBB83_173:                             ; =>This Inner Loop Header: Depth=1
	v_cmp_eq_u32_e32 vcc_lo, 1, v106
	ds_load_b32 v57, v55
	v_dual_add_nc_u32 v54, -1, v54 :: v_dual_add_nc_u32 v55, 4, v55
	v_cndmask_b32_e32 v56, v34, v35, vcc_lo
	v_cmp_eq_u32_e32 vcc_lo, 2, v106
	s_delay_alu instid0(VALU_DEP_2) | instskip(SKIP_1) | instid1(VALU_DEP_2)
	v_cndmask_b32_e32 v56, v56, v36, vcc_lo
	v_cmp_eq_u32_e32 vcc_lo, 3, v106
	v_cndmask_b32_e32 v56, v56, v37, vcc_lo
	v_cmp_eq_u32_e32 vcc_lo, 4, v106
	s_delay_alu instid0(VALU_DEP_2) | instskip(SKIP_1) | instid1(VALU_DEP_2)
	v_cndmask_b32_e32 v56, v56, v38, vcc_lo
	v_cmp_eq_u32_e32 vcc_lo, 5, v106
	v_cndmask_b32_e32 v56, v56, v39, vcc_lo
	v_cmp_eq_u32_e32 vcc_lo, 6, v106
	s_delay_alu instid0(VALU_DEP_2) | instskip(SKIP_1) | instid1(VALU_DEP_2)
	v_cndmask_b32_e32 v56, v56, v40, vcc_lo
	v_cmp_eq_u32_e32 vcc_lo, 7, v106
	v_cndmask_b32_e32 v56, v56, v41, vcc_lo
	v_cmp_eq_u32_e32 vcc_lo, 8, v106
	s_delay_alu instid0(VALU_DEP_2) | instskip(SKIP_1) | instid1(VALU_DEP_2)
	v_cndmask_b32_e32 v56, v56, v42, vcc_lo
	v_cmp_eq_u32_e32 vcc_lo, 9, v106
	v_cndmask_b32_e32 v56, v56, v43, vcc_lo
	v_cmp_eq_u32_e32 vcc_lo, 10, v106
	s_delay_alu instid0(VALU_DEP_2) | instskip(SKIP_1) | instid1(VALU_DEP_2)
	v_cndmask_b32_e32 v56, v56, v44, vcc_lo
	v_cmp_eq_u32_e32 vcc_lo, 11, v106
	v_cndmask_b32_e32 v56, v56, v45, vcc_lo
	v_cmp_eq_u32_e32 vcc_lo, 12, v106
	s_delay_alu instid0(VALU_DEP_2) | instskip(SKIP_1) | instid1(VALU_DEP_2)
	v_cndmask_b32_e32 v56, v56, v46, vcc_lo
	v_cmp_eq_u32_e32 vcc_lo, 13, v106
	v_cndmask_b32_e32 v56, v56, v47, vcc_lo
	v_cmp_eq_u32_e32 vcc_lo, 14, v106
	s_delay_alu instid0(VALU_DEP_2) | instskip(SKIP_1) | instid1(VALU_DEP_2)
	v_cndmask_b32_e32 v56, v56, v48, vcc_lo
	v_cmp_eq_u32_e32 vcc_lo, 15, v106
	v_cndmask_b32_e32 v56, v56, v49, vcc_lo
	v_cmp_eq_u32_e32 vcc_lo, 16, v106
	s_delay_alu instid0(VALU_DEP_2) | instskip(SKIP_1) | instid1(VALU_DEP_2)
	v_cndmask_b32_e32 v56, v56, v50, vcc_lo
	v_cmp_eq_u32_e32 vcc_lo, 17, v106
	v_cndmask_b32_e32 v56, v56, v51, vcc_lo
	v_cmp_eq_u32_e32 vcc_lo, 18, v106
	s_delay_alu instid0(VALU_DEP_2) | instskip(SKIP_2) | instid1(VALU_DEP_3)
	v_cndmask_b32_e32 v56, v56, v52, vcc_lo
	v_cmp_eq_u32_e32 vcc_lo, 19, v106
	v_add_nc_u64_e32 v[106:107], 1, v[106:107]
	v_cndmask_b32_e32 v56, v56, v53, vcc_lo
	v_cmp_eq_u32_e32 vcc_lo, 0, v54
	s_wait_dscnt 0x0
	s_delay_alu instid0(VALU_DEP_2) | instskip(SKIP_1) | instid1(SALU_CYCLE_1)
	v_fmac_f32_e32 v110, v56, v57
	s_or_b32 s2, vcc_lo, s2
	s_and_not1_b32 exec_lo, exec_lo, s2
	s_cbranch_execnz .LBB83_173
; %bb.174:
	s_or_b32 exec_lo, exec_lo, s2
.LBB83_175:
	s_delay_alu instid0(SALU_CYCLE_1)
	s_or_b32 exec_lo, exec_lo, s0
.LBB83_176:
	s_delay_alu instid0(SALU_CYCLE_1)
	s_or_b32 exec_lo, exec_lo, s5
	v_mov_b32_e32 v41, 0
	ds_load_b32 v41, v41 offset:28
	s_wait_dscnt 0x0
	v_mul_f32_e32 v41, v110, v41
.LBB83_177:
	s_or_b32 exec_lo, exec_lo, s4
	v_cmp_lt_u32_e64 s0, 6, v0
	ds_store_b32 v109, v40
	s_wait_dscnt 0x0
	s_barrier_signal -1
	s_barrier_wait -1
	s_and_saveexec_b32 s4, s0
	s_cbranch_execz .LBB83_193
; %bb.178:
	s_and_not1_b32 vcc_lo, exec_lo, s24
	s_cbranch_vccnz .LBB83_180
; %bb.179:
	v_cmp_eq_u32_e32 vcc_lo, 1, v0
	ds_load_b32 v107, v109
	v_cndmask_b32_e32 v106, v34, v35, vcc_lo
	v_cmp_eq_u32_e32 vcc_lo, 2, v0
	s_delay_alu instid0(VALU_DEP_2) | instskip(SKIP_1) | instid1(VALU_DEP_2)
	v_cndmask_b32_e32 v106, v106, v36, vcc_lo
	v_cmp_eq_u32_e32 vcc_lo, 3, v0
	v_cndmask_b32_e32 v106, v106, v37, vcc_lo
	v_cmp_eq_u32_e32 vcc_lo, 4, v0
	s_delay_alu instid0(VALU_DEP_2) | instskip(SKIP_1) | instid1(VALU_DEP_2)
	v_cndmask_b32_e32 v106, v106, v38, vcc_lo
	v_cmp_eq_u32_e32 vcc_lo, 5, v0
	;; [unrolled: 5-line block ×9, first 2 shown]
	v_cndmask_b32_e32 v106, v106, v53, vcc_lo
	s_wait_dscnt 0x0
	s_delay_alu instid0(VALU_DEP_1)
	v_mul_f32_e32 v110, v106, v107
	s_cbranch_execz .LBB83_181
	s_branch .LBB83_182
.LBB83_180:
                                        ; implicit-def: $vgpr110
.LBB83_181:
	ds_load_b32 v110, v109
.LBB83_182:
	s_and_saveexec_b32 s5, s1
	s_cbranch_execz .LBB83_192
; %bb.183:
	v_dual_add_nc_u32 v106, -8, v0 :: v_dual_add_nc_u32 v107, -7, v0
	s_delay_alu instid0(VALU_DEP_1)
	v_cmp_lt_u32_e32 vcc_lo, 6, v106
	v_mov_b32_e32 v106, 7
	s_and_saveexec_b32 s1, vcc_lo
	s_cbranch_execz .LBB83_187
; %bb.184:
	v_and_b32_e32 v106, -8, v107
	s_mov_b32 s6, 0
	s_mov_b64 s[2:3], 14
	s_movk_i32 s7, 0x6c
	s_delay_alu instid0(VALU_DEP_1)
	v_sub_nc_u32_e32 v108, 0, v106
.LBB83_185:                             ; =>This Inner Loop Header: Depth=1
	s_add_co_i32 m0, s2, -7
	v_movrels_b32_e32 v111, v34
	v_mov_b32_e32 v106, s7
	s_add_co_i32 m0, s2, -6
	s_add_co_i32 s7, s7, 32
	v_movrels_b32_e32 v120, v34
	ds_load_2addr_b32 v[112:113], v106 offset1:1
	ds_load_2addr_b32 v[114:115], v106 offset0:2 offset1:3
	s_add_co_i32 m0, s2, -5
	s_wait_dscnt 0x1
	v_fmac_f32_e32 v110, v111, v112
	ds_load_2addr_b32 v[116:117], v106 offset0:4 offset1:5
	ds_load_2addr_b32 v[118:119], v106 offset0:6 offset1:7
	v_movrels_b32_e32 v106, v34
	s_add_co_i32 m0, s2, -4
	v_fmac_f32_e32 v110, v120, v113
	v_movrels_b32_e32 v111, v34
	s_add_co_i32 m0, s2, -3
	s_wait_dscnt 0x2
	s_delay_alu instid0(VALU_DEP_2) | instskip(SKIP_2) | instid1(VALU_DEP_2)
	v_fmac_f32_e32 v110, v106, v114
	v_movrels_b32_e32 v106, v34
	s_add_co_i32 m0, s2, -2
	v_fmac_f32_e32 v110, v111, v115
	v_movrels_b32_e32 v111, v34
	s_add_co_i32 m0, s2, -1
	s_wait_dscnt 0x1
	s_delay_alu instid0(VALU_DEP_2)
	v_fmac_f32_e32 v110, v106, v116
	v_movrels_b32_e32 v106, v34
	s_mov_b32 m0, s2
	s_add_nc_u64 s[2:3], s[2:3], 8
	v_movrels_b32_e32 v112, v34
	v_dual_fmac_f32 v110, v111, v117 :: v_dual_add_nc_u32 v111, s2, v108
	s_add_co_i32 s8, s2, -7
	s_wait_dscnt 0x0
	s_delay_alu instid0(VALU_DEP_1) | instskip(NEXT) | instid1(VALU_DEP_2)
	v_fmac_f32_e32 v110, v106, v118
	v_cmp_eq_u32_e32 vcc_lo, 14, v111
	s_delay_alu instid0(VALU_DEP_2) | instskip(SKIP_1) | instid1(SALU_CYCLE_1)
	v_dual_mov_b32 v106, s8 :: v_dual_fmac_f32 v110, v112, v119
	s_or_b32 s6, vcc_lo, s6
	s_and_not1_b32 exec_lo, exec_lo, s6
	s_cbranch_execnz .LBB83_185
; %bb.186:
	s_or_b32 exec_lo, exec_lo, s6
.LBB83_187:
	s_delay_alu instid0(SALU_CYCLE_1) | instskip(SKIP_3) | instid1(VALU_DEP_1)
	s_or_b32 exec_lo, exec_lo, s1
	v_and_b32_e32 v54, 7, v107
	s_mov_b32 s2, 0
	s_mov_b32 s1, exec_lo
	v_cmpx_ne_u32_e32 0, v54
	s_cbranch_execz .LBB83_191
; %bb.188:
	v_lshl_add_u32 v55, v106, 2, 0x50
	v_mov_b32_e32 v107, 0
.LBB83_189:                             ; =>This Inner Loop Header: Depth=1
	v_cmp_eq_u32_e32 vcc_lo, 1, v106
	ds_load_b32 v57, v55
	v_dual_add_nc_u32 v54, -1, v54 :: v_dual_add_nc_u32 v55, 4, v55
	v_cndmask_b32_e32 v56, v34, v35, vcc_lo
	v_cmp_eq_u32_e32 vcc_lo, 2, v106
	s_delay_alu instid0(VALU_DEP_2) | instskip(SKIP_1) | instid1(VALU_DEP_2)
	v_cndmask_b32_e32 v56, v56, v36, vcc_lo
	v_cmp_eq_u32_e32 vcc_lo, 3, v106
	v_cndmask_b32_e32 v56, v56, v37, vcc_lo
	v_cmp_eq_u32_e32 vcc_lo, 4, v106
	s_delay_alu instid0(VALU_DEP_2) | instskip(SKIP_1) | instid1(VALU_DEP_2)
	v_cndmask_b32_e32 v56, v56, v38, vcc_lo
	v_cmp_eq_u32_e32 vcc_lo, 5, v106
	;; [unrolled: 5-line block ×8, first 2 shown]
	v_cndmask_b32_e32 v56, v56, v51, vcc_lo
	v_cmp_eq_u32_e32 vcc_lo, 18, v106
	s_delay_alu instid0(VALU_DEP_2) | instskip(SKIP_2) | instid1(VALU_DEP_3)
	v_cndmask_b32_e32 v56, v56, v52, vcc_lo
	v_cmp_eq_u32_e32 vcc_lo, 19, v106
	v_add_nc_u64_e32 v[106:107], 1, v[106:107]
	v_cndmask_b32_e32 v56, v56, v53, vcc_lo
	v_cmp_eq_u32_e32 vcc_lo, 0, v54
	s_wait_dscnt 0x0
	s_delay_alu instid0(VALU_DEP_2) | instskip(SKIP_1) | instid1(SALU_CYCLE_1)
	v_fmac_f32_e32 v110, v56, v57
	s_or_b32 s2, vcc_lo, s2
	s_and_not1_b32 exec_lo, exec_lo, s2
	s_cbranch_execnz .LBB83_189
; %bb.190:
	s_or_b32 exec_lo, exec_lo, s2
.LBB83_191:
	s_delay_alu instid0(SALU_CYCLE_1)
	s_or_b32 exec_lo, exec_lo, s1
.LBB83_192:
	s_delay_alu instid0(SALU_CYCLE_1)
	s_or_b32 exec_lo, exec_lo, s5
	v_mov_b32_e32 v40, 0
	ds_load_b32 v40, v40 offset:24
	s_wait_dscnt 0x0
	v_mul_f32_e32 v40, v110, v40
.LBB83_193:
	s_or_b32 exec_lo, exec_lo, s4
	v_cmp_lt_u32_e64 s1, 5, v0
	ds_store_b32 v109, v39
	s_wait_dscnt 0x0
	s_barrier_signal -1
	s_barrier_wait -1
	s_and_saveexec_b32 s4, s1
	s_cbranch_execz .LBB83_209
; %bb.194:
	s_and_not1_b32 vcc_lo, exec_lo, s24
	s_cbranch_vccnz .LBB83_196
; %bb.195:
	v_cmp_eq_u32_e32 vcc_lo, 1, v0
	ds_load_b32 v107, v109
	v_cndmask_b32_e32 v106, v34, v35, vcc_lo
	v_cmp_eq_u32_e32 vcc_lo, 2, v0
	s_delay_alu instid0(VALU_DEP_2) | instskip(SKIP_1) | instid1(VALU_DEP_2)
	v_cndmask_b32_e32 v106, v106, v36, vcc_lo
	v_cmp_eq_u32_e32 vcc_lo, 3, v0
	v_cndmask_b32_e32 v106, v106, v37, vcc_lo
	v_cmp_eq_u32_e32 vcc_lo, 4, v0
	s_delay_alu instid0(VALU_DEP_2) | instskip(SKIP_1) | instid1(VALU_DEP_2)
	v_cndmask_b32_e32 v106, v106, v38, vcc_lo
	v_cmp_eq_u32_e32 vcc_lo, 5, v0
	;; [unrolled: 5-line block ×9, first 2 shown]
	v_cndmask_b32_e32 v106, v106, v53, vcc_lo
	s_wait_dscnt 0x0
	s_delay_alu instid0(VALU_DEP_1)
	v_mul_f32_e32 v110, v106, v107
	s_cbranch_execz .LBB83_197
	s_branch .LBB83_198
.LBB83_196:
                                        ; implicit-def: $vgpr110
.LBB83_197:
	ds_load_b32 v110, v109
.LBB83_198:
	s_and_saveexec_b32 s5, s0
	s_cbranch_execz .LBB83_208
; %bb.199:
	v_dual_add_nc_u32 v108, -7, v0 :: v_dual_add_nc_u32 v107, -6, v0
	v_mov_b32_e32 v106, 6
	s_mov_b32 s0, exec_lo
	s_delay_alu instid0(VALU_DEP_2)
	v_cmpx_lt_u32_e32 6, v108
	s_cbranch_execz .LBB83_203
; %bb.200:
	v_and_b32_e32 v106, -8, v107
	s_mov_b32 s6, 0
	s_mov_b64 s[2:3], 13
	s_movk_i32 s7, 0x68
	s_delay_alu instid0(VALU_DEP_1)
	v_sub_nc_u32_e32 v108, 0, v106
.LBB83_201:                             ; =>This Inner Loop Header: Depth=1
	s_add_co_i32 m0, s2, -7
	v_movrels_b32_e32 v111, v34
	v_mov_b32_e32 v106, s7
	s_add_co_i32 m0, s2, -6
	s_add_co_i32 s7, s7, 32
	v_movrels_b32_e32 v120, v34
	s_add_co_i32 m0, s2, -5
	ds_load_2addr_b64 v[112:115], v106 offset1:1
	ds_load_2addr_b64 v[116:119], v106 offset0:2 offset1:3
	v_movrels_b32_e32 v106, v34
	s_add_co_i32 m0, s2, -4
	s_wait_dscnt 0x1
	v_fmac_f32_e32 v110, v111, v112
	v_movrels_b32_e32 v111, v34
	s_add_co_i32 m0, s2, -3
	s_delay_alu instid0(VALU_DEP_2) | instskip(NEXT) | instid1(VALU_DEP_1)
	v_fmac_f32_e32 v110, v120, v113
	v_fmac_f32_e32 v110, v106, v114
	v_movrels_b32_e32 v106, v34
	s_add_co_i32 m0, s2, -2
	s_delay_alu instid0(VALU_DEP_2) | instskip(SKIP_3) | instid1(VALU_DEP_2)
	v_fmac_f32_e32 v110, v111, v115
	v_movrels_b32_e32 v111, v34
	s_add_co_i32 m0, s2, -1
	s_wait_dscnt 0x0
	v_fmac_f32_e32 v110, v106, v116
	v_movrels_b32_e32 v106, v34
	s_mov_b32 m0, s2
	s_add_nc_u64 s[2:3], s[2:3], 8
	v_movrels_b32_e32 v112, v34
	v_dual_fmac_f32 v110, v111, v117 :: v_dual_add_nc_u32 v111, s2, v108
	s_add_co_i32 s8, s2, -7
	s_delay_alu instid0(VALU_DEP_1) | instskip(NEXT) | instid1(VALU_DEP_2)
	v_fmac_f32_e32 v110, v106, v118
	v_cmp_eq_u32_e32 vcc_lo, 13, v111
	s_delay_alu instid0(VALU_DEP_2) | instskip(SKIP_1) | instid1(SALU_CYCLE_1)
	v_dual_mov_b32 v106, s8 :: v_dual_fmac_f32 v110, v112, v119
	s_or_b32 s6, vcc_lo, s6
	s_and_not1_b32 exec_lo, exec_lo, s6
	s_cbranch_execnz .LBB83_201
; %bb.202:
	s_or_b32 exec_lo, exec_lo, s6
.LBB83_203:
	s_delay_alu instid0(SALU_CYCLE_1) | instskip(SKIP_3) | instid1(VALU_DEP_1)
	s_or_b32 exec_lo, exec_lo, s0
	v_and_b32_e32 v54, 7, v107
	s_mov_b32 s2, 0
	s_mov_b32 s0, exec_lo
	v_cmpx_ne_u32_e32 0, v54
	s_cbranch_execz .LBB83_207
; %bb.204:
	v_lshl_add_u32 v55, v106, 2, 0x50
	v_mov_b32_e32 v107, 0
.LBB83_205:                             ; =>This Inner Loop Header: Depth=1
	v_cmp_eq_u32_e32 vcc_lo, 1, v106
	ds_load_b32 v57, v55
	v_dual_add_nc_u32 v54, -1, v54 :: v_dual_add_nc_u32 v55, 4, v55
	v_cndmask_b32_e32 v56, v34, v35, vcc_lo
	v_cmp_eq_u32_e32 vcc_lo, 2, v106
	s_delay_alu instid0(VALU_DEP_2) | instskip(SKIP_1) | instid1(VALU_DEP_2)
	v_cndmask_b32_e32 v56, v56, v36, vcc_lo
	v_cmp_eq_u32_e32 vcc_lo, 3, v106
	v_cndmask_b32_e32 v56, v56, v37, vcc_lo
	v_cmp_eq_u32_e32 vcc_lo, 4, v106
	s_delay_alu instid0(VALU_DEP_2) | instskip(SKIP_1) | instid1(VALU_DEP_2)
	v_cndmask_b32_e32 v56, v56, v38, vcc_lo
	v_cmp_eq_u32_e32 vcc_lo, 5, v106
	;; [unrolled: 5-line block ×8, first 2 shown]
	v_cndmask_b32_e32 v56, v56, v51, vcc_lo
	v_cmp_eq_u32_e32 vcc_lo, 18, v106
	s_delay_alu instid0(VALU_DEP_2) | instskip(SKIP_2) | instid1(VALU_DEP_3)
	v_cndmask_b32_e32 v56, v56, v52, vcc_lo
	v_cmp_eq_u32_e32 vcc_lo, 19, v106
	v_add_nc_u64_e32 v[106:107], 1, v[106:107]
	v_cndmask_b32_e32 v56, v56, v53, vcc_lo
	v_cmp_eq_u32_e32 vcc_lo, 0, v54
	s_wait_dscnt 0x0
	s_delay_alu instid0(VALU_DEP_2) | instskip(SKIP_1) | instid1(SALU_CYCLE_1)
	v_fmac_f32_e32 v110, v56, v57
	s_or_b32 s2, vcc_lo, s2
	s_and_not1_b32 exec_lo, exec_lo, s2
	s_cbranch_execnz .LBB83_205
; %bb.206:
	s_or_b32 exec_lo, exec_lo, s2
.LBB83_207:
	s_delay_alu instid0(SALU_CYCLE_1)
	s_or_b32 exec_lo, exec_lo, s0
.LBB83_208:
	s_delay_alu instid0(SALU_CYCLE_1)
	s_or_b32 exec_lo, exec_lo, s5
	v_mov_b32_e32 v39, 0
	ds_load_b32 v39, v39 offset:20
	s_wait_dscnt 0x0
	v_mul_f32_e32 v39, v110, v39
.LBB83_209:
	s_or_b32 exec_lo, exec_lo, s4
	v_cmp_lt_u32_e64 s0, 4, v0
	ds_store_b32 v109, v38
	s_wait_dscnt 0x0
	s_barrier_signal -1
	s_barrier_wait -1
	s_and_saveexec_b32 s4, s0
	s_cbranch_execz .LBB83_225
; %bb.210:
	s_and_not1_b32 vcc_lo, exec_lo, s24
	s_cbranch_vccnz .LBB83_212
; %bb.211:
	v_cmp_eq_u32_e32 vcc_lo, 1, v0
	ds_load_b32 v107, v109
	v_cndmask_b32_e32 v106, v34, v35, vcc_lo
	v_cmp_eq_u32_e32 vcc_lo, 2, v0
	s_delay_alu instid0(VALU_DEP_2) | instskip(SKIP_1) | instid1(VALU_DEP_2)
	v_cndmask_b32_e32 v106, v106, v36, vcc_lo
	v_cmp_eq_u32_e32 vcc_lo, 3, v0
	v_cndmask_b32_e32 v106, v106, v37, vcc_lo
	v_cmp_eq_u32_e32 vcc_lo, 4, v0
	s_delay_alu instid0(VALU_DEP_2) | instskip(SKIP_1) | instid1(VALU_DEP_2)
	v_cndmask_b32_e32 v106, v106, v38, vcc_lo
	v_cmp_eq_u32_e32 vcc_lo, 5, v0
	;; [unrolled: 5-line block ×9, first 2 shown]
	v_cndmask_b32_e32 v106, v106, v53, vcc_lo
	s_wait_dscnt 0x0
	s_delay_alu instid0(VALU_DEP_1)
	v_mul_f32_e32 v110, v106, v107
	s_cbranch_execz .LBB83_213
	s_branch .LBB83_214
.LBB83_212:
                                        ; implicit-def: $vgpr110
.LBB83_213:
	ds_load_b32 v110, v109
.LBB83_214:
	s_and_saveexec_b32 s5, s1
	s_cbranch_execz .LBB83_224
; %bb.215:
	v_dual_add_nc_u32 v106, -6, v0 :: v_dual_add_nc_u32 v107, -5, v0
	s_delay_alu instid0(VALU_DEP_1)
	v_cmp_lt_u32_e32 vcc_lo, 6, v106
	v_mov_b32_e32 v106, 5
	s_and_saveexec_b32 s1, vcc_lo
	s_cbranch_execz .LBB83_219
; %bb.216:
	v_and_b32_e32 v106, -8, v107
	s_mov_b32 s6, 0
	s_mov_b64 s[2:3], 12
	s_movk_i32 s7, 0x64
	s_delay_alu instid0(VALU_DEP_1)
	v_sub_nc_u32_e32 v108, 0, v106
.LBB83_217:                             ; =>This Inner Loop Header: Depth=1
	s_add_co_i32 m0, s2, -7
	v_movrels_b32_e32 v111, v34
	v_mov_b32_e32 v106, s7
	s_add_co_i32 m0, s2, -6
	s_add_co_i32 s7, s7, 32
	v_movrels_b32_e32 v120, v34
	ds_load_2addr_b32 v[112:113], v106 offset1:1
	ds_load_2addr_b32 v[114:115], v106 offset0:2 offset1:3
	s_add_co_i32 m0, s2, -5
	s_wait_dscnt 0x1
	v_fmac_f32_e32 v110, v111, v112
	ds_load_2addr_b32 v[116:117], v106 offset0:4 offset1:5
	ds_load_2addr_b32 v[118:119], v106 offset0:6 offset1:7
	v_movrels_b32_e32 v106, v34
	s_add_co_i32 m0, s2, -4
	v_fmac_f32_e32 v110, v120, v113
	v_movrels_b32_e32 v111, v34
	s_add_co_i32 m0, s2, -3
	s_wait_dscnt 0x2
	s_delay_alu instid0(VALU_DEP_2) | instskip(SKIP_2) | instid1(VALU_DEP_2)
	v_fmac_f32_e32 v110, v106, v114
	v_movrels_b32_e32 v106, v34
	s_add_co_i32 m0, s2, -2
	v_fmac_f32_e32 v110, v111, v115
	v_movrels_b32_e32 v111, v34
	s_add_co_i32 m0, s2, -1
	s_wait_dscnt 0x1
	s_delay_alu instid0(VALU_DEP_2)
	v_fmac_f32_e32 v110, v106, v116
	v_movrels_b32_e32 v106, v34
	s_mov_b32 m0, s2
	s_add_nc_u64 s[2:3], s[2:3], 8
	v_movrels_b32_e32 v112, v34
	v_dual_fmac_f32 v110, v111, v117 :: v_dual_add_nc_u32 v111, s2, v108
	s_add_co_i32 s8, s2, -7
	s_wait_dscnt 0x0
	s_delay_alu instid0(VALU_DEP_1) | instskip(NEXT) | instid1(VALU_DEP_2)
	v_fmac_f32_e32 v110, v106, v118
	v_cmp_eq_u32_e32 vcc_lo, 12, v111
	s_delay_alu instid0(VALU_DEP_2) | instskip(SKIP_1) | instid1(SALU_CYCLE_1)
	v_dual_mov_b32 v106, s8 :: v_dual_fmac_f32 v110, v112, v119
	s_or_b32 s6, vcc_lo, s6
	s_and_not1_b32 exec_lo, exec_lo, s6
	s_cbranch_execnz .LBB83_217
; %bb.218:
	s_or_b32 exec_lo, exec_lo, s6
.LBB83_219:
	s_delay_alu instid0(SALU_CYCLE_1) | instskip(SKIP_3) | instid1(VALU_DEP_1)
	s_or_b32 exec_lo, exec_lo, s1
	v_and_b32_e32 v54, 7, v107
	s_mov_b32 s2, 0
	s_mov_b32 s1, exec_lo
	v_cmpx_ne_u32_e32 0, v54
	s_cbranch_execz .LBB83_223
; %bb.220:
	v_lshl_add_u32 v55, v106, 2, 0x50
	v_mov_b32_e32 v107, 0
.LBB83_221:                             ; =>This Inner Loop Header: Depth=1
	v_cmp_eq_u32_e32 vcc_lo, 1, v106
	ds_load_b32 v57, v55
	v_dual_add_nc_u32 v54, -1, v54 :: v_dual_add_nc_u32 v55, 4, v55
	v_cndmask_b32_e32 v56, v34, v35, vcc_lo
	v_cmp_eq_u32_e32 vcc_lo, 2, v106
	s_delay_alu instid0(VALU_DEP_2) | instskip(SKIP_1) | instid1(VALU_DEP_2)
	v_cndmask_b32_e32 v56, v56, v36, vcc_lo
	v_cmp_eq_u32_e32 vcc_lo, 3, v106
	v_cndmask_b32_e32 v56, v56, v37, vcc_lo
	v_cmp_eq_u32_e32 vcc_lo, 4, v106
	s_delay_alu instid0(VALU_DEP_2) | instskip(SKIP_1) | instid1(VALU_DEP_2)
	v_cndmask_b32_e32 v56, v56, v38, vcc_lo
	v_cmp_eq_u32_e32 vcc_lo, 5, v106
	;; [unrolled: 5-line block ×8, first 2 shown]
	v_cndmask_b32_e32 v56, v56, v51, vcc_lo
	v_cmp_eq_u32_e32 vcc_lo, 18, v106
	s_delay_alu instid0(VALU_DEP_2) | instskip(SKIP_2) | instid1(VALU_DEP_3)
	v_cndmask_b32_e32 v56, v56, v52, vcc_lo
	v_cmp_eq_u32_e32 vcc_lo, 19, v106
	v_add_nc_u64_e32 v[106:107], 1, v[106:107]
	v_cndmask_b32_e32 v56, v56, v53, vcc_lo
	v_cmp_eq_u32_e32 vcc_lo, 0, v54
	s_wait_dscnt 0x0
	s_delay_alu instid0(VALU_DEP_2) | instskip(SKIP_1) | instid1(SALU_CYCLE_1)
	v_fmac_f32_e32 v110, v56, v57
	s_or_b32 s2, vcc_lo, s2
	s_and_not1_b32 exec_lo, exec_lo, s2
	s_cbranch_execnz .LBB83_221
; %bb.222:
	s_or_b32 exec_lo, exec_lo, s2
.LBB83_223:
	s_delay_alu instid0(SALU_CYCLE_1)
	s_or_b32 exec_lo, exec_lo, s1
.LBB83_224:
	s_delay_alu instid0(SALU_CYCLE_1)
	s_or_b32 exec_lo, exec_lo, s5
	v_mov_b32_e32 v38, 0
	ds_load_b32 v38, v38 offset:16
	s_wait_dscnt 0x0
	v_mul_f32_e32 v38, v110, v38
.LBB83_225:
	s_or_b32 exec_lo, exec_lo, s4
	v_cmp_lt_u32_e64 s1, 3, v0
	ds_store_b32 v109, v37
	s_wait_dscnt 0x0
	s_barrier_signal -1
	s_barrier_wait -1
	s_and_saveexec_b32 s4, s1
	s_cbranch_execz .LBB83_241
; %bb.226:
	s_and_not1_b32 vcc_lo, exec_lo, s24
	s_cbranch_vccnz .LBB83_228
; %bb.227:
	v_cmp_eq_u32_e32 vcc_lo, 1, v0
	ds_load_b32 v107, v109
	v_cndmask_b32_e32 v106, v34, v35, vcc_lo
	v_cmp_eq_u32_e32 vcc_lo, 2, v0
	s_delay_alu instid0(VALU_DEP_2) | instskip(SKIP_1) | instid1(VALU_DEP_2)
	v_cndmask_b32_e32 v106, v106, v36, vcc_lo
	v_cmp_eq_u32_e32 vcc_lo, 3, v0
	v_cndmask_b32_e32 v106, v106, v37, vcc_lo
	v_cmp_eq_u32_e32 vcc_lo, 4, v0
	s_delay_alu instid0(VALU_DEP_2) | instskip(SKIP_1) | instid1(VALU_DEP_2)
	v_cndmask_b32_e32 v106, v106, v38, vcc_lo
	v_cmp_eq_u32_e32 vcc_lo, 5, v0
	;; [unrolled: 5-line block ×9, first 2 shown]
	v_cndmask_b32_e32 v106, v106, v53, vcc_lo
	s_wait_dscnt 0x0
	s_delay_alu instid0(VALU_DEP_1)
	v_mul_f32_e32 v110, v106, v107
	s_cbranch_execz .LBB83_229
	s_branch .LBB83_230
.LBB83_228:
                                        ; implicit-def: $vgpr110
.LBB83_229:
	ds_load_b32 v110, v109
.LBB83_230:
	s_and_saveexec_b32 s5, s0
	s_cbranch_execz .LBB83_240
; %bb.231:
	v_dual_add_nc_u32 v106, -5, v0 :: v_dual_add_nc_u32 v107, -4, v0
	s_delay_alu instid0(VALU_DEP_1)
	v_cmp_lt_u32_e32 vcc_lo, 6, v106
	v_mov_b32_e32 v106, 4
	s_and_saveexec_b32 s0, vcc_lo
	s_cbranch_execz .LBB83_235
; %bb.232:
	v_and_b32_e32 v106, -8, v107
	s_mov_b32 s6, 0
	s_mov_b64 s[2:3], 5
	s_movk_i32 s7, 0x60
	s_delay_alu instid0(VALU_DEP_1)
	v_sub_nc_u32_e32 v108, 0, v106
.LBB83_233:                             ; =>This Inner Loop Header: Depth=1
	s_add_co_i32 m0, s2, -1
	v_movrels_b32_e32 v111, v34
	v_mov_b32_e32 v106, s7
	s_mov_b32 m0, s2
	s_add_co_i32 s7, s7, 32
	v_movrels_b32_e32 v120, v34
	s_add_co_i32 m0, s2, 1
	ds_load_b128 v[112:115], v106
	ds_load_b128 v[116:119], v106 offset:16
	v_movrels_b32_e32 v106, v34
	s_add_co_i32 m0, s2, 2
	s_wait_dscnt 0x1
	v_fmac_f32_e32 v110, v111, v112
	v_movrels_b32_e32 v111, v34
	s_add_co_i32 m0, s2, 3
	s_delay_alu instid0(VALU_DEP_2) | instskip(NEXT) | instid1(VALU_DEP_1)
	v_fmac_f32_e32 v110, v120, v113
	v_fmac_f32_e32 v110, v106, v114
	v_movrels_b32_e32 v106, v34
	s_add_co_i32 m0, s2, 4
	s_delay_alu instid0(VALU_DEP_2) | instskip(SKIP_3) | instid1(VALU_DEP_2)
	v_fmac_f32_e32 v110, v111, v115
	v_movrels_b32_e32 v111, v34
	s_add_co_i32 m0, s2, 5
	s_wait_dscnt 0x0
	v_fmac_f32_e32 v110, v106, v116
	v_movrels_b32_e32 v106, v34
	s_add_co_i32 m0, s2, 6
	s_add_nc_u64 s[2:3], s[2:3], 8
	v_movrels_b32_e32 v112, v34
	v_dual_fmac_f32 v110, v111, v117 :: v_dual_add_nc_u32 v111, s2, v108
	s_add_co_i32 s8, s2, -1
	s_delay_alu instid0(VALU_DEP_1) | instskip(NEXT) | instid1(VALU_DEP_2)
	v_fmac_f32_e32 v110, v106, v118
	v_cmp_eq_u32_e32 vcc_lo, 5, v111
	s_delay_alu instid0(VALU_DEP_2) | instskip(SKIP_1) | instid1(SALU_CYCLE_1)
	v_dual_mov_b32 v106, s8 :: v_dual_fmac_f32 v110, v112, v119
	s_or_b32 s6, vcc_lo, s6
	s_and_not1_b32 exec_lo, exec_lo, s6
	s_cbranch_execnz .LBB83_233
; %bb.234:
	s_or_b32 exec_lo, exec_lo, s6
.LBB83_235:
	s_delay_alu instid0(SALU_CYCLE_1) | instskip(SKIP_3) | instid1(VALU_DEP_1)
	s_or_b32 exec_lo, exec_lo, s0
	v_and_b32_e32 v54, 7, v107
	s_mov_b32 s2, 0
	s_mov_b32 s0, exec_lo
	v_cmpx_ne_u32_e32 0, v54
	s_cbranch_execz .LBB83_239
; %bb.236:
	v_lshl_add_u32 v55, v106, 2, 0x50
	v_mov_b32_e32 v107, 0
.LBB83_237:                             ; =>This Inner Loop Header: Depth=1
	v_cmp_eq_u32_e32 vcc_lo, 1, v106
	ds_load_b32 v57, v55
	v_dual_add_nc_u32 v54, -1, v54 :: v_dual_add_nc_u32 v55, 4, v55
	v_cndmask_b32_e32 v56, v34, v35, vcc_lo
	v_cmp_eq_u32_e32 vcc_lo, 2, v106
	s_delay_alu instid0(VALU_DEP_2) | instskip(SKIP_1) | instid1(VALU_DEP_2)
	v_cndmask_b32_e32 v56, v56, v36, vcc_lo
	v_cmp_eq_u32_e32 vcc_lo, 3, v106
	v_cndmask_b32_e32 v56, v56, v37, vcc_lo
	v_cmp_eq_u32_e32 vcc_lo, 4, v106
	s_delay_alu instid0(VALU_DEP_2) | instskip(SKIP_1) | instid1(VALU_DEP_2)
	v_cndmask_b32_e32 v56, v56, v38, vcc_lo
	v_cmp_eq_u32_e32 vcc_lo, 5, v106
	;; [unrolled: 5-line block ×8, first 2 shown]
	v_cndmask_b32_e32 v56, v56, v51, vcc_lo
	v_cmp_eq_u32_e32 vcc_lo, 18, v106
	s_delay_alu instid0(VALU_DEP_2) | instskip(SKIP_2) | instid1(VALU_DEP_3)
	v_cndmask_b32_e32 v56, v56, v52, vcc_lo
	v_cmp_eq_u32_e32 vcc_lo, 19, v106
	v_add_nc_u64_e32 v[106:107], 1, v[106:107]
	v_cndmask_b32_e32 v56, v56, v53, vcc_lo
	v_cmp_eq_u32_e32 vcc_lo, 0, v54
	s_wait_dscnt 0x0
	s_delay_alu instid0(VALU_DEP_2) | instskip(SKIP_1) | instid1(SALU_CYCLE_1)
	v_fmac_f32_e32 v110, v56, v57
	s_or_b32 s2, vcc_lo, s2
	s_and_not1_b32 exec_lo, exec_lo, s2
	s_cbranch_execnz .LBB83_237
; %bb.238:
	s_or_b32 exec_lo, exec_lo, s2
.LBB83_239:
	s_delay_alu instid0(SALU_CYCLE_1)
	s_or_b32 exec_lo, exec_lo, s0
.LBB83_240:
	s_delay_alu instid0(SALU_CYCLE_1)
	s_or_b32 exec_lo, exec_lo, s5
	v_mov_b32_e32 v37, 0
	ds_load_b32 v37, v37 offset:12
	s_wait_dscnt 0x0
	v_mul_f32_e32 v37, v110, v37
.LBB83_241:
	s_or_b32 exec_lo, exec_lo, s4
	v_cmp_lt_u32_e64 s0, 2, v0
	ds_store_b32 v109, v36
	s_wait_dscnt 0x0
	s_barrier_signal -1
	s_barrier_wait -1
	s_and_saveexec_b32 s4, s0
	s_cbranch_execz .LBB83_257
; %bb.242:
	s_and_not1_b32 vcc_lo, exec_lo, s24
	s_cbranch_vccnz .LBB83_244
; %bb.243:
	v_cmp_eq_u32_e32 vcc_lo, 1, v0
	ds_load_b32 v107, v109
	v_cndmask_b32_e32 v106, v34, v35, vcc_lo
	v_cmp_eq_u32_e32 vcc_lo, 2, v0
	s_delay_alu instid0(VALU_DEP_2) | instskip(SKIP_1) | instid1(VALU_DEP_2)
	v_cndmask_b32_e32 v106, v106, v36, vcc_lo
	v_cmp_eq_u32_e32 vcc_lo, 3, v0
	v_cndmask_b32_e32 v106, v106, v37, vcc_lo
	v_cmp_eq_u32_e32 vcc_lo, 4, v0
	s_delay_alu instid0(VALU_DEP_2) | instskip(SKIP_1) | instid1(VALU_DEP_2)
	v_cndmask_b32_e32 v106, v106, v38, vcc_lo
	v_cmp_eq_u32_e32 vcc_lo, 5, v0
	;; [unrolled: 5-line block ×9, first 2 shown]
	v_cndmask_b32_e32 v106, v106, v53, vcc_lo
	s_wait_dscnt 0x0
	s_delay_alu instid0(VALU_DEP_1)
	v_mul_f32_e32 v110, v106, v107
	s_cbranch_execz .LBB83_245
	s_branch .LBB83_246
.LBB83_244:
                                        ; implicit-def: $vgpr110
.LBB83_245:
	ds_load_b32 v110, v109
.LBB83_246:
	s_and_saveexec_b32 s5, s1
	s_cbranch_execz .LBB83_256
; %bb.247:
	v_dual_add_nc_u32 v106, -4, v0 :: v_dual_add_nc_u32 v107, -3, v0
	s_delay_alu instid0(VALU_DEP_1)
	v_cmp_lt_u32_e32 vcc_lo, 6, v106
	v_mov_b32_e32 v106, 3
	s_and_saveexec_b32 s1, vcc_lo
	s_cbranch_execz .LBB83_251
; %bb.248:
	v_and_b32_e32 v106, -8, v107
	s_mov_b32 s6, 0
	s_mov_b64 s[2:3], 10
	s_movk_i32 s7, 0x5c
	s_delay_alu instid0(VALU_DEP_1)
	v_sub_nc_u32_e32 v108, 0, v106
.LBB83_249:                             ; =>This Inner Loop Header: Depth=1
	s_add_co_i32 m0, s2, -7
	v_movrels_b32_e32 v111, v34
	v_mov_b32_e32 v106, s7
	s_add_co_i32 m0, s2, -6
	s_add_co_i32 s7, s7, 32
	v_movrels_b32_e32 v120, v34
	ds_load_2addr_b32 v[112:113], v106 offset1:1
	ds_load_2addr_b32 v[114:115], v106 offset0:2 offset1:3
	s_add_co_i32 m0, s2, -5
	s_wait_dscnt 0x1
	v_fmac_f32_e32 v110, v111, v112
	ds_load_2addr_b32 v[116:117], v106 offset0:4 offset1:5
	ds_load_2addr_b32 v[118:119], v106 offset0:6 offset1:7
	v_movrels_b32_e32 v106, v34
	s_add_co_i32 m0, s2, -4
	v_fmac_f32_e32 v110, v120, v113
	v_movrels_b32_e32 v111, v34
	s_add_co_i32 m0, s2, -3
	s_wait_dscnt 0x2
	s_delay_alu instid0(VALU_DEP_2) | instskip(SKIP_2) | instid1(VALU_DEP_2)
	v_fmac_f32_e32 v110, v106, v114
	v_movrels_b32_e32 v106, v34
	s_add_co_i32 m0, s2, -2
	v_fmac_f32_e32 v110, v111, v115
	v_movrels_b32_e32 v111, v34
	s_add_co_i32 m0, s2, -1
	s_wait_dscnt 0x1
	s_delay_alu instid0(VALU_DEP_2)
	v_fmac_f32_e32 v110, v106, v116
	v_movrels_b32_e32 v106, v34
	s_mov_b32 m0, s2
	s_add_nc_u64 s[2:3], s[2:3], 8
	v_movrels_b32_e32 v112, v34
	v_dual_fmac_f32 v110, v111, v117 :: v_dual_add_nc_u32 v111, s2, v108
	s_add_co_i32 s8, s2, -7
	s_wait_dscnt 0x0
	s_delay_alu instid0(VALU_DEP_1) | instskip(NEXT) | instid1(VALU_DEP_2)
	v_fmac_f32_e32 v110, v106, v118
	v_cmp_eq_u32_e32 vcc_lo, 10, v111
	s_delay_alu instid0(VALU_DEP_2) | instskip(SKIP_1) | instid1(SALU_CYCLE_1)
	v_dual_mov_b32 v106, s8 :: v_dual_fmac_f32 v110, v112, v119
	s_or_b32 s6, vcc_lo, s6
	s_and_not1_b32 exec_lo, exec_lo, s6
	s_cbranch_execnz .LBB83_249
; %bb.250:
	s_or_b32 exec_lo, exec_lo, s6
.LBB83_251:
	s_delay_alu instid0(SALU_CYCLE_1) | instskip(SKIP_3) | instid1(VALU_DEP_1)
	s_or_b32 exec_lo, exec_lo, s1
	v_and_b32_e32 v54, 7, v107
	s_mov_b32 s2, 0
	s_mov_b32 s1, exec_lo
	v_cmpx_ne_u32_e32 0, v54
	s_cbranch_execz .LBB83_255
; %bb.252:
	v_lshl_add_u32 v55, v106, 2, 0x50
	v_mov_b32_e32 v107, 0
.LBB83_253:                             ; =>This Inner Loop Header: Depth=1
	v_cmp_eq_u32_e32 vcc_lo, 1, v106
	ds_load_b32 v57, v55
	v_dual_add_nc_u32 v54, -1, v54 :: v_dual_add_nc_u32 v55, 4, v55
	v_cndmask_b32_e32 v56, v34, v35, vcc_lo
	v_cmp_eq_u32_e32 vcc_lo, 2, v106
	s_delay_alu instid0(VALU_DEP_2) | instskip(SKIP_1) | instid1(VALU_DEP_2)
	v_cndmask_b32_e32 v56, v56, v36, vcc_lo
	v_cmp_eq_u32_e32 vcc_lo, 3, v106
	v_cndmask_b32_e32 v56, v56, v37, vcc_lo
	v_cmp_eq_u32_e32 vcc_lo, 4, v106
	s_delay_alu instid0(VALU_DEP_2) | instskip(SKIP_1) | instid1(VALU_DEP_2)
	v_cndmask_b32_e32 v56, v56, v38, vcc_lo
	v_cmp_eq_u32_e32 vcc_lo, 5, v106
	v_cndmask_b32_e32 v56, v56, v39, vcc_lo
	v_cmp_eq_u32_e32 vcc_lo, 6, v106
	s_delay_alu instid0(VALU_DEP_2) | instskip(SKIP_1) | instid1(VALU_DEP_2)
	v_cndmask_b32_e32 v56, v56, v40, vcc_lo
	v_cmp_eq_u32_e32 vcc_lo, 7, v106
	v_cndmask_b32_e32 v56, v56, v41, vcc_lo
	v_cmp_eq_u32_e32 vcc_lo, 8, v106
	s_delay_alu instid0(VALU_DEP_2) | instskip(SKIP_1) | instid1(VALU_DEP_2)
	v_cndmask_b32_e32 v56, v56, v42, vcc_lo
	v_cmp_eq_u32_e32 vcc_lo, 9, v106
	v_cndmask_b32_e32 v56, v56, v43, vcc_lo
	v_cmp_eq_u32_e32 vcc_lo, 10, v106
	s_delay_alu instid0(VALU_DEP_2) | instskip(SKIP_1) | instid1(VALU_DEP_2)
	v_cndmask_b32_e32 v56, v56, v44, vcc_lo
	v_cmp_eq_u32_e32 vcc_lo, 11, v106
	v_cndmask_b32_e32 v56, v56, v45, vcc_lo
	v_cmp_eq_u32_e32 vcc_lo, 12, v106
	s_delay_alu instid0(VALU_DEP_2) | instskip(SKIP_1) | instid1(VALU_DEP_2)
	v_cndmask_b32_e32 v56, v56, v46, vcc_lo
	v_cmp_eq_u32_e32 vcc_lo, 13, v106
	v_cndmask_b32_e32 v56, v56, v47, vcc_lo
	v_cmp_eq_u32_e32 vcc_lo, 14, v106
	s_delay_alu instid0(VALU_DEP_2) | instskip(SKIP_1) | instid1(VALU_DEP_2)
	v_cndmask_b32_e32 v56, v56, v48, vcc_lo
	v_cmp_eq_u32_e32 vcc_lo, 15, v106
	v_cndmask_b32_e32 v56, v56, v49, vcc_lo
	v_cmp_eq_u32_e32 vcc_lo, 16, v106
	s_delay_alu instid0(VALU_DEP_2) | instskip(SKIP_1) | instid1(VALU_DEP_2)
	v_cndmask_b32_e32 v56, v56, v50, vcc_lo
	v_cmp_eq_u32_e32 vcc_lo, 17, v106
	v_cndmask_b32_e32 v56, v56, v51, vcc_lo
	v_cmp_eq_u32_e32 vcc_lo, 18, v106
	s_delay_alu instid0(VALU_DEP_2) | instskip(SKIP_2) | instid1(VALU_DEP_3)
	v_cndmask_b32_e32 v56, v56, v52, vcc_lo
	v_cmp_eq_u32_e32 vcc_lo, 19, v106
	v_add_nc_u64_e32 v[106:107], 1, v[106:107]
	v_cndmask_b32_e32 v56, v56, v53, vcc_lo
	v_cmp_eq_u32_e32 vcc_lo, 0, v54
	s_wait_dscnt 0x0
	s_delay_alu instid0(VALU_DEP_2) | instskip(SKIP_1) | instid1(SALU_CYCLE_1)
	v_fmac_f32_e32 v110, v56, v57
	s_or_b32 s2, vcc_lo, s2
	s_and_not1_b32 exec_lo, exec_lo, s2
	s_cbranch_execnz .LBB83_253
; %bb.254:
	s_or_b32 exec_lo, exec_lo, s2
.LBB83_255:
	s_delay_alu instid0(SALU_CYCLE_1)
	s_or_b32 exec_lo, exec_lo, s1
.LBB83_256:
	s_delay_alu instid0(SALU_CYCLE_1)
	s_or_b32 exec_lo, exec_lo, s5
	v_mov_b32_e32 v36, 0
	ds_load_b32 v36, v36 offset:8
	s_wait_dscnt 0x0
	v_mul_f32_e32 v36, v110, v36
.LBB83_257:
	s_or_b32 exec_lo, exec_lo, s4
	v_cmp_lt_u32_e64 s1, 1, v0
	ds_store_b32 v109, v35
	s_wait_dscnt 0x0
	s_barrier_signal -1
	s_barrier_wait -1
	s_and_saveexec_b32 s4, s1
	s_cbranch_execz .LBB83_273
; %bb.258:
	s_and_not1_b32 vcc_lo, exec_lo, s24
	s_cbranch_vccnz .LBB83_260
; %bb.259:
	v_cmp_eq_u32_e32 vcc_lo, 1, v0
	ds_load_b32 v107, v109
	v_cndmask_b32_e32 v106, v34, v35, vcc_lo
	v_cmp_eq_u32_e32 vcc_lo, 2, v0
	s_delay_alu instid0(VALU_DEP_2) | instskip(SKIP_1) | instid1(VALU_DEP_2)
	v_cndmask_b32_e32 v106, v106, v36, vcc_lo
	v_cmp_eq_u32_e32 vcc_lo, 3, v0
	v_cndmask_b32_e32 v106, v106, v37, vcc_lo
	v_cmp_eq_u32_e32 vcc_lo, 4, v0
	s_delay_alu instid0(VALU_DEP_2) | instskip(SKIP_1) | instid1(VALU_DEP_2)
	v_cndmask_b32_e32 v106, v106, v38, vcc_lo
	v_cmp_eq_u32_e32 vcc_lo, 5, v0
	;; [unrolled: 5-line block ×9, first 2 shown]
	v_cndmask_b32_e32 v106, v106, v53, vcc_lo
	s_wait_dscnt 0x0
	s_delay_alu instid0(VALU_DEP_1)
	v_mul_f32_e32 v110, v106, v107
	s_cbranch_execz .LBB83_261
	s_branch .LBB83_262
.LBB83_260:
                                        ; implicit-def: $vgpr110
.LBB83_261:
	ds_load_b32 v110, v109
.LBB83_262:
	s_and_saveexec_b32 s5, s0
	s_cbranch_execz .LBB83_272
; %bb.263:
	v_dual_add_nc_u32 v106, -3, v0 :: v_dual_add_nc_u32 v107, -2, v0
	s_delay_alu instid0(VALU_DEP_1)
	v_cmp_lt_u32_e32 vcc_lo, 6, v106
	v_mov_b32_e32 v106, 2
	s_and_saveexec_b32 s0, vcc_lo
	s_cbranch_execz .LBB83_267
; %bb.264:
	v_and_b32_e32 v106, -8, v107
	s_mov_b32 s6, 0
	s_mov_b64 s[2:3], 9
	s_movk_i32 s7, 0x58
	s_delay_alu instid0(VALU_DEP_1)
	v_sub_nc_u32_e32 v108, 0, v106
.LBB83_265:                             ; =>This Inner Loop Header: Depth=1
	s_add_co_i32 m0, s2, -7
	v_movrels_b32_e32 v111, v34
	v_mov_b32_e32 v106, s7
	s_add_co_i32 m0, s2, -6
	s_add_co_i32 s7, s7, 32
	v_movrels_b32_e32 v120, v34
	s_add_co_i32 m0, s2, -5
	ds_load_2addr_b64 v[112:115], v106 offset1:1
	ds_load_2addr_b64 v[116:119], v106 offset0:2 offset1:3
	v_movrels_b32_e32 v106, v34
	s_add_co_i32 m0, s2, -4
	s_wait_dscnt 0x1
	v_fmac_f32_e32 v110, v111, v112
	v_movrels_b32_e32 v111, v34
	s_add_co_i32 m0, s2, -3
	s_delay_alu instid0(VALU_DEP_2) | instskip(NEXT) | instid1(VALU_DEP_1)
	v_fmac_f32_e32 v110, v120, v113
	v_fmac_f32_e32 v110, v106, v114
	v_movrels_b32_e32 v106, v34
	s_add_co_i32 m0, s2, -2
	s_delay_alu instid0(VALU_DEP_2) | instskip(SKIP_3) | instid1(VALU_DEP_2)
	v_fmac_f32_e32 v110, v111, v115
	v_movrels_b32_e32 v111, v34
	s_add_co_i32 m0, s2, -1
	s_wait_dscnt 0x0
	v_fmac_f32_e32 v110, v106, v116
	v_movrels_b32_e32 v106, v34
	s_mov_b32 m0, s2
	s_add_nc_u64 s[2:3], s[2:3], 8
	v_movrels_b32_e32 v112, v34
	v_dual_fmac_f32 v110, v111, v117 :: v_dual_add_nc_u32 v111, s2, v108
	s_add_co_i32 s8, s2, -7
	s_delay_alu instid0(VALU_DEP_1) | instskip(NEXT) | instid1(VALU_DEP_2)
	v_fmac_f32_e32 v110, v106, v118
	v_cmp_eq_u32_e32 vcc_lo, 9, v111
	s_delay_alu instid0(VALU_DEP_2) | instskip(SKIP_1) | instid1(SALU_CYCLE_1)
	v_dual_mov_b32 v106, s8 :: v_dual_fmac_f32 v110, v112, v119
	s_or_b32 s6, vcc_lo, s6
	s_and_not1_b32 exec_lo, exec_lo, s6
	s_cbranch_execnz .LBB83_265
; %bb.266:
	s_or_b32 exec_lo, exec_lo, s6
.LBB83_267:
	s_delay_alu instid0(SALU_CYCLE_1) | instskip(SKIP_3) | instid1(VALU_DEP_1)
	s_or_b32 exec_lo, exec_lo, s0
	v_and_b32_e32 v54, 7, v107
	s_mov_b32 s2, 0
	s_mov_b32 s0, exec_lo
	v_cmpx_ne_u32_e32 0, v54
	s_cbranch_execz .LBB83_271
; %bb.268:
	v_lshl_add_u32 v55, v106, 2, 0x50
	v_mov_b32_e32 v107, 0
.LBB83_269:                             ; =>This Inner Loop Header: Depth=1
	v_cmp_eq_u32_e32 vcc_lo, 1, v106
	ds_load_b32 v57, v55
	v_dual_add_nc_u32 v54, -1, v54 :: v_dual_add_nc_u32 v55, 4, v55
	v_cndmask_b32_e32 v56, v34, v35, vcc_lo
	v_cmp_eq_u32_e32 vcc_lo, 2, v106
	s_delay_alu instid0(VALU_DEP_2) | instskip(SKIP_1) | instid1(VALU_DEP_2)
	v_cndmask_b32_e32 v56, v56, v36, vcc_lo
	v_cmp_eq_u32_e32 vcc_lo, 3, v106
	v_cndmask_b32_e32 v56, v56, v37, vcc_lo
	v_cmp_eq_u32_e32 vcc_lo, 4, v106
	s_delay_alu instid0(VALU_DEP_2) | instskip(SKIP_1) | instid1(VALU_DEP_2)
	v_cndmask_b32_e32 v56, v56, v38, vcc_lo
	v_cmp_eq_u32_e32 vcc_lo, 5, v106
	;; [unrolled: 5-line block ×8, first 2 shown]
	v_cndmask_b32_e32 v56, v56, v51, vcc_lo
	v_cmp_eq_u32_e32 vcc_lo, 18, v106
	s_delay_alu instid0(VALU_DEP_2) | instskip(SKIP_2) | instid1(VALU_DEP_3)
	v_cndmask_b32_e32 v56, v56, v52, vcc_lo
	v_cmp_eq_u32_e32 vcc_lo, 19, v106
	v_add_nc_u64_e32 v[106:107], 1, v[106:107]
	v_cndmask_b32_e32 v56, v56, v53, vcc_lo
	v_cmp_eq_u32_e32 vcc_lo, 0, v54
	s_wait_dscnt 0x0
	s_delay_alu instid0(VALU_DEP_2) | instskip(SKIP_1) | instid1(SALU_CYCLE_1)
	v_fmac_f32_e32 v110, v56, v57
	s_or_b32 s2, vcc_lo, s2
	s_and_not1_b32 exec_lo, exec_lo, s2
	s_cbranch_execnz .LBB83_269
; %bb.270:
	s_or_b32 exec_lo, exec_lo, s2
.LBB83_271:
	s_delay_alu instid0(SALU_CYCLE_1)
	s_or_b32 exec_lo, exec_lo, s0
.LBB83_272:
	s_delay_alu instid0(SALU_CYCLE_1)
	s_or_b32 exec_lo, exec_lo, s5
	v_mov_b32_e32 v35, 0
	ds_load_b32 v35, v35 offset:4
	s_wait_dscnt 0x0
	v_mul_f32_e32 v35, v110, v35
.LBB83_273:
	s_or_b32 exec_lo, exec_lo, s4
	s_mov_b32 s2, 0
	s_mov_b32 s3, exec_lo
	ds_store_b32 v109, v34
	s_wait_dscnt 0x0
	s_barrier_signal -1
	s_barrier_wait -1
	v_cmpx_ne_u32_e32 0, v0
	s_cbranch_execz .LBB83_289
; %bb.274:
	s_and_not1_b32 vcc_lo, exec_lo, s24
	s_cbranch_vccnz .LBB83_276
; %bb.275:
	v_cmp_eq_u32_e32 vcc_lo, 1, v0
	ds_load_b32 v107, v109
	v_cndmask_b32_e32 v106, v34, v35, vcc_lo
	v_cmp_eq_u32_e32 vcc_lo, 2, v0
	s_delay_alu instid0(VALU_DEP_2) | instskip(SKIP_1) | instid1(VALU_DEP_2)
	v_cndmask_b32_e32 v106, v106, v36, vcc_lo
	v_cmp_eq_u32_e32 vcc_lo, 3, v0
	v_cndmask_b32_e32 v106, v106, v37, vcc_lo
	v_cmp_eq_u32_e32 vcc_lo, 4, v0
	s_delay_alu instid0(VALU_DEP_2) | instskip(SKIP_1) | instid1(VALU_DEP_2)
	v_cndmask_b32_e32 v106, v106, v38, vcc_lo
	v_cmp_eq_u32_e32 vcc_lo, 5, v0
	;; [unrolled: 5-line block ×9, first 2 shown]
	v_cndmask_b32_e32 v106, v106, v53, vcc_lo
	s_wait_dscnt 0x0
	s_delay_alu instid0(VALU_DEP_1)
	v_mul_f32_e32 v110, v106, v107
	s_cbranch_execz .LBB83_277
	s_branch .LBB83_278
.LBB83_276:
                                        ; implicit-def: $vgpr110
.LBB83_277:
	ds_load_b32 v110, v109
.LBB83_278:
	s_and_saveexec_b32 s4, s1
	s_cbranch_execz .LBB83_288
; %bb.279:
	v_dual_add_nc_u32 v106, -2, v0 :: v_dual_add_nc_u32 v107, -1, v0
	s_delay_alu instid0(VALU_DEP_1)
	v_cmp_lt_u32_e32 vcc_lo, 6, v106
	v_mov_b32_e32 v106, 1
	s_and_saveexec_b32 s5, vcc_lo
	s_cbranch_execz .LBB83_283
; %bb.280:
	v_and_b32_e32 v106, -8, v107
	s_mov_b32 s6, 0
	s_mov_b64 s[0:1], 8
	s_movk_i32 s7, 0x54
	s_delay_alu instid0(VALU_DEP_1)
	v_sub_nc_u32_e32 v108, 0, v106
.LBB83_281:                             ; =>This Inner Loop Header: Depth=1
	s_add_co_i32 m0, s0, -7
	v_movrels_b32_e32 v111, v34
	v_mov_b32_e32 v106, s7
	s_add_co_i32 m0, s0, -6
	s_add_co_i32 s7, s7, 32
	v_movrels_b32_e32 v120, v34
	ds_load_2addr_b32 v[112:113], v106 offset1:1
	ds_load_2addr_b32 v[114:115], v106 offset0:2 offset1:3
	s_add_co_i32 m0, s0, -5
	s_wait_dscnt 0x1
	v_fmac_f32_e32 v110, v111, v112
	ds_load_2addr_b32 v[116:117], v106 offset0:4 offset1:5
	ds_load_2addr_b32 v[118:119], v106 offset0:6 offset1:7
	v_movrels_b32_e32 v106, v34
	s_add_co_i32 m0, s0, -4
	v_fmac_f32_e32 v110, v120, v113
	v_movrels_b32_e32 v111, v34
	s_add_co_i32 m0, s0, -3
	s_wait_dscnt 0x2
	s_delay_alu instid0(VALU_DEP_2) | instskip(SKIP_2) | instid1(VALU_DEP_2)
	v_fmac_f32_e32 v110, v106, v114
	v_movrels_b32_e32 v106, v34
	s_add_co_i32 m0, s0, -2
	v_fmac_f32_e32 v110, v111, v115
	v_movrels_b32_e32 v111, v34
	s_add_co_i32 m0, s0, -1
	s_wait_dscnt 0x1
	s_delay_alu instid0(VALU_DEP_2)
	v_fmac_f32_e32 v110, v106, v116
	v_movrels_b32_e32 v106, v34
	s_mov_b32 m0, s0
	s_add_nc_u64 s[0:1], s[0:1], 8
	v_movrels_b32_e32 v112, v34
	v_dual_fmac_f32 v110, v111, v117 :: v_dual_add_nc_u32 v111, s0, v108
	s_add_co_i32 s8, s0, -7
	s_wait_dscnt 0x0
	s_delay_alu instid0(VALU_DEP_1) | instskip(NEXT) | instid1(VALU_DEP_2)
	v_fmac_f32_e32 v110, v106, v118
	v_cmp_eq_u32_e32 vcc_lo, 8, v111
	s_delay_alu instid0(VALU_DEP_2) | instskip(SKIP_1) | instid1(SALU_CYCLE_1)
	v_dual_mov_b32 v106, s8 :: v_dual_fmac_f32 v110, v112, v119
	s_or_b32 s6, vcc_lo, s6
	s_and_not1_b32 exec_lo, exec_lo, s6
	s_cbranch_execnz .LBB83_281
; %bb.282:
	s_or_b32 exec_lo, exec_lo, s6
.LBB83_283:
	s_delay_alu instid0(SALU_CYCLE_1) | instskip(SKIP_3) | instid1(VALU_DEP_1)
	s_or_b32 exec_lo, exec_lo, s5
	v_and_b32_e32 v54, 7, v107
	s_mov_b32 s1, 0
	s_mov_b32 s0, exec_lo
	v_cmpx_ne_u32_e32 0, v54
	s_cbranch_execz .LBB83_287
; %bb.284:
	v_lshl_add_u32 v55, v106, 2, 0x50
	v_mov_b32_e32 v107, 0
.LBB83_285:                             ; =>This Inner Loop Header: Depth=1
	v_cmp_eq_u32_e32 vcc_lo, 1, v106
	ds_load_b32 v57, v55
	v_dual_add_nc_u32 v54, -1, v54 :: v_dual_add_nc_u32 v55, 4, v55
	v_cndmask_b32_e32 v56, v34, v35, vcc_lo
	v_cmp_eq_u32_e32 vcc_lo, 2, v106
	s_delay_alu instid0(VALU_DEP_2) | instskip(SKIP_1) | instid1(VALU_DEP_2)
	v_cndmask_b32_e32 v56, v56, v36, vcc_lo
	v_cmp_eq_u32_e32 vcc_lo, 3, v106
	v_cndmask_b32_e32 v56, v56, v37, vcc_lo
	v_cmp_eq_u32_e32 vcc_lo, 4, v106
	s_delay_alu instid0(VALU_DEP_2) | instskip(SKIP_1) | instid1(VALU_DEP_2)
	v_cndmask_b32_e32 v56, v56, v38, vcc_lo
	v_cmp_eq_u32_e32 vcc_lo, 5, v106
	;; [unrolled: 5-line block ×8, first 2 shown]
	v_cndmask_b32_e32 v56, v56, v51, vcc_lo
	v_cmp_eq_u32_e32 vcc_lo, 18, v106
	s_delay_alu instid0(VALU_DEP_2) | instskip(SKIP_2) | instid1(VALU_DEP_3)
	v_cndmask_b32_e32 v56, v56, v52, vcc_lo
	v_cmp_eq_u32_e32 vcc_lo, 19, v106
	v_add_nc_u64_e32 v[106:107], 1, v[106:107]
	v_cndmask_b32_e32 v56, v56, v53, vcc_lo
	v_cmp_eq_u32_e32 vcc_lo, 0, v54
	s_wait_dscnt 0x0
	s_delay_alu instid0(VALU_DEP_2) | instskip(SKIP_1) | instid1(SALU_CYCLE_1)
	v_fmac_f32_e32 v110, v56, v57
	s_or_b32 s1, vcc_lo, s1
	s_and_not1_b32 exec_lo, exec_lo, s1
	s_cbranch_execnz .LBB83_285
; %bb.286:
	s_or_b32 exec_lo, exec_lo, s1
.LBB83_287:
	s_delay_alu instid0(SALU_CYCLE_1)
	s_or_b32 exec_lo, exec_lo, s0
.LBB83_288:
	s_delay_alu instid0(SALU_CYCLE_1)
	s_or_b32 exec_lo, exec_lo, s4
	v_mov_b32_e32 v34, 0
	ds_load_b32 v34, v34
	s_wait_dscnt 0x0
	v_mul_f32_e32 v34, v110, v34
.LBB83_289:
	s_or_b32 exec_lo, exec_lo, s3
	s_delay_alu instid0(SALU_CYCLE_1)
	s_and_b32 vcc_lo, exec_lo, s2
	s_cbranch_vccz .LBB83_483
.LBB83_290:
	v_cmp_eq_u32_e64 s0, 0, v0
	s_wait_loadcnt_dscnt 0x1314
	ds_store_b32 v109, v3
	s_wait_loadcnt_dscnt 0x0
	s_barrier_signal -1
	s_barrier_wait -1
	s_and_saveexec_b32 s1, s0
	s_cbranch_execz .LBB83_296
; %bb.291:
	s_and_b32 vcc_lo, exec_lo, s24
	s_cbranch_vccz .LBB83_293
; %bb.292:
	v_cmp_eq_u32_e32 vcc_lo, 1, v0
	ds_load_b32 v22, v109
	v_cndmask_b32_e32 v3, v2, v3, vcc_lo
	v_cmp_eq_u32_e32 vcc_lo, 2, v0
	s_delay_alu instid0(VALU_DEP_2) | instskip(SKIP_1) | instid1(VALU_DEP_2)
	v_cndmask_b32_e32 v3, v3, v4, vcc_lo
	v_cmp_eq_u32_e32 vcc_lo, 3, v0
	v_cndmask_b32_e32 v3, v3, v5, vcc_lo
	v_cmp_eq_u32_e32 vcc_lo, 4, v0
	s_delay_alu instid0(VALU_DEP_2) | instskip(SKIP_1) | instid1(VALU_DEP_2)
	v_cndmask_b32_e32 v3, v3, v6, vcc_lo
	v_cmp_eq_u32_e32 vcc_lo, 5, v0
	;; [unrolled: 5-line block ×9, first 2 shown]
	v_cndmask_b32_e32 v3, v3, v21, vcc_lo
	s_wait_dscnt 0x0
	s_delay_alu instid0(VALU_DEP_1)
	v_mul_f32_e32 v3, v3, v22
	s_cbranch_execz .LBB83_294
	s_branch .LBB83_295
.LBB83_293:
                                        ; implicit-def: $vgpr3
.LBB83_294:
	ds_load_b32 v3, v109
.LBB83_295:
	v_mov_b32_e32 v22, 0
	ds_load_b32 v22, v22 offset:4
	s_wait_dscnt 0x0
	v_mul_f32_e32 v3, v3, v22
.LBB83_296:
	s_or_b32 exec_lo, exec_lo, s1
	v_cndmask_b32_e64 v34, 0, 1, s24
	s_mov_b32 s1, exec_lo
	ds_store_b32 v109, v4
	s_wait_dscnt 0x0
	s_barrier_signal -1
	s_barrier_wait -1
	v_cmpx_gt_u32_e32 2, v0
	s_cbranch_execz .LBB83_302
; %bb.297:
	s_and_not1_b32 vcc_lo, exec_lo, s24
	s_cbranch_vccnz .LBB83_299
; %bb.298:
	v_cmp_eq_u32_e32 vcc_lo, 1, v0
	v_cndmask_b32_e32 v22, v2, v3, vcc_lo
	v_cmp_eq_u32_e32 vcc_lo, 2, v0
	s_delay_alu instid0(VALU_DEP_2) | instskip(SKIP_4) | instid1(VALU_DEP_2)
	v_cndmask_b32_e32 v4, v22, v4, vcc_lo
	v_cmp_eq_u32_e32 vcc_lo, 3, v0
	ds_load_b32 v22, v109
	v_cndmask_b32_e32 v4, v4, v5, vcc_lo
	v_cmp_eq_u32_e32 vcc_lo, 4, v0
	v_cndmask_b32_e32 v4, v4, v6, vcc_lo
	v_cmp_eq_u32_e32 vcc_lo, 5, v0
	s_delay_alu instid0(VALU_DEP_2) | instskip(SKIP_1) | instid1(VALU_DEP_2)
	v_cndmask_b32_e32 v4, v4, v7, vcc_lo
	v_cmp_eq_u32_e32 vcc_lo, 6, v0
	v_cndmask_b32_e32 v4, v4, v8, vcc_lo
	v_cmp_eq_u32_e32 vcc_lo, 7, v0
	s_delay_alu instid0(VALU_DEP_2) | instskip(SKIP_1) | instid1(VALU_DEP_2)
	;; [unrolled: 5-line block ×7, first 2 shown]
	v_cndmask_b32_e32 v4, v4, v19, vcc_lo
	v_cmp_eq_u32_e32 vcc_lo, 18, v0
	v_cndmask_b32_e32 v4, v4, v20, vcc_lo
	v_cmp_eq_u32_e32 vcc_lo, 19, v0
	s_delay_alu instid0(VALU_DEP_2) | instskip(SKIP_1) | instid1(VALU_DEP_1)
	v_cndmask_b32_e32 v4, v4, v21, vcc_lo
	s_wait_dscnt 0x0
	v_mul_f32_e32 v4, v4, v22
	s_cbranch_execz .LBB83_300
	s_branch .LBB83_301
.LBB83_299:
                                        ; implicit-def: $vgpr4
.LBB83_300:
	ds_load_b32 v4, v109
.LBB83_301:
	v_mov_b32_e32 v22, 0
	ds_load_2addr_b32 v[22:23], v22 offset0:2 offset1:21
	s_wait_dscnt 0x0
	v_fma_f32 v23, v3, v23, v4
	s_delay_alu instid0(VALU_DEP_1) | instskip(NEXT) | instid1(VALU_DEP_1)
	v_cndmask_b32_e64 v4, v4, v23, s0
	v_mul_f32_e32 v4, v4, v22
.LBB83_302:
	s_or_b32 exec_lo, exec_lo, s1
	v_add_nc_u32_e32 v35, 1, v0
	v_cmp_gt_u32_e64 s1, 3, v0
	ds_store_b32 v109, v5
	s_wait_dscnt 0x0
	s_barrier_signal -1
	s_barrier_wait -1
	s_and_saveexec_b32 s2, s1
	s_cbranch_execz .LBB83_310
; %bb.303:
	v_cmp_ne_u32_e32 vcc_lo, 1, v34
	s_cbranch_vccnz .LBB83_305
; %bb.304:
	v_cmp_eq_u32_e32 vcc_lo, 1, v0
	ds_load_b32 v23, v109
	v_cndmask_b32_e32 v22, v2, v3, vcc_lo
	v_cmp_eq_u32_e32 vcc_lo, 2, v0
	s_delay_alu instid0(VALU_DEP_2) | instskip(SKIP_1) | instid1(VALU_DEP_2)
	v_cndmask_b32_e32 v22, v22, v4, vcc_lo
	v_cmp_eq_u32_e32 vcc_lo, 3, v0
	v_cndmask_b32_e32 v22, v22, v5, vcc_lo
	v_cmp_eq_u32_e32 vcc_lo, 4, v0
	s_delay_alu instid0(VALU_DEP_2) | instskip(SKIP_1) | instid1(VALU_DEP_2)
	v_cndmask_b32_e32 v22, v22, v6, vcc_lo
	v_cmp_eq_u32_e32 vcc_lo, 5, v0
	;; [unrolled: 5-line block ×9, first 2 shown]
	v_cndmask_b32_e32 v22, v22, v21, vcc_lo
	s_wait_dscnt 0x0
	s_delay_alu instid0(VALU_DEP_1)
	v_mul_f32_e32 v22, v22, v23
	s_cbranch_execz .LBB83_306
	s_branch .LBB83_307
.LBB83_305:
                                        ; implicit-def: $vgpr22
.LBB83_306:
	ds_load_b32 v22, v109
.LBB83_307:
	s_mov_b32 s3, exec_lo
	v_cmpx_ne_u32_e32 2, v0
	s_cbranch_execz .LBB83_309
; %bb.308:
	v_cmp_eq_u32_e32 vcc_lo, 1, v35
	v_dual_mov_b32 v24, 0 :: v_dual_cndmask_b32 v23, v2, v3
	v_cmp_eq_u32_e32 vcc_lo, 2, v35
	ds_load_b32 v24, v24 offset:88
	v_cndmask_b32_e32 v23, v23, v4, vcc_lo
	v_cmp_eq_u32_e32 vcc_lo, 3, v35
	s_delay_alu instid0(VALU_DEP_2) | instskip(SKIP_4) | instid1(VALU_DEP_2)
	v_cndmask_b32_e32 v5, v23, v5, vcc_lo
	v_cmp_eq_u32_e32 vcc_lo, 4, v35
	ds_load_b32 v23, v109 offset:4
	v_cndmask_b32_e32 v5, v5, v6, vcc_lo
	v_cmp_eq_u32_e32 vcc_lo, 5, v35
	v_cndmask_b32_e32 v5, v5, v7, vcc_lo
	v_cmp_eq_u32_e32 vcc_lo, 6, v35
	s_delay_alu instid0(VALU_DEP_2) | instskip(SKIP_1) | instid1(VALU_DEP_2)
	v_cndmask_b32_e32 v5, v5, v8, vcc_lo
	v_cmp_eq_u32_e32 vcc_lo, 7, v35
	v_cndmask_b32_e32 v5, v5, v9, vcc_lo
	v_cmp_eq_u32_e32 vcc_lo, 8, v35
	s_delay_alu instid0(VALU_DEP_2) | instskip(SKIP_1) | instid1(VALU_DEP_2)
	;; [unrolled: 5-line block ×7, first 2 shown]
	v_cndmask_b32_e32 v5, v5, v20, vcc_lo
	v_cmp_eq_u32_e32 vcc_lo, 19, v35
	v_cndmask_b32_e32 v5, v5, v21, vcc_lo
	s_wait_dscnt 0x0
	s_delay_alu instid0(VALU_DEP_1) | instskip(NEXT) | instid1(VALU_DEP_1)
	v_fmac_f32_e32 v22, v5, v23
	v_fma_f32 v5, v4, v24, v22
	s_delay_alu instid0(VALU_DEP_1)
	v_cndmask_b32_e64 v22, v22, v5, s0
.LBB83_309:
	s_or_b32 exec_lo, exec_lo, s3
	v_mov_b32_e32 v5, 0
	ds_load_b32 v5, v5 offset:12
	s_wait_dscnt 0x0
	v_mul_f32_e32 v5, v22, v5
.LBB83_310:
	s_or_b32 exec_lo, exec_lo, s2
	s_delay_alu instid0(SALU_CYCLE_1)
	s_mov_b32 s2, exec_lo
	ds_store_b32 v109, v6
	s_wait_dscnt 0x0
	s_barrier_signal -1
	s_barrier_wait -1
	v_cmpx_gt_u32_e32 4, v0
	s_cbranch_execz .LBB83_320
; %bb.311:
	v_cmp_ne_u32_e32 vcc_lo, 1, v34
	s_cbranch_vccnz .LBB83_313
; %bb.312:
	v_cmp_eq_u32_e32 vcc_lo, 1, v0
	ds_load_b32 v23, v109
	v_cndmask_b32_e32 v22, v2, v3, vcc_lo
	v_cmp_eq_u32_e32 vcc_lo, 2, v0
	s_delay_alu instid0(VALU_DEP_2) | instskip(SKIP_1) | instid1(VALU_DEP_2)
	v_cndmask_b32_e32 v22, v22, v4, vcc_lo
	v_cmp_eq_u32_e32 vcc_lo, 3, v0
	v_cndmask_b32_e32 v22, v22, v5, vcc_lo
	v_cmp_eq_u32_e32 vcc_lo, 4, v0
	s_delay_alu instid0(VALU_DEP_2) | instskip(SKIP_1) | instid1(VALU_DEP_2)
	v_cndmask_b32_e32 v22, v22, v6, vcc_lo
	v_cmp_eq_u32_e32 vcc_lo, 5, v0
	;; [unrolled: 5-line block ×9, first 2 shown]
	v_cndmask_b32_e32 v22, v22, v21, vcc_lo
	s_wait_dscnt 0x0
	s_delay_alu instid0(VALU_DEP_1)
	v_mul_f32_e32 v24, v22, v23
	s_cbranch_execz .LBB83_314
	s_branch .LBB83_315
.LBB83_313:
                                        ; implicit-def: $vgpr24
.LBB83_314:
	ds_load_b32 v24, v109
.LBB83_315:
	s_mov_b32 s3, exec_lo
	v_cmpx_ne_u32_e32 3, v0
	s_cbranch_execz .LBB83_319
; %bb.316:
	v_mov_b64_e32 v[22:23], v[0:1]
	v_lshl_add_u32 v25, v0, 2, 0x54
	s_mov_b32 s4, 0
.LBB83_317:                             ; =>This Inner Loop Header: Depth=1
	s_delay_alu instid0(VALU_DEP_2)
	v_add_nc_u64_e32 v[22:23], 1, v[22:23]
	ds_load_b32 v27, v25
	v_add_nc_u32_e32 v25, 4, v25
	v_cmp_eq_u32_e32 vcc_lo, 1, v22
	v_cndmask_b32_e32 v26, v2, v3, vcc_lo
	v_cmp_eq_u32_e32 vcc_lo, 2, v22
	s_delay_alu instid0(VALU_DEP_2) | instskip(SKIP_1) | instid1(VALU_DEP_2)
	v_cndmask_b32_e32 v26, v26, v4, vcc_lo
	v_cmp_eq_u32_e32 vcc_lo, 3, v22
	v_cndmask_b32_e32 v26, v26, v5, vcc_lo
	v_cmp_eq_u32_e32 vcc_lo, 4, v22
	s_delay_alu instid0(VALU_DEP_2) | instskip(SKIP_1) | instid1(VALU_DEP_2)
	v_cndmask_b32_e32 v26, v26, v6, vcc_lo
	;; [unrolled: 5-line block ×9, first 2 shown]
	v_cmp_eq_u32_e32 vcc_lo, 19, v22
	v_cndmask_b32_e32 v26, v26, v21, vcc_lo
	v_cmp_lt_u32_e32 vcc_lo, 2, v22
	s_wait_dscnt 0x0
	s_delay_alu instid0(VALU_DEP_2) | instskip(SKIP_1) | instid1(SALU_CYCLE_1)
	v_fmac_f32_e32 v24, v26, v27
	s_or_b32 s4, vcc_lo, s4
	s_and_not1_b32 exec_lo, exec_lo, s4
	s_cbranch_execnz .LBB83_317
; %bb.318:
	s_or_b32 exec_lo, exec_lo, s4
.LBB83_319:
	s_delay_alu instid0(SALU_CYCLE_1)
	s_or_b32 exec_lo, exec_lo, s3
	v_mov_b32_e32 v6, 0
	ds_load_b32 v6, v6 offset:16
	s_wait_dscnt 0x0
	v_mul_f32_e32 v6, v24, v6
.LBB83_320:
	s_or_b32 exec_lo, exec_lo, s2
	v_cmp_gt_u32_e64 s2, 5, v0
	ds_store_b32 v109, v7
	s_wait_dscnt 0x0
	s_barrier_signal -1
	s_barrier_wait -1
	s_and_saveexec_b32 s3, s2
	s_cbranch_execz .LBB83_330
; %bb.321:
	v_cmp_ne_u32_e32 vcc_lo, 1, v34
	s_cbranch_vccnz .LBB83_323
; %bb.322:
	v_cmp_eq_u32_e32 vcc_lo, 1, v0
	ds_load_b32 v23, v109
	v_cndmask_b32_e32 v22, v2, v3, vcc_lo
	v_cmp_eq_u32_e32 vcc_lo, 2, v0
	s_delay_alu instid0(VALU_DEP_2) | instskip(SKIP_1) | instid1(VALU_DEP_2)
	v_cndmask_b32_e32 v22, v22, v4, vcc_lo
	v_cmp_eq_u32_e32 vcc_lo, 3, v0
	v_cndmask_b32_e32 v22, v22, v5, vcc_lo
	v_cmp_eq_u32_e32 vcc_lo, 4, v0
	s_delay_alu instid0(VALU_DEP_2) | instskip(SKIP_1) | instid1(VALU_DEP_2)
	v_cndmask_b32_e32 v22, v22, v6, vcc_lo
	v_cmp_eq_u32_e32 vcc_lo, 5, v0
	;; [unrolled: 5-line block ×9, first 2 shown]
	v_cndmask_b32_e32 v22, v22, v21, vcc_lo
	s_wait_dscnt 0x0
	s_delay_alu instid0(VALU_DEP_1)
	v_mul_f32_e32 v24, v22, v23
	s_cbranch_execz .LBB83_324
	s_branch .LBB83_325
.LBB83_323:
                                        ; implicit-def: $vgpr24
.LBB83_324:
	ds_load_b32 v24, v109
.LBB83_325:
	s_mov_b32 s4, exec_lo
	v_cmpx_ne_u32_e32 4, v0
	s_cbranch_execz .LBB83_329
; %bb.326:
	v_mov_b64_e32 v[22:23], v[0:1]
	v_lshl_add_u32 v25, v0, 2, 0x54
	s_mov_b32 s5, 0
.LBB83_327:                             ; =>This Inner Loop Header: Depth=1
	s_delay_alu instid0(VALU_DEP_2)
	v_add_nc_u64_e32 v[22:23], 1, v[22:23]
	ds_load_b32 v27, v25
	v_add_nc_u32_e32 v25, 4, v25
	v_cmp_eq_u32_e32 vcc_lo, 1, v22
	v_cndmask_b32_e32 v26, v2, v3, vcc_lo
	v_cmp_eq_u32_e32 vcc_lo, 2, v22
	s_delay_alu instid0(VALU_DEP_2) | instskip(SKIP_1) | instid1(VALU_DEP_2)
	v_cndmask_b32_e32 v26, v26, v4, vcc_lo
	v_cmp_eq_u32_e32 vcc_lo, 3, v22
	v_cndmask_b32_e32 v26, v26, v5, vcc_lo
	v_cmp_eq_u32_e32 vcc_lo, 4, v22
	s_delay_alu instid0(VALU_DEP_2) | instskip(SKIP_1) | instid1(VALU_DEP_2)
	v_cndmask_b32_e32 v26, v26, v6, vcc_lo
	;; [unrolled: 5-line block ×9, first 2 shown]
	v_cmp_eq_u32_e32 vcc_lo, 19, v22
	v_cndmask_b32_e32 v26, v26, v21, vcc_lo
	v_cmp_lt_u32_e32 vcc_lo, 3, v22
	s_wait_dscnt 0x0
	s_delay_alu instid0(VALU_DEP_2) | instskip(SKIP_1) | instid1(SALU_CYCLE_1)
	v_fmac_f32_e32 v24, v26, v27
	s_or_b32 s5, vcc_lo, s5
	s_and_not1_b32 exec_lo, exec_lo, s5
	s_cbranch_execnz .LBB83_327
; %bb.328:
	s_or_b32 exec_lo, exec_lo, s5
.LBB83_329:
	s_delay_alu instid0(SALU_CYCLE_1)
	s_or_b32 exec_lo, exec_lo, s4
	v_mov_b32_e32 v7, 0
	ds_load_b32 v7, v7 offset:20
	s_wait_dscnt 0x0
	v_mul_f32_e32 v7, v24, v7
.LBB83_330:
	s_or_b32 exec_lo, exec_lo, s3
	s_delay_alu instid0(SALU_CYCLE_1)
	s_mov_b32 s3, exec_lo
	ds_store_b32 v109, v8
	s_wait_dscnt 0x0
	s_barrier_signal -1
	s_barrier_wait -1
	v_cmpx_gt_u32_e32 6, v0
	s_cbranch_execz .LBB83_340
; %bb.331:
	v_cmp_ne_u32_e32 vcc_lo, 1, v34
	s_cbranch_vccnz .LBB83_333
; %bb.332:
	v_cmp_eq_u32_e32 vcc_lo, 1, v0
	ds_load_b32 v23, v109
	v_cndmask_b32_e32 v22, v2, v3, vcc_lo
	v_cmp_eq_u32_e32 vcc_lo, 2, v0
	s_delay_alu instid0(VALU_DEP_2) | instskip(SKIP_1) | instid1(VALU_DEP_2)
	v_cndmask_b32_e32 v22, v22, v4, vcc_lo
	v_cmp_eq_u32_e32 vcc_lo, 3, v0
	v_cndmask_b32_e32 v22, v22, v5, vcc_lo
	v_cmp_eq_u32_e32 vcc_lo, 4, v0
	s_delay_alu instid0(VALU_DEP_2) | instskip(SKIP_1) | instid1(VALU_DEP_2)
	v_cndmask_b32_e32 v22, v22, v6, vcc_lo
	v_cmp_eq_u32_e32 vcc_lo, 5, v0
	v_cndmask_b32_e32 v22, v22, v7, vcc_lo
	v_cmp_eq_u32_e32 vcc_lo, 6, v0
	s_delay_alu instid0(VALU_DEP_2) | instskip(SKIP_1) | instid1(VALU_DEP_2)
	v_cndmask_b32_e32 v22, v22, v8, vcc_lo
	v_cmp_eq_u32_e32 vcc_lo, 7, v0
	v_cndmask_b32_e32 v22, v22, v9, vcc_lo
	v_cmp_eq_u32_e32 vcc_lo, 8, v0
	s_delay_alu instid0(VALU_DEP_2) | instskip(SKIP_1) | instid1(VALU_DEP_2)
	v_cndmask_b32_e32 v22, v22, v10, vcc_lo
	v_cmp_eq_u32_e32 vcc_lo, 9, v0
	v_cndmask_b32_e32 v22, v22, v11, vcc_lo
	v_cmp_eq_u32_e32 vcc_lo, 10, v0
	s_delay_alu instid0(VALU_DEP_2) | instskip(SKIP_1) | instid1(VALU_DEP_2)
	v_cndmask_b32_e32 v22, v22, v12, vcc_lo
	v_cmp_eq_u32_e32 vcc_lo, 11, v0
	v_cndmask_b32_e32 v22, v22, v13, vcc_lo
	v_cmp_eq_u32_e32 vcc_lo, 12, v0
	s_delay_alu instid0(VALU_DEP_2) | instskip(SKIP_1) | instid1(VALU_DEP_2)
	v_cndmask_b32_e32 v22, v22, v14, vcc_lo
	v_cmp_eq_u32_e32 vcc_lo, 13, v0
	v_cndmask_b32_e32 v22, v22, v15, vcc_lo
	v_cmp_eq_u32_e32 vcc_lo, 14, v0
	s_delay_alu instid0(VALU_DEP_2) | instskip(SKIP_1) | instid1(VALU_DEP_2)
	v_cndmask_b32_e32 v22, v22, v16, vcc_lo
	v_cmp_eq_u32_e32 vcc_lo, 15, v0
	v_cndmask_b32_e32 v22, v22, v17, vcc_lo
	v_cmp_eq_u32_e32 vcc_lo, 16, v0
	s_delay_alu instid0(VALU_DEP_2) | instskip(SKIP_1) | instid1(VALU_DEP_2)
	v_cndmask_b32_e32 v22, v22, v18, vcc_lo
	v_cmp_eq_u32_e32 vcc_lo, 17, v0
	v_cndmask_b32_e32 v22, v22, v19, vcc_lo
	v_cmp_eq_u32_e32 vcc_lo, 18, v0
	s_delay_alu instid0(VALU_DEP_2) | instskip(SKIP_1) | instid1(VALU_DEP_2)
	v_cndmask_b32_e32 v22, v22, v20, vcc_lo
	v_cmp_eq_u32_e32 vcc_lo, 19, v0
	v_cndmask_b32_e32 v22, v22, v21, vcc_lo
	s_wait_dscnt 0x0
	s_delay_alu instid0(VALU_DEP_1)
	v_mul_f32_e32 v24, v22, v23
	s_cbranch_execz .LBB83_334
	s_branch .LBB83_335
.LBB83_333:
                                        ; implicit-def: $vgpr24
.LBB83_334:
	ds_load_b32 v24, v109
.LBB83_335:
	s_mov_b32 s4, exec_lo
	v_cmpx_ne_u32_e32 5, v0
	s_cbranch_execz .LBB83_339
; %bb.336:
	v_mov_b64_e32 v[22:23], v[0:1]
	v_lshl_add_u32 v25, v0, 2, 0x54
	s_mov_b32 s5, 0
.LBB83_337:                             ; =>This Inner Loop Header: Depth=1
	s_delay_alu instid0(VALU_DEP_2)
	v_add_nc_u64_e32 v[22:23], 1, v[22:23]
	ds_load_b32 v27, v25
	v_add_nc_u32_e32 v25, 4, v25
	v_cmp_eq_u32_e32 vcc_lo, 1, v22
	v_cndmask_b32_e32 v26, v2, v3, vcc_lo
	v_cmp_eq_u32_e32 vcc_lo, 2, v22
	s_delay_alu instid0(VALU_DEP_2) | instskip(SKIP_1) | instid1(VALU_DEP_2)
	v_cndmask_b32_e32 v26, v26, v4, vcc_lo
	v_cmp_eq_u32_e32 vcc_lo, 3, v22
	v_cndmask_b32_e32 v26, v26, v5, vcc_lo
	v_cmp_eq_u32_e32 vcc_lo, 4, v22
	s_delay_alu instid0(VALU_DEP_2) | instskip(SKIP_1) | instid1(VALU_DEP_2)
	v_cndmask_b32_e32 v26, v26, v6, vcc_lo
	;; [unrolled: 5-line block ×9, first 2 shown]
	v_cmp_eq_u32_e32 vcc_lo, 19, v22
	v_cndmask_b32_e32 v26, v26, v21, vcc_lo
	v_cmp_lt_u32_e32 vcc_lo, 4, v22
	s_wait_dscnt 0x0
	s_delay_alu instid0(VALU_DEP_2) | instskip(SKIP_1) | instid1(SALU_CYCLE_1)
	v_fmac_f32_e32 v24, v26, v27
	s_or_b32 s5, vcc_lo, s5
	s_and_not1_b32 exec_lo, exec_lo, s5
	s_cbranch_execnz .LBB83_337
; %bb.338:
	s_or_b32 exec_lo, exec_lo, s5
.LBB83_339:
	s_delay_alu instid0(SALU_CYCLE_1)
	s_or_b32 exec_lo, exec_lo, s4
	v_mov_b32_e32 v8, 0
	ds_load_b32 v8, v8 offset:24
	s_wait_dscnt 0x0
	v_mul_f32_e32 v8, v24, v8
.LBB83_340:
	s_or_b32 exec_lo, exec_lo, s3
	v_cmp_gt_u32_e64 s3, 7, v0
	ds_store_b32 v109, v9
	s_wait_dscnt 0x0
	s_barrier_signal -1
	s_barrier_wait -1
	s_and_saveexec_b32 s4, s3
	s_cbranch_execz .LBB83_350
; %bb.341:
	v_cmp_ne_u32_e32 vcc_lo, 1, v34
	s_cbranch_vccnz .LBB83_343
; %bb.342:
	v_cmp_eq_u32_e32 vcc_lo, 1, v0
	ds_load_b32 v23, v109
	v_cndmask_b32_e32 v22, v2, v3, vcc_lo
	v_cmp_eq_u32_e32 vcc_lo, 2, v0
	s_delay_alu instid0(VALU_DEP_2) | instskip(SKIP_1) | instid1(VALU_DEP_2)
	v_cndmask_b32_e32 v22, v22, v4, vcc_lo
	v_cmp_eq_u32_e32 vcc_lo, 3, v0
	v_cndmask_b32_e32 v22, v22, v5, vcc_lo
	v_cmp_eq_u32_e32 vcc_lo, 4, v0
	s_delay_alu instid0(VALU_DEP_2) | instskip(SKIP_1) | instid1(VALU_DEP_2)
	v_cndmask_b32_e32 v22, v22, v6, vcc_lo
	v_cmp_eq_u32_e32 vcc_lo, 5, v0
	;; [unrolled: 5-line block ×9, first 2 shown]
	v_cndmask_b32_e32 v22, v22, v21, vcc_lo
	s_wait_dscnt 0x0
	s_delay_alu instid0(VALU_DEP_1)
	v_mul_f32_e32 v24, v22, v23
	s_cbranch_execz .LBB83_344
	s_branch .LBB83_345
.LBB83_343:
                                        ; implicit-def: $vgpr24
.LBB83_344:
	ds_load_b32 v24, v109
.LBB83_345:
	s_mov_b32 s5, exec_lo
	v_cmpx_ne_u32_e32 6, v0
	s_cbranch_execz .LBB83_349
; %bb.346:
	v_mov_b64_e32 v[22:23], v[0:1]
	v_lshl_add_u32 v25, v0, 2, 0x54
	s_mov_b32 s6, 0
.LBB83_347:                             ; =>This Inner Loop Header: Depth=1
	s_delay_alu instid0(VALU_DEP_2)
	v_add_nc_u64_e32 v[22:23], 1, v[22:23]
	ds_load_b32 v27, v25
	v_add_nc_u32_e32 v25, 4, v25
	v_cmp_eq_u32_e32 vcc_lo, 1, v22
	v_cndmask_b32_e32 v26, v2, v3, vcc_lo
	v_cmp_eq_u32_e32 vcc_lo, 2, v22
	s_delay_alu instid0(VALU_DEP_2) | instskip(SKIP_1) | instid1(VALU_DEP_2)
	v_cndmask_b32_e32 v26, v26, v4, vcc_lo
	v_cmp_eq_u32_e32 vcc_lo, 3, v22
	v_cndmask_b32_e32 v26, v26, v5, vcc_lo
	v_cmp_eq_u32_e32 vcc_lo, 4, v22
	s_delay_alu instid0(VALU_DEP_2) | instskip(SKIP_1) | instid1(VALU_DEP_2)
	v_cndmask_b32_e32 v26, v26, v6, vcc_lo
	;; [unrolled: 5-line block ×9, first 2 shown]
	v_cmp_eq_u32_e32 vcc_lo, 19, v22
	v_cndmask_b32_e32 v26, v26, v21, vcc_lo
	v_cmp_lt_u32_e32 vcc_lo, 5, v22
	s_wait_dscnt 0x0
	s_delay_alu instid0(VALU_DEP_2) | instskip(SKIP_1) | instid1(SALU_CYCLE_1)
	v_fmac_f32_e32 v24, v26, v27
	s_or_b32 s6, vcc_lo, s6
	s_and_not1_b32 exec_lo, exec_lo, s6
	s_cbranch_execnz .LBB83_347
; %bb.348:
	s_or_b32 exec_lo, exec_lo, s6
.LBB83_349:
	s_delay_alu instid0(SALU_CYCLE_1)
	s_or_b32 exec_lo, exec_lo, s5
	v_mov_b32_e32 v9, 0
	ds_load_b32 v9, v9 offset:28
	s_wait_dscnt 0x0
	v_mul_f32_e32 v9, v24, v9
.LBB83_350:
	s_or_b32 exec_lo, exec_lo, s4
	s_delay_alu instid0(SALU_CYCLE_1)
	s_mov_b32 s4, exec_lo
	ds_store_b32 v109, v10
	s_wait_dscnt 0x0
	s_barrier_signal -1
	s_barrier_wait -1
	v_cmpx_gt_u32_e32 8, v0
	s_cbranch_execz .LBB83_360
; %bb.351:
	v_cmp_ne_u32_e32 vcc_lo, 1, v34
	s_cbranch_vccnz .LBB83_353
; %bb.352:
	v_cmp_eq_u32_e32 vcc_lo, 1, v0
	ds_load_b32 v23, v109
	v_cndmask_b32_e32 v22, v2, v3, vcc_lo
	v_cmp_eq_u32_e32 vcc_lo, 2, v0
	s_delay_alu instid0(VALU_DEP_2) | instskip(SKIP_1) | instid1(VALU_DEP_2)
	v_cndmask_b32_e32 v22, v22, v4, vcc_lo
	v_cmp_eq_u32_e32 vcc_lo, 3, v0
	v_cndmask_b32_e32 v22, v22, v5, vcc_lo
	v_cmp_eq_u32_e32 vcc_lo, 4, v0
	s_delay_alu instid0(VALU_DEP_2) | instskip(SKIP_1) | instid1(VALU_DEP_2)
	v_cndmask_b32_e32 v22, v22, v6, vcc_lo
	v_cmp_eq_u32_e32 vcc_lo, 5, v0
	;; [unrolled: 5-line block ×9, first 2 shown]
	v_cndmask_b32_e32 v22, v22, v21, vcc_lo
	s_wait_dscnt 0x0
	s_delay_alu instid0(VALU_DEP_1)
	v_mul_f32_e32 v24, v22, v23
	s_cbranch_execz .LBB83_354
	s_branch .LBB83_355
.LBB83_353:
                                        ; implicit-def: $vgpr24
.LBB83_354:
	ds_load_b32 v24, v109
.LBB83_355:
	s_mov_b32 s5, exec_lo
	v_cmpx_ne_u32_e32 7, v0
	s_cbranch_execz .LBB83_359
; %bb.356:
	v_mov_b64_e32 v[22:23], v[0:1]
	v_lshl_add_u32 v25, v0, 2, 0x54
	s_mov_b32 s6, 0
.LBB83_357:                             ; =>This Inner Loop Header: Depth=1
	s_delay_alu instid0(VALU_DEP_2)
	v_add_nc_u64_e32 v[22:23], 1, v[22:23]
	ds_load_b32 v27, v25
	v_add_nc_u32_e32 v25, 4, v25
	v_cmp_eq_u32_e32 vcc_lo, 1, v22
	v_cndmask_b32_e32 v26, v2, v3, vcc_lo
	v_cmp_eq_u32_e32 vcc_lo, 2, v22
	s_delay_alu instid0(VALU_DEP_2) | instskip(SKIP_1) | instid1(VALU_DEP_2)
	v_cndmask_b32_e32 v26, v26, v4, vcc_lo
	v_cmp_eq_u32_e32 vcc_lo, 3, v22
	v_cndmask_b32_e32 v26, v26, v5, vcc_lo
	v_cmp_eq_u32_e32 vcc_lo, 4, v22
	s_delay_alu instid0(VALU_DEP_2) | instskip(SKIP_1) | instid1(VALU_DEP_2)
	v_cndmask_b32_e32 v26, v26, v6, vcc_lo
	;; [unrolled: 5-line block ×9, first 2 shown]
	v_cmp_eq_u32_e32 vcc_lo, 19, v22
	v_cndmask_b32_e32 v26, v26, v21, vcc_lo
	v_cmp_lt_u32_e32 vcc_lo, 6, v22
	s_wait_dscnt 0x0
	s_delay_alu instid0(VALU_DEP_2) | instskip(SKIP_1) | instid1(SALU_CYCLE_1)
	v_fmac_f32_e32 v24, v26, v27
	s_or_b32 s6, vcc_lo, s6
	s_and_not1_b32 exec_lo, exec_lo, s6
	s_cbranch_execnz .LBB83_357
; %bb.358:
	s_or_b32 exec_lo, exec_lo, s6
.LBB83_359:
	s_delay_alu instid0(SALU_CYCLE_1)
	s_or_b32 exec_lo, exec_lo, s5
	v_mov_b32_e32 v10, 0
	ds_load_b32 v10, v10 offset:32
	s_wait_dscnt 0x0
	v_mul_f32_e32 v10, v24, v10
.LBB83_360:
	s_or_b32 exec_lo, exec_lo, s4
	s_delay_alu instid0(SALU_CYCLE_1)
	s_mov_b32 s4, exec_lo
	ds_store_b32 v109, v11
	s_wait_dscnt 0x0
	s_barrier_signal -1
	s_barrier_wait -1
	v_cmpx_gt_u32_e32 9, v0
	s_cbranch_execz .LBB83_382
; %bb.361:
	v_cmp_ne_u32_e32 vcc_lo, 1, v34
	s_cbranch_vccnz .LBB83_363
; %bb.362:
	v_cmp_eq_u32_e32 vcc_lo, 1, v0
	ds_load_b32 v23, v109
	v_cndmask_b32_e32 v22, v2, v3, vcc_lo
	v_cmp_eq_u32_e32 vcc_lo, 2, v0
	s_delay_alu instid0(VALU_DEP_2) | instskip(SKIP_1) | instid1(VALU_DEP_2)
	v_cndmask_b32_e32 v22, v22, v4, vcc_lo
	v_cmp_eq_u32_e32 vcc_lo, 3, v0
	v_cndmask_b32_e32 v22, v22, v5, vcc_lo
	v_cmp_eq_u32_e32 vcc_lo, 4, v0
	s_delay_alu instid0(VALU_DEP_2) | instskip(SKIP_1) | instid1(VALU_DEP_2)
	v_cndmask_b32_e32 v22, v22, v6, vcc_lo
	v_cmp_eq_u32_e32 vcc_lo, 5, v0
	v_cndmask_b32_e32 v22, v22, v7, vcc_lo
	v_cmp_eq_u32_e32 vcc_lo, 6, v0
	s_delay_alu instid0(VALU_DEP_2) | instskip(SKIP_1) | instid1(VALU_DEP_2)
	v_cndmask_b32_e32 v22, v22, v8, vcc_lo
	v_cmp_eq_u32_e32 vcc_lo, 7, v0
	v_cndmask_b32_e32 v22, v22, v9, vcc_lo
	v_cmp_eq_u32_e32 vcc_lo, 8, v0
	s_delay_alu instid0(VALU_DEP_2) | instskip(SKIP_1) | instid1(VALU_DEP_2)
	v_cndmask_b32_e32 v22, v22, v10, vcc_lo
	v_cmp_eq_u32_e32 vcc_lo, 9, v0
	v_cndmask_b32_e32 v22, v22, v11, vcc_lo
	v_cmp_eq_u32_e32 vcc_lo, 10, v0
	s_delay_alu instid0(VALU_DEP_2) | instskip(SKIP_1) | instid1(VALU_DEP_2)
	v_cndmask_b32_e32 v22, v22, v12, vcc_lo
	v_cmp_eq_u32_e32 vcc_lo, 11, v0
	v_cndmask_b32_e32 v22, v22, v13, vcc_lo
	v_cmp_eq_u32_e32 vcc_lo, 12, v0
	s_delay_alu instid0(VALU_DEP_2) | instskip(SKIP_1) | instid1(VALU_DEP_2)
	v_cndmask_b32_e32 v22, v22, v14, vcc_lo
	v_cmp_eq_u32_e32 vcc_lo, 13, v0
	v_cndmask_b32_e32 v22, v22, v15, vcc_lo
	v_cmp_eq_u32_e32 vcc_lo, 14, v0
	s_delay_alu instid0(VALU_DEP_2) | instskip(SKIP_1) | instid1(VALU_DEP_2)
	v_cndmask_b32_e32 v22, v22, v16, vcc_lo
	v_cmp_eq_u32_e32 vcc_lo, 15, v0
	v_cndmask_b32_e32 v22, v22, v17, vcc_lo
	v_cmp_eq_u32_e32 vcc_lo, 16, v0
	s_delay_alu instid0(VALU_DEP_2) | instskip(SKIP_1) | instid1(VALU_DEP_2)
	v_cndmask_b32_e32 v22, v22, v18, vcc_lo
	v_cmp_eq_u32_e32 vcc_lo, 17, v0
	v_cndmask_b32_e32 v22, v22, v19, vcc_lo
	v_cmp_eq_u32_e32 vcc_lo, 18, v0
	s_delay_alu instid0(VALU_DEP_2) | instskip(SKIP_1) | instid1(VALU_DEP_2)
	v_cndmask_b32_e32 v22, v22, v20, vcc_lo
	v_cmp_eq_u32_e32 vcc_lo, 19, v0
	v_cndmask_b32_e32 v22, v22, v21, vcc_lo
	s_wait_dscnt 0x0
	s_delay_alu instid0(VALU_DEP_1)
	v_mul_f32_e32 v22, v22, v23
	s_cbranch_execz .LBB83_364
	s_branch .LBB83_365
.LBB83_363:
                                        ; implicit-def: $vgpr22
.LBB83_364:
	ds_load_b32 v22, v109
.LBB83_365:
	s_mov_b32 s5, exec_lo
	v_cmpx_ne_u32_e32 8, v0
	s_cbranch_execz .LBB83_381
; %bb.366:
	v_cmp_eq_u32_e32 vcc_lo, 1, v35
	ds_load_b32 v24, v109 offset:4
	v_cndmask_b32_e32 v23, v2, v3, vcc_lo
	v_cmp_eq_u32_e32 vcc_lo, 2, v35
	s_delay_alu instid0(VALU_DEP_2) | instskip(SKIP_1) | instid1(VALU_DEP_2)
	v_cndmask_b32_e32 v23, v23, v4, vcc_lo
	v_cmp_eq_u32_e32 vcc_lo, 3, v35
	v_cndmask_b32_e32 v23, v23, v5, vcc_lo
	v_cmp_eq_u32_e32 vcc_lo, 4, v35
	s_delay_alu instid0(VALU_DEP_2) | instskip(SKIP_1) | instid1(VALU_DEP_2)
	v_cndmask_b32_e32 v23, v23, v6, vcc_lo
	v_cmp_eq_u32_e32 vcc_lo, 5, v35
	;; [unrolled: 5-line block ×9, first 2 shown]
	v_cndmask_b32_e32 v23, v23, v21, vcc_lo
	s_wait_dscnt 0x0
	s_delay_alu instid0(VALU_DEP_1)
	v_fmac_f32_e32 v22, v23, v24
	s_and_saveexec_b32 s6, s3
	s_cbranch_execz .LBB83_380
; %bb.367:
	v_add_nc_u32_e32 v23, 2, v0
	ds_load_b32 v25, v109 offset:8
	s_mov_b32 s3, exec_lo
	v_cmp_eq_u32_e32 vcc_lo, 1, v23
	v_cndmask_b32_e32 v24, v2, v3, vcc_lo
	v_cmp_eq_u32_e32 vcc_lo, 2, v23
	s_delay_alu instid0(VALU_DEP_2) | instskip(SKIP_1) | instid1(VALU_DEP_2)
	v_cndmask_b32_e32 v24, v24, v4, vcc_lo
	v_cmp_eq_u32_e32 vcc_lo, 3, v23
	v_cndmask_b32_e32 v24, v24, v5, vcc_lo
	v_cmp_eq_u32_e32 vcc_lo, 4, v23
	s_delay_alu instid0(VALU_DEP_2) | instskip(SKIP_1) | instid1(VALU_DEP_2)
	v_cndmask_b32_e32 v24, v24, v6, vcc_lo
	;; [unrolled: 5-line block ×9, first 2 shown]
	v_cmp_eq_u32_e32 vcc_lo, 19, v23
	v_cndmask_b32_e32 v23, v24, v21, vcc_lo
	s_wait_dscnt 0x0
	s_delay_alu instid0(VALU_DEP_1)
	v_fmac_f32_e32 v22, v23, v25
	v_cmpx_ne_u32_e32 6, v0
	s_cbranch_execz .LBB83_379
; %bb.368:
	v_add_nc_u32_e32 v23, 3, v0
	ds_load_b32 v25, v109 offset:12
	v_cmp_eq_u32_e32 vcc_lo, 1, v23
	v_cndmask_b32_e32 v24, v2, v3, vcc_lo
	v_cmp_eq_u32_e32 vcc_lo, 2, v23
	s_delay_alu instid0(VALU_DEP_2) | instskip(SKIP_1) | instid1(VALU_DEP_2)
	v_cndmask_b32_e32 v24, v24, v4, vcc_lo
	v_cmp_eq_u32_e32 vcc_lo, 3, v23
	v_cndmask_b32_e32 v24, v24, v5, vcc_lo
	v_cmp_eq_u32_e32 vcc_lo, 4, v23
	s_delay_alu instid0(VALU_DEP_2) | instskip(SKIP_1) | instid1(VALU_DEP_2)
	v_cndmask_b32_e32 v24, v24, v6, vcc_lo
	;; [unrolled: 5-line block ×9, first 2 shown]
	v_cmp_eq_u32_e32 vcc_lo, 19, v23
	v_cndmask_b32_e32 v23, v24, v21, vcc_lo
	s_wait_dscnt 0x0
	s_delay_alu instid0(VALU_DEP_1)
	v_fmac_f32_e32 v22, v23, v25
	s_and_saveexec_b32 s7, s2
	s_cbranch_execz .LBB83_378
; %bb.369:
	v_add_nc_u32_e32 v23, 4, v0
	ds_load_b32 v25, v109 offset:16
	s_mov_b32 s2, exec_lo
	v_cmp_eq_u32_e32 vcc_lo, 1, v23
	v_cndmask_b32_e32 v24, v2, v3, vcc_lo
	v_cmp_eq_u32_e32 vcc_lo, 2, v23
	s_delay_alu instid0(VALU_DEP_2) | instskip(SKIP_1) | instid1(VALU_DEP_2)
	v_cndmask_b32_e32 v24, v24, v4, vcc_lo
	v_cmp_eq_u32_e32 vcc_lo, 3, v23
	v_cndmask_b32_e32 v24, v24, v5, vcc_lo
	v_cmp_eq_u32_e32 vcc_lo, 4, v23
	s_delay_alu instid0(VALU_DEP_2) | instskip(SKIP_1) | instid1(VALU_DEP_2)
	v_cndmask_b32_e32 v24, v24, v6, vcc_lo
	;; [unrolled: 5-line block ×9, first 2 shown]
	v_cmp_eq_u32_e32 vcc_lo, 19, v23
	v_cndmask_b32_e32 v23, v24, v21, vcc_lo
	s_wait_dscnt 0x0
	s_delay_alu instid0(VALU_DEP_1)
	v_fmac_f32_e32 v22, v23, v25
	v_cmpx_ne_u32_e32 4, v0
	s_cbranch_execz .LBB83_377
; %bb.370:
	v_add_nc_u32_e32 v23, 5, v0
	ds_load_b32 v25, v109 offset:20
	v_cmp_eq_u32_e32 vcc_lo, 1, v23
	v_cndmask_b32_e32 v24, v2, v3, vcc_lo
	v_cmp_eq_u32_e32 vcc_lo, 2, v23
	s_delay_alu instid0(VALU_DEP_2) | instskip(SKIP_1) | instid1(VALU_DEP_2)
	v_cndmask_b32_e32 v24, v24, v4, vcc_lo
	v_cmp_eq_u32_e32 vcc_lo, 3, v23
	v_cndmask_b32_e32 v24, v24, v5, vcc_lo
	v_cmp_eq_u32_e32 vcc_lo, 4, v23
	s_delay_alu instid0(VALU_DEP_2) | instskip(SKIP_1) | instid1(VALU_DEP_2)
	v_cndmask_b32_e32 v24, v24, v6, vcc_lo
	v_cmp_eq_u32_e32 vcc_lo, 5, v23
	v_cndmask_b32_e32 v24, v24, v7, vcc_lo
	v_cmp_eq_u32_e32 vcc_lo, 6, v23
	s_delay_alu instid0(VALU_DEP_2) | instskip(SKIP_1) | instid1(VALU_DEP_2)
	v_cndmask_b32_e32 v24, v24, v8, vcc_lo
	v_cmp_eq_u32_e32 vcc_lo, 7, v23
	v_cndmask_b32_e32 v24, v24, v9, vcc_lo
	v_cmp_eq_u32_e32 vcc_lo, 8, v23
	s_delay_alu instid0(VALU_DEP_2) | instskip(SKIP_1) | instid1(VALU_DEP_2)
	v_cndmask_b32_e32 v24, v24, v10, vcc_lo
	v_cmp_eq_u32_e32 vcc_lo, 9, v23
	v_cndmask_b32_e32 v24, v24, v11, vcc_lo
	v_cmp_eq_u32_e32 vcc_lo, 10, v23
	s_delay_alu instid0(VALU_DEP_2) | instskip(SKIP_1) | instid1(VALU_DEP_2)
	v_cndmask_b32_e32 v24, v24, v12, vcc_lo
	v_cmp_eq_u32_e32 vcc_lo, 11, v23
	v_cndmask_b32_e32 v24, v24, v13, vcc_lo
	v_cmp_eq_u32_e32 vcc_lo, 12, v23
	s_delay_alu instid0(VALU_DEP_2) | instskip(SKIP_1) | instid1(VALU_DEP_2)
	v_cndmask_b32_e32 v24, v24, v14, vcc_lo
	v_cmp_eq_u32_e32 vcc_lo, 13, v23
	v_cndmask_b32_e32 v24, v24, v15, vcc_lo
	v_cmp_eq_u32_e32 vcc_lo, 14, v23
	s_delay_alu instid0(VALU_DEP_2) | instskip(SKIP_1) | instid1(VALU_DEP_2)
	v_cndmask_b32_e32 v24, v24, v16, vcc_lo
	v_cmp_eq_u32_e32 vcc_lo, 15, v23
	v_cndmask_b32_e32 v24, v24, v17, vcc_lo
	v_cmp_eq_u32_e32 vcc_lo, 16, v23
	s_delay_alu instid0(VALU_DEP_2) | instskip(SKIP_1) | instid1(VALU_DEP_2)
	v_cndmask_b32_e32 v24, v24, v18, vcc_lo
	v_cmp_eq_u32_e32 vcc_lo, 17, v23
	v_cndmask_b32_e32 v24, v24, v19, vcc_lo
	v_cmp_eq_u32_e32 vcc_lo, 18, v23
	s_delay_alu instid0(VALU_DEP_2) | instskip(SKIP_1) | instid1(VALU_DEP_2)
	v_cndmask_b32_e32 v24, v24, v20, vcc_lo
	v_cmp_eq_u32_e32 vcc_lo, 19, v23
	v_cndmask_b32_e32 v23, v24, v21, vcc_lo
	s_wait_dscnt 0x0
	s_delay_alu instid0(VALU_DEP_1)
	v_fmac_f32_e32 v22, v23, v25
	s_and_saveexec_b32 s8, s1
	s_cbranch_execz .LBB83_376
; %bb.371:
	v_add_nc_u32_e32 v23, 6, v0
	ds_load_b32 v25, v109 offset:24
	s_mov_b32 s1, exec_lo
	v_cmp_eq_u32_e32 vcc_lo, 1, v23
	v_cndmask_b32_e32 v24, v2, v3, vcc_lo
	v_cmp_eq_u32_e32 vcc_lo, 2, v23
	s_delay_alu instid0(VALU_DEP_2) | instskip(SKIP_1) | instid1(VALU_DEP_2)
	v_cndmask_b32_e32 v24, v24, v4, vcc_lo
	v_cmp_eq_u32_e32 vcc_lo, 3, v23
	v_cndmask_b32_e32 v24, v24, v5, vcc_lo
	v_cmp_eq_u32_e32 vcc_lo, 4, v23
	s_delay_alu instid0(VALU_DEP_2) | instskip(SKIP_1) | instid1(VALU_DEP_2)
	v_cndmask_b32_e32 v24, v24, v6, vcc_lo
	;; [unrolled: 5-line block ×9, first 2 shown]
	v_cmp_eq_u32_e32 vcc_lo, 19, v23
	v_cndmask_b32_e32 v23, v24, v21, vcc_lo
	s_wait_dscnt 0x0
	s_delay_alu instid0(VALU_DEP_1)
	v_fmac_f32_e32 v22, v23, v25
	v_cmpx_ne_u32_e32 2, v0
	s_cbranch_execz .LBB83_375
; %bb.372:
	v_add_nc_u32_e32 v23, 7, v0
	s_delay_alu instid0(VALU_DEP_1) | instskip(SKIP_2) | instid1(VALU_DEP_2)
	v_cmp_eq_u32_e32 vcc_lo, 1, v23
	v_cndmask_b32_e32 v24, v2, v3, vcc_lo
	v_cmp_eq_u32_e32 vcc_lo, 2, v23
	v_cndmask_b32_e32 v24, v24, v4, vcc_lo
	v_cmp_eq_u32_e32 vcc_lo, 3, v23
	s_delay_alu instid0(VALU_DEP_2) | instskip(SKIP_1) | instid1(VALU_DEP_2)
	v_cndmask_b32_e32 v24, v24, v5, vcc_lo
	v_cmp_eq_u32_e32 vcc_lo, 4, v23
	v_cndmask_b32_e32 v24, v24, v6, vcc_lo
	v_cmp_eq_u32_e32 vcc_lo, 5, v23
	s_delay_alu instid0(VALU_DEP_2) | instskip(SKIP_1) | instid1(VALU_DEP_2)
	;; [unrolled: 5-line block ×3, first 2 shown]
	v_cndmask_b32_e32 v24, v24, v9, vcc_lo
	v_cmp_eq_u32_e32 vcc_lo, 8, v23
	v_cndmask_b32_e32 v24, v24, v10, vcc_lo
	v_cmp_eq_u32_e32 vcc_lo, 9, v23
	s_delay_alu instid0(VALU_DEP_2) | instskip(SKIP_4) | instid1(VALU_DEP_2)
	v_cndmask_b32_e32 v11, v24, v11, vcc_lo
	v_cmp_eq_u32_e32 vcc_lo, 10, v23
	ds_load_b32 v24, v109 offset:28
	v_cndmask_b32_e32 v11, v11, v12, vcc_lo
	v_cmp_eq_u32_e32 vcc_lo, 11, v23
	v_cndmask_b32_e32 v11, v11, v13, vcc_lo
	v_cmp_eq_u32_e32 vcc_lo, 12, v23
	s_delay_alu instid0(VALU_DEP_2) | instskip(SKIP_1) | instid1(VALU_DEP_2)
	v_cndmask_b32_e32 v11, v11, v14, vcc_lo
	v_cmp_eq_u32_e32 vcc_lo, 13, v23
	v_cndmask_b32_e32 v11, v11, v15, vcc_lo
	v_cmp_eq_u32_e32 vcc_lo, 14, v23
	s_delay_alu instid0(VALU_DEP_2) | instskip(SKIP_1) | instid1(VALU_DEP_2)
	;; [unrolled: 5-line block ×4, first 2 shown]
	v_cndmask_b32_e32 v11, v11, v20, vcc_lo
	v_cmp_eq_u32_e32 vcc_lo, 19, v23
	v_cndmask_b32_e32 v11, v11, v21, vcc_lo
	s_wait_dscnt 0x0
	s_delay_alu instid0(VALU_DEP_1)
	v_fmac_f32_e32 v22, v11, v24
	s_and_saveexec_b32 s9, s0
	s_cbranch_execz .LBB83_374
; %bb.373:
	ds_load_b32 v11, v109 offset:32
	s_wait_dscnt 0x0
	v_fmac_f32_e32 v22, v10, v11
.LBB83_374:
	s_or_b32 exec_lo, exec_lo, s9
.LBB83_375:
	s_delay_alu instid0(SALU_CYCLE_1)
	s_or_b32 exec_lo, exec_lo, s1
.LBB83_376:
	s_delay_alu instid0(SALU_CYCLE_1)
	s_or_b32 exec_lo, exec_lo, s8
.LBB83_377:
	s_delay_alu instid0(SALU_CYCLE_1)
	s_or_b32 exec_lo, exec_lo, s2
.LBB83_378:
	s_delay_alu instid0(SALU_CYCLE_1)
	s_or_b32 exec_lo, exec_lo, s7
.LBB83_379:
	s_delay_alu instid0(SALU_CYCLE_1)
	s_or_b32 exec_lo, exec_lo, s3
.LBB83_380:
	s_delay_alu instid0(SALU_CYCLE_1)
	s_or_b32 exec_lo, exec_lo, s6
.LBB83_381:
	s_delay_alu instid0(SALU_CYCLE_1)
	s_or_b32 exec_lo, exec_lo, s5
	v_mov_b32_e32 v11, 0
	ds_load_b32 v11, v11 offset:36
	s_wait_dscnt 0x0
	v_mul_f32_e32 v11, v22, v11
.LBB83_382:
	s_or_b32 exec_lo, exec_lo, s4
	s_delay_alu instid0(SALU_CYCLE_1)
	s_mov_b32 s0, exec_lo
	ds_store_b32 v109, v12
	s_wait_dscnt 0x0
	s_barrier_signal -1
	s_barrier_wait -1
	v_cmpx_gt_u32_e32 10, v0
	s_cbranch_execz .LBB83_392
; %bb.383:
	v_cmp_ne_u32_e32 vcc_lo, 1, v34
	s_cbranch_vccnz .LBB83_385
; %bb.384:
	v_cmp_eq_u32_e32 vcc_lo, 1, v0
	ds_load_b32 v23, v109
	v_cndmask_b32_e32 v22, v2, v3, vcc_lo
	v_cmp_eq_u32_e32 vcc_lo, 2, v0
	s_delay_alu instid0(VALU_DEP_2) | instskip(SKIP_1) | instid1(VALU_DEP_2)
	v_cndmask_b32_e32 v22, v22, v4, vcc_lo
	v_cmp_eq_u32_e32 vcc_lo, 3, v0
	v_cndmask_b32_e32 v22, v22, v5, vcc_lo
	v_cmp_eq_u32_e32 vcc_lo, 4, v0
	s_delay_alu instid0(VALU_DEP_2) | instskip(SKIP_1) | instid1(VALU_DEP_2)
	v_cndmask_b32_e32 v22, v22, v6, vcc_lo
	v_cmp_eq_u32_e32 vcc_lo, 5, v0
	;; [unrolled: 5-line block ×9, first 2 shown]
	v_cndmask_b32_e32 v22, v22, v21, vcc_lo
	s_wait_dscnt 0x0
	s_delay_alu instid0(VALU_DEP_1)
	v_mul_f32_e32 v24, v22, v23
	s_cbranch_execz .LBB83_386
	s_branch .LBB83_387
.LBB83_385:
                                        ; implicit-def: $vgpr24
.LBB83_386:
	ds_load_b32 v24, v109
.LBB83_387:
	s_mov_b32 s1, exec_lo
	v_cmpx_ne_u32_e32 9, v0
	s_cbranch_execz .LBB83_391
; %bb.388:
	v_mov_b64_e32 v[22:23], v[0:1]
	v_lshl_add_u32 v25, v0, 2, 0x54
	s_mov_b32 s2, 0
.LBB83_389:                             ; =>This Inner Loop Header: Depth=1
	s_delay_alu instid0(VALU_DEP_2)
	v_add_nc_u64_e32 v[22:23], 1, v[22:23]
	ds_load_b32 v27, v25
	v_add_nc_u32_e32 v25, 4, v25
	v_cmp_eq_u32_e32 vcc_lo, 1, v22
	v_cndmask_b32_e32 v26, v2, v3, vcc_lo
	v_cmp_eq_u32_e32 vcc_lo, 2, v22
	s_delay_alu instid0(VALU_DEP_2) | instskip(SKIP_1) | instid1(VALU_DEP_2)
	v_cndmask_b32_e32 v26, v26, v4, vcc_lo
	v_cmp_eq_u32_e32 vcc_lo, 3, v22
	v_cndmask_b32_e32 v26, v26, v5, vcc_lo
	v_cmp_eq_u32_e32 vcc_lo, 4, v22
	s_delay_alu instid0(VALU_DEP_2) | instskip(SKIP_1) | instid1(VALU_DEP_2)
	v_cndmask_b32_e32 v26, v26, v6, vcc_lo
	;; [unrolled: 5-line block ×9, first 2 shown]
	v_cmp_eq_u32_e32 vcc_lo, 19, v22
	v_cndmask_b32_e32 v26, v26, v21, vcc_lo
	v_cmp_lt_u32_e32 vcc_lo, 8, v22
	s_wait_dscnt 0x0
	s_delay_alu instid0(VALU_DEP_2) | instskip(SKIP_1) | instid1(SALU_CYCLE_1)
	v_fmac_f32_e32 v24, v26, v27
	s_or_b32 s2, vcc_lo, s2
	s_and_not1_b32 exec_lo, exec_lo, s2
	s_cbranch_execnz .LBB83_389
; %bb.390:
	s_or_b32 exec_lo, exec_lo, s2
.LBB83_391:
	s_delay_alu instid0(SALU_CYCLE_1)
	s_or_b32 exec_lo, exec_lo, s1
	v_mov_b32_e32 v12, 0
	ds_load_b32 v12, v12 offset:40
	s_wait_dscnt 0x0
	v_mul_f32_e32 v12, v24, v12
.LBB83_392:
	s_or_b32 exec_lo, exec_lo, s0
	s_delay_alu instid0(SALU_CYCLE_1)
	s_mov_b32 s0, exec_lo
	ds_store_b32 v109, v13
	s_wait_dscnt 0x0
	s_barrier_signal -1
	s_barrier_wait -1
	v_cmpx_gt_u32_e32 11, v0
	s_cbranch_execz .LBB83_402
; %bb.393:
	v_cmp_ne_u32_e32 vcc_lo, 1, v34
	s_cbranch_vccnz .LBB83_395
; %bb.394:
	v_cmp_eq_u32_e32 vcc_lo, 1, v0
	ds_load_b32 v23, v109
	v_cndmask_b32_e32 v22, v2, v3, vcc_lo
	v_cmp_eq_u32_e32 vcc_lo, 2, v0
	s_delay_alu instid0(VALU_DEP_2) | instskip(SKIP_1) | instid1(VALU_DEP_2)
	v_cndmask_b32_e32 v22, v22, v4, vcc_lo
	v_cmp_eq_u32_e32 vcc_lo, 3, v0
	v_cndmask_b32_e32 v22, v22, v5, vcc_lo
	v_cmp_eq_u32_e32 vcc_lo, 4, v0
	s_delay_alu instid0(VALU_DEP_2) | instskip(SKIP_1) | instid1(VALU_DEP_2)
	v_cndmask_b32_e32 v22, v22, v6, vcc_lo
	v_cmp_eq_u32_e32 vcc_lo, 5, v0
	;; [unrolled: 5-line block ×9, first 2 shown]
	v_cndmask_b32_e32 v22, v22, v21, vcc_lo
	s_wait_dscnt 0x0
	s_delay_alu instid0(VALU_DEP_1)
	v_mul_f32_e32 v24, v22, v23
	s_cbranch_execz .LBB83_396
	s_branch .LBB83_397
.LBB83_395:
                                        ; implicit-def: $vgpr24
.LBB83_396:
	ds_load_b32 v24, v109
.LBB83_397:
	s_mov_b32 s1, exec_lo
	v_cmpx_ne_u32_e32 10, v0
	s_cbranch_execz .LBB83_401
; %bb.398:
	v_mov_b64_e32 v[22:23], v[0:1]
	v_lshl_add_u32 v25, v0, 2, 0x54
	s_mov_b32 s2, 0
.LBB83_399:                             ; =>This Inner Loop Header: Depth=1
	s_delay_alu instid0(VALU_DEP_2)
	v_add_nc_u64_e32 v[22:23], 1, v[22:23]
	ds_load_b32 v27, v25
	v_add_nc_u32_e32 v25, 4, v25
	v_cmp_eq_u32_e32 vcc_lo, 1, v22
	v_cndmask_b32_e32 v26, v2, v3, vcc_lo
	v_cmp_eq_u32_e32 vcc_lo, 2, v22
	s_delay_alu instid0(VALU_DEP_2) | instskip(SKIP_1) | instid1(VALU_DEP_2)
	v_cndmask_b32_e32 v26, v26, v4, vcc_lo
	v_cmp_eq_u32_e32 vcc_lo, 3, v22
	v_cndmask_b32_e32 v26, v26, v5, vcc_lo
	v_cmp_eq_u32_e32 vcc_lo, 4, v22
	s_delay_alu instid0(VALU_DEP_2) | instskip(SKIP_1) | instid1(VALU_DEP_2)
	v_cndmask_b32_e32 v26, v26, v6, vcc_lo
	;; [unrolled: 5-line block ×9, first 2 shown]
	v_cmp_eq_u32_e32 vcc_lo, 19, v22
	v_cndmask_b32_e32 v26, v26, v21, vcc_lo
	v_cmp_lt_u32_e32 vcc_lo, 9, v22
	s_wait_dscnt 0x0
	s_delay_alu instid0(VALU_DEP_2) | instskip(SKIP_1) | instid1(SALU_CYCLE_1)
	v_fmac_f32_e32 v24, v26, v27
	s_or_b32 s2, vcc_lo, s2
	s_and_not1_b32 exec_lo, exec_lo, s2
	s_cbranch_execnz .LBB83_399
; %bb.400:
	s_or_b32 exec_lo, exec_lo, s2
.LBB83_401:
	s_delay_alu instid0(SALU_CYCLE_1)
	s_or_b32 exec_lo, exec_lo, s1
	v_mov_b32_e32 v13, 0
	ds_load_b32 v13, v13 offset:44
	s_wait_dscnt 0x0
	v_mul_f32_e32 v13, v24, v13
.LBB83_402:
	s_or_b32 exec_lo, exec_lo, s0
	s_delay_alu instid0(SALU_CYCLE_1)
	s_mov_b32 s0, exec_lo
	ds_store_b32 v109, v14
	s_wait_dscnt 0x0
	s_barrier_signal -1
	s_barrier_wait -1
	v_cmpx_gt_u32_e32 12, v0
	s_cbranch_execz .LBB83_412
; %bb.403:
	v_cmp_ne_u32_e32 vcc_lo, 1, v34
	s_cbranch_vccnz .LBB83_405
; %bb.404:
	v_cmp_eq_u32_e32 vcc_lo, 1, v0
	ds_load_b32 v23, v109
	v_cndmask_b32_e32 v22, v2, v3, vcc_lo
	v_cmp_eq_u32_e32 vcc_lo, 2, v0
	s_delay_alu instid0(VALU_DEP_2) | instskip(SKIP_1) | instid1(VALU_DEP_2)
	v_cndmask_b32_e32 v22, v22, v4, vcc_lo
	v_cmp_eq_u32_e32 vcc_lo, 3, v0
	v_cndmask_b32_e32 v22, v22, v5, vcc_lo
	v_cmp_eq_u32_e32 vcc_lo, 4, v0
	s_delay_alu instid0(VALU_DEP_2) | instskip(SKIP_1) | instid1(VALU_DEP_2)
	v_cndmask_b32_e32 v22, v22, v6, vcc_lo
	v_cmp_eq_u32_e32 vcc_lo, 5, v0
	;; [unrolled: 5-line block ×9, first 2 shown]
	v_cndmask_b32_e32 v22, v22, v21, vcc_lo
	s_wait_dscnt 0x0
	s_delay_alu instid0(VALU_DEP_1)
	v_mul_f32_e32 v24, v22, v23
	s_cbranch_execz .LBB83_406
	s_branch .LBB83_407
.LBB83_405:
                                        ; implicit-def: $vgpr24
.LBB83_406:
	ds_load_b32 v24, v109
.LBB83_407:
	s_mov_b32 s1, exec_lo
	v_cmpx_ne_u32_e32 11, v0
	s_cbranch_execz .LBB83_411
; %bb.408:
	v_mov_b64_e32 v[22:23], v[0:1]
	v_lshl_add_u32 v25, v0, 2, 0x54
	s_mov_b32 s2, 0
.LBB83_409:                             ; =>This Inner Loop Header: Depth=1
	s_delay_alu instid0(VALU_DEP_2)
	v_add_nc_u64_e32 v[22:23], 1, v[22:23]
	ds_load_b32 v27, v25
	v_add_nc_u32_e32 v25, 4, v25
	v_cmp_eq_u32_e32 vcc_lo, 1, v22
	v_cndmask_b32_e32 v26, v2, v3, vcc_lo
	v_cmp_eq_u32_e32 vcc_lo, 2, v22
	s_delay_alu instid0(VALU_DEP_2) | instskip(SKIP_1) | instid1(VALU_DEP_2)
	v_cndmask_b32_e32 v26, v26, v4, vcc_lo
	v_cmp_eq_u32_e32 vcc_lo, 3, v22
	v_cndmask_b32_e32 v26, v26, v5, vcc_lo
	v_cmp_eq_u32_e32 vcc_lo, 4, v22
	s_delay_alu instid0(VALU_DEP_2) | instskip(SKIP_1) | instid1(VALU_DEP_2)
	v_cndmask_b32_e32 v26, v26, v6, vcc_lo
	;; [unrolled: 5-line block ×9, first 2 shown]
	v_cmp_eq_u32_e32 vcc_lo, 19, v22
	v_cndmask_b32_e32 v26, v26, v21, vcc_lo
	v_cmp_lt_u32_e32 vcc_lo, 10, v22
	s_wait_dscnt 0x0
	s_delay_alu instid0(VALU_DEP_2) | instskip(SKIP_1) | instid1(SALU_CYCLE_1)
	v_fmac_f32_e32 v24, v26, v27
	s_or_b32 s2, vcc_lo, s2
	s_and_not1_b32 exec_lo, exec_lo, s2
	s_cbranch_execnz .LBB83_409
; %bb.410:
	s_or_b32 exec_lo, exec_lo, s2
.LBB83_411:
	s_delay_alu instid0(SALU_CYCLE_1)
	s_or_b32 exec_lo, exec_lo, s1
	v_mov_b32_e32 v14, 0
	ds_load_b32 v14, v14 offset:48
	s_wait_dscnt 0x0
	v_mul_f32_e32 v14, v24, v14
.LBB83_412:
	s_or_b32 exec_lo, exec_lo, s0
	s_delay_alu instid0(SALU_CYCLE_1)
	s_mov_b32 s0, exec_lo
	ds_store_b32 v109, v15
	s_wait_dscnt 0x0
	s_barrier_signal -1
	s_barrier_wait -1
	v_cmpx_gt_u32_e32 13, v0
	s_cbranch_execz .LBB83_422
; %bb.413:
	v_cmp_ne_u32_e32 vcc_lo, 1, v34
	s_cbranch_vccnz .LBB83_415
; %bb.414:
	v_cmp_eq_u32_e32 vcc_lo, 1, v0
	ds_load_b32 v23, v109
	v_cndmask_b32_e32 v22, v2, v3, vcc_lo
	v_cmp_eq_u32_e32 vcc_lo, 2, v0
	s_delay_alu instid0(VALU_DEP_2) | instskip(SKIP_1) | instid1(VALU_DEP_2)
	v_cndmask_b32_e32 v22, v22, v4, vcc_lo
	v_cmp_eq_u32_e32 vcc_lo, 3, v0
	v_cndmask_b32_e32 v22, v22, v5, vcc_lo
	v_cmp_eq_u32_e32 vcc_lo, 4, v0
	s_delay_alu instid0(VALU_DEP_2) | instskip(SKIP_1) | instid1(VALU_DEP_2)
	v_cndmask_b32_e32 v22, v22, v6, vcc_lo
	v_cmp_eq_u32_e32 vcc_lo, 5, v0
	;; [unrolled: 5-line block ×9, first 2 shown]
	v_cndmask_b32_e32 v22, v22, v21, vcc_lo
	s_wait_dscnt 0x0
	s_delay_alu instid0(VALU_DEP_1)
	v_mul_f32_e32 v24, v22, v23
	s_cbranch_execz .LBB83_416
	s_branch .LBB83_417
.LBB83_415:
                                        ; implicit-def: $vgpr24
.LBB83_416:
	ds_load_b32 v24, v109
.LBB83_417:
	s_mov_b32 s1, exec_lo
	v_cmpx_ne_u32_e32 12, v0
	s_cbranch_execz .LBB83_421
; %bb.418:
	v_mov_b64_e32 v[22:23], v[0:1]
	v_lshl_add_u32 v25, v0, 2, 0x54
	s_mov_b32 s2, 0
.LBB83_419:                             ; =>This Inner Loop Header: Depth=1
	s_delay_alu instid0(VALU_DEP_2)
	v_add_nc_u64_e32 v[22:23], 1, v[22:23]
	ds_load_b32 v27, v25
	v_add_nc_u32_e32 v25, 4, v25
	v_cmp_eq_u32_e32 vcc_lo, 1, v22
	v_cndmask_b32_e32 v26, v2, v3, vcc_lo
	v_cmp_eq_u32_e32 vcc_lo, 2, v22
	s_delay_alu instid0(VALU_DEP_2) | instskip(SKIP_1) | instid1(VALU_DEP_2)
	v_cndmask_b32_e32 v26, v26, v4, vcc_lo
	v_cmp_eq_u32_e32 vcc_lo, 3, v22
	v_cndmask_b32_e32 v26, v26, v5, vcc_lo
	v_cmp_eq_u32_e32 vcc_lo, 4, v22
	s_delay_alu instid0(VALU_DEP_2) | instskip(SKIP_1) | instid1(VALU_DEP_2)
	v_cndmask_b32_e32 v26, v26, v6, vcc_lo
	;; [unrolled: 5-line block ×9, first 2 shown]
	v_cmp_eq_u32_e32 vcc_lo, 19, v22
	v_cndmask_b32_e32 v26, v26, v21, vcc_lo
	v_cmp_lt_u32_e32 vcc_lo, 11, v22
	s_wait_dscnt 0x0
	s_delay_alu instid0(VALU_DEP_2) | instskip(SKIP_1) | instid1(SALU_CYCLE_1)
	v_fmac_f32_e32 v24, v26, v27
	s_or_b32 s2, vcc_lo, s2
	s_and_not1_b32 exec_lo, exec_lo, s2
	s_cbranch_execnz .LBB83_419
; %bb.420:
	s_or_b32 exec_lo, exec_lo, s2
.LBB83_421:
	s_delay_alu instid0(SALU_CYCLE_1)
	s_or_b32 exec_lo, exec_lo, s1
	v_mov_b32_e32 v15, 0
	ds_load_b32 v15, v15 offset:52
	s_wait_dscnt 0x0
	v_mul_f32_e32 v15, v24, v15
.LBB83_422:
	s_or_b32 exec_lo, exec_lo, s0
	s_delay_alu instid0(SALU_CYCLE_1)
	s_mov_b32 s0, exec_lo
	ds_store_b32 v109, v16
	s_wait_dscnt 0x0
	s_barrier_signal -1
	s_barrier_wait -1
	v_cmpx_gt_u32_e32 14, v0
	s_cbranch_execz .LBB83_432
; %bb.423:
	v_cmp_ne_u32_e32 vcc_lo, 1, v34
	s_cbranch_vccnz .LBB83_425
; %bb.424:
	v_cmp_eq_u32_e32 vcc_lo, 1, v0
	ds_load_b32 v23, v109
	v_cndmask_b32_e32 v22, v2, v3, vcc_lo
	v_cmp_eq_u32_e32 vcc_lo, 2, v0
	s_delay_alu instid0(VALU_DEP_2) | instskip(SKIP_1) | instid1(VALU_DEP_2)
	v_cndmask_b32_e32 v22, v22, v4, vcc_lo
	v_cmp_eq_u32_e32 vcc_lo, 3, v0
	v_cndmask_b32_e32 v22, v22, v5, vcc_lo
	v_cmp_eq_u32_e32 vcc_lo, 4, v0
	s_delay_alu instid0(VALU_DEP_2) | instskip(SKIP_1) | instid1(VALU_DEP_2)
	v_cndmask_b32_e32 v22, v22, v6, vcc_lo
	v_cmp_eq_u32_e32 vcc_lo, 5, v0
	v_cndmask_b32_e32 v22, v22, v7, vcc_lo
	v_cmp_eq_u32_e32 vcc_lo, 6, v0
	s_delay_alu instid0(VALU_DEP_2) | instskip(SKIP_1) | instid1(VALU_DEP_2)
	v_cndmask_b32_e32 v22, v22, v8, vcc_lo
	v_cmp_eq_u32_e32 vcc_lo, 7, v0
	v_cndmask_b32_e32 v22, v22, v9, vcc_lo
	v_cmp_eq_u32_e32 vcc_lo, 8, v0
	s_delay_alu instid0(VALU_DEP_2) | instskip(SKIP_1) | instid1(VALU_DEP_2)
	v_cndmask_b32_e32 v22, v22, v10, vcc_lo
	v_cmp_eq_u32_e32 vcc_lo, 9, v0
	v_cndmask_b32_e32 v22, v22, v11, vcc_lo
	v_cmp_eq_u32_e32 vcc_lo, 10, v0
	s_delay_alu instid0(VALU_DEP_2) | instskip(SKIP_1) | instid1(VALU_DEP_2)
	v_cndmask_b32_e32 v22, v22, v12, vcc_lo
	v_cmp_eq_u32_e32 vcc_lo, 11, v0
	v_cndmask_b32_e32 v22, v22, v13, vcc_lo
	v_cmp_eq_u32_e32 vcc_lo, 12, v0
	s_delay_alu instid0(VALU_DEP_2) | instskip(SKIP_1) | instid1(VALU_DEP_2)
	v_cndmask_b32_e32 v22, v22, v14, vcc_lo
	v_cmp_eq_u32_e32 vcc_lo, 13, v0
	v_cndmask_b32_e32 v22, v22, v15, vcc_lo
	v_cmp_eq_u32_e32 vcc_lo, 14, v0
	s_delay_alu instid0(VALU_DEP_2) | instskip(SKIP_1) | instid1(VALU_DEP_2)
	v_cndmask_b32_e32 v22, v22, v16, vcc_lo
	v_cmp_eq_u32_e32 vcc_lo, 15, v0
	v_cndmask_b32_e32 v22, v22, v17, vcc_lo
	v_cmp_eq_u32_e32 vcc_lo, 16, v0
	s_delay_alu instid0(VALU_DEP_2) | instskip(SKIP_1) | instid1(VALU_DEP_2)
	v_cndmask_b32_e32 v22, v22, v18, vcc_lo
	v_cmp_eq_u32_e32 vcc_lo, 17, v0
	v_cndmask_b32_e32 v22, v22, v19, vcc_lo
	v_cmp_eq_u32_e32 vcc_lo, 18, v0
	s_delay_alu instid0(VALU_DEP_2) | instskip(SKIP_1) | instid1(VALU_DEP_2)
	v_cndmask_b32_e32 v22, v22, v20, vcc_lo
	v_cmp_eq_u32_e32 vcc_lo, 19, v0
	v_cndmask_b32_e32 v22, v22, v21, vcc_lo
	s_wait_dscnt 0x0
	s_delay_alu instid0(VALU_DEP_1)
	v_mul_f32_e32 v24, v22, v23
	s_cbranch_execz .LBB83_426
	s_branch .LBB83_427
.LBB83_425:
                                        ; implicit-def: $vgpr24
.LBB83_426:
	ds_load_b32 v24, v109
.LBB83_427:
	s_mov_b32 s1, exec_lo
	v_cmpx_ne_u32_e32 13, v0
	s_cbranch_execz .LBB83_431
; %bb.428:
	v_mov_b64_e32 v[22:23], v[0:1]
	v_lshl_add_u32 v25, v0, 2, 0x54
	s_mov_b32 s2, 0
.LBB83_429:                             ; =>This Inner Loop Header: Depth=1
	s_delay_alu instid0(VALU_DEP_2)
	v_add_nc_u64_e32 v[22:23], 1, v[22:23]
	ds_load_b32 v27, v25
	v_add_nc_u32_e32 v25, 4, v25
	v_cmp_eq_u32_e32 vcc_lo, 1, v22
	v_cndmask_b32_e32 v26, v2, v3, vcc_lo
	v_cmp_eq_u32_e32 vcc_lo, 2, v22
	s_delay_alu instid0(VALU_DEP_2) | instskip(SKIP_1) | instid1(VALU_DEP_2)
	v_cndmask_b32_e32 v26, v26, v4, vcc_lo
	v_cmp_eq_u32_e32 vcc_lo, 3, v22
	v_cndmask_b32_e32 v26, v26, v5, vcc_lo
	v_cmp_eq_u32_e32 vcc_lo, 4, v22
	s_delay_alu instid0(VALU_DEP_2) | instskip(SKIP_1) | instid1(VALU_DEP_2)
	v_cndmask_b32_e32 v26, v26, v6, vcc_lo
	;; [unrolled: 5-line block ×9, first 2 shown]
	v_cmp_eq_u32_e32 vcc_lo, 19, v22
	v_cndmask_b32_e32 v26, v26, v21, vcc_lo
	v_cmp_lt_u32_e32 vcc_lo, 12, v22
	s_wait_dscnt 0x0
	s_delay_alu instid0(VALU_DEP_2) | instskip(SKIP_1) | instid1(SALU_CYCLE_1)
	v_fmac_f32_e32 v24, v26, v27
	s_or_b32 s2, vcc_lo, s2
	s_and_not1_b32 exec_lo, exec_lo, s2
	s_cbranch_execnz .LBB83_429
; %bb.430:
	s_or_b32 exec_lo, exec_lo, s2
.LBB83_431:
	s_delay_alu instid0(SALU_CYCLE_1)
	s_or_b32 exec_lo, exec_lo, s1
	v_mov_b32_e32 v16, 0
	ds_load_b32 v16, v16 offset:56
	s_wait_dscnt 0x0
	v_mul_f32_e32 v16, v24, v16
.LBB83_432:
	s_or_b32 exec_lo, exec_lo, s0
	s_delay_alu instid0(SALU_CYCLE_1)
	s_mov_b32 s0, exec_lo
	ds_store_b32 v109, v17
	s_wait_dscnt 0x0
	s_barrier_signal -1
	s_barrier_wait -1
	v_cmpx_gt_u32_e32 15, v0
	s_cbranch_execz .LBB83_442
; %bb.433:
	v_cmp_ne_u32_e32 vcc_lo, 1, v34
	s_cbranch_vccnz .LBB83_435
; %bb.434:
	v_cmp_eq_u32_e32 vcc_lo, 1, v0
	ds_load_b32 v23, v109
	v_cndmask_b32_e32 v22, v2, v3, vcc_lo
	v_cmp_eq_u32_e32 vcc_lo, 2, v0
	s_delay_alu instid0(VALU_DEP_2) | instskip(SKIP_1) | instid1(VALU_DEP_2)
	v_cndmask_b32_e32 v22, v22, v4, vcc_lo
	v_cmp_eq_u32_e32 vcc_lo, 3, v0
	v_cndmask_b32_e32 v22, v22, v5, vcc_lo
	v_cmp_eq_u32_e32 vcc_lo, 4, v0
	s_delay_alu instid0(VALU_DEP_2) | instskip(SKIP_1) | instid1(VALU_DEP_2)
	v_cndmask_b32_e32 v22, v22, v6, vcc_lo
	v_cmp_eq_u32_e32 vcc_lo, 5, v0
	;; [unrolled: 5-line block ×9, first 2 shown]
	v_cndmask_b32_e32 v22, v22, v21, vcc_lo
	s_wait_dscnt 0x0
	s_delay_alu instid0(VALU_DEP_1)
	v_mul_f32_e32 v24, v22, v23
	s_cbranch_execz .LBB83_436
	s_branch .LBB83_437
.LBB83_435:
                                        ; implicit-def: $vgpr24
.LBB83_436:
	ds_load_b32 v24, v109
.LBB83_437:
	s_mov_b32 s1, exec_lo
	v_cmpx_ne_u32_e32 14, v0
	s_cbranch_execz .LBB83_441
; %bb.438:
	v_mov_b64_e32 v[22:23], v[0:1]
	v_lshl_add_u32 v25, v0, 2, 0x54
	s_mov_b32 s2, 0
.LBB83_439:                             ; =>This Inner Loop Header: Depth=1
	s_delay_alu instid0(VALU_DEP_2)
	v_add_nc_u64_e32 v[22:23], 1, v[22:23]
	ds_load_b32 v27, v25
	v_add_nc_u32_e32 v25, 4, v25
	v_cmp_eq_u32_e32 vcc_lo, 1, v22
	v_cndmask_b32_e32 v26, v2, v3, vcc_lo
	v_cmp_eq_u32_e32 vcc_lo, 2, v22
	s_delay_alu instid0(VALU_DEP_2) | instskip(SKIP_1) | instid1(VALU_DEP_2)
	v_cndmask_b32_e32 v26, v26, v4, vcc_lo
	v_cmp_eq_u32_e32 vcc_lo, 3, v22
	v_cndmask_b32_e32 v26, v26, v5, vcc_lo
	v_cmp_eq_u32_e32 vcc_lo, 4, v22
	s_delay_alu instid0(VALU_DEP_2) | instskip(SKIP_1) | instid1(VALU_DEP_2)
	v_cndmask_b32_e32 v26, v26, v6, vcc_lo
	;; [unrolled: 5-line block ×9, first 2 shown]
	v_cmp_eq_u32_e32 vcc_lo, 19, v22
	v_cndmask_b32_e32 v26, v26, v21, vcc_lo
	v_cmp_lt_u32_e32 vcc_lo, 13, v22
	s_wait_dscnt 0x0
	s_delay_alu instid0(VALU_DEP_2) | instskip(SKIP_1) | instid1(SALU_CYCLE_1)
	v_fmac_f32_e32 v24, v26, v27
	s_or_b32 s2, vcc_lo, s2
	s_and_not1_b32 exec_lo, exec_lo, s2
	s_cbranch_execnz .LBB83_439
; %bb.440:
	s_or_b32 exec_lo, exec_lo, s2
.LBB83_441:
	s_delay_alu instid0(SALU_CYCLE_1)
	s_or_b32 exec_lo, exec_lo, s1
	v_mov_b32_e32 v17, 0
	ds_load_b32 v17, v17 offset:60
	s_wait_dscnt 0x0
	v_mul_f32_e32 v17, v24, v17
.LBB83_442:
	s_or_b32 exec_lo, exec_lo, s0
	s_delay_alu instid0(SALU_CYCLE_1)
	s_mov_b32 s0, exec_lo
	ds_store_b32 v109, v18
	s_wait_dscnt 0x0
	s_barrier_signal -1
	s_barrier_wait -1
	v_cmpx_gt_u32_e32 16, v0
	s_cbranch_execz .LBB83_452
; %bb.443:
	v_cmp_ne_u32_e32 vcc_lo, 1, v34
	s_cbranch_vccnz .LBB83_445
; %bb.444:
	v_cmp_eq_u32_e32 vcc_lo, 1, v0
	ds_load_b32 v23, v109
	v_cndmask_b32_e32 v22, v2, v3, vcc_lo
	v_cmp_eq_u32_e32 vcc_lo, 2, v0
	s_delay_alu instid0(VALU_DEP_2) | instskip(SKIP_1) | instid1(VALU_DEP_2)
	v_cndmask_b32_e32 v22, v22, v4, vcc_lo
	v_cmp_eq_u32_e32 vcc_lo, 3, v0
	v_cndmask_b32_e32 v22, v22, v5, vcc_lo
	v_cmp_eq_u32_e32 vcc_lo, 4, v0
	s_delay_alu instid0(VALU_DEP_2) | instskip(SKIP_1) | instid1(VALU_DEP_2)
	v_cndmask_b32_e32 v22, v22, v6, vcc_lo
	v_cmp_eq_u32_e32 vcc_lo, 5, v0
	;; [unrolled: 5-line block ×9, first 2 shown]
	v_cndmask_b32_e32 v22, v22, v21, vcc_lo
	s_wait_dscnt 0x0
	s_delay_alu instid0(VALU_DEP_1)
	v_mul_f32_e32 v24, v22, v23
	s_cbranch_execz .LBB83_446
	s_branch .LBB83_447
.LBB83_445:
                                        ; implicit-def: $vgpr24
.LBB83_446:
	ds_load_b32 v24, v109
.LBB83_447:
	s_mov_b32 s1, exec_lo
	v_cmpx_ne_u32_e32 15, v0
	s_cbranch_execz .LBB83_451
; %bb.448:
	v_mov_b64_e32 v[22:23], v[0:1]
	v_lshl_add_u32 v25, v0, 2, 0x54
	s_mov_b32 s2, 0
.LBB83_449:                             ; =>This Inner Loop Header: Depth=1
	s_delay_alu instid0(VALU_DEP_2)
	v_add_nc_u64_e32 v[22:23], 1, v[22:23]
	ds_load_b32 v27, v25
	v_add_nc_u32_e32 v25, 4, v25
	v_cmp_eq_u32_e32 vcc_lo, 1, v22
	v_cndmask_b32_e32 v26, v2, v3, vcc_lo
	v_cmp_eq_u32_e32 vcc_lo, 2, v22
	s_delay_alu instid0(VALU_DEP_2) | instskip(SKIP_1) | instid1(VALU_DEP_2)
	v_cndmask_b32_e32 v26, v26, v4, vcc_lo
	v_cmp_eq_u32_e32 vcc_lo, 3, v22
	v_cndmask_b32_e32 v26, v26, v5, vcc_lo
	v_cmp_eq_u32_e32 vcc_lo, 4, v22
	s_delay_alu instid0(VALU_DEP_2) | instskip(SKIP_1) | instid1(VALU_DEP_2)
	v_cndmask_b32_e32 v26, v26, v6, vcc_lo
	;; [unrolled: 5-line block ×9, first 2 shown]
	v_cmp_eq_u32_e32 vcc_lo, 19, v22
	v_cndmask_b32_e32 v26, v26, v21, vcc_lo
	v_cmp_lt_u32_e32 vcc_lo, 14, v22
	s_wait_dscnt 0x0
	s_delay_alu instid0(VALU_DEP_2) | instskip(SKIP_1) | instid1(SALU_CYCLE_1)
	v_fmac_f32_e32 v24, v26, v27
	s_or_b32 s2, vcc_lo, s2
	s_and_not1_b32 exec_lo, exec_lo, s2
	s_cbranch_execnz .LBB83_449
; %bb.450:
	s_or_b32 exec_lo, exec_lo, s2
.LBB83_451:
	s_delay_alu instid0(SALU_CYCLE_1)
	s_or_b32 exec_lo, exec_lo, s1
	v_mov_b32_e32 v18, 0
	ds_load_b32 v18, v18 offset:64
	s_wait_dscnt 0x0
	v_mul_f32_e32 v18, v24, v18
.LBB83_452:
	s_or_b32 exec_lo, exec_lo, s0
	s_delay_alu instid0(SALU_CYCLE_1)
	s_mov_b32 s0, exec_lo
	ds_store_b32 v109, v19
	s_wait_dscnt 0x0
	s_barrier_signal -1
	s_barrier_wait -1
	v_cmpx_gt_u32_e32 17, v0
	s_cbranch_execz .LBB83_462
; %bb.453:
	v_cmp_ne_u32_e32 vcc_lo, 1, v34
	s_cbranch_vccnz .LBB83_455
; %bb.454:
	v_cmp_eq_u32_e32 vcc_lo, 1, v0
	ds_load_b32 v23, v109
	v_cndmask_b32_e32 v22, v2, v3, vcc_lo
	v_cmp_eq_u32_e32 vcc_lo, 2, v0
	s_delay_alu instid0(VALU_DEP_2) | instskip(SKIP_1) | instid1(VALU_DEP_2)
	v_cndmask_b32_e32 v22, v22, v4, vcc_lo
	v_cmp_eq_u32_e32 vcc_lo, 3, v0
	v_cndmask_b32_e32 v22, v22, v5, vcc_lo
	v_cmp_eq_u32_e32 vcc_lo, 4, v0
	s_delay_alu instid0(VALU_DEP_2) | instskip(SKIP_1) | instid1(VALU_DEP_2)
	v_cndmask_b32_e32 v22, v22, v6, vcc_lo
	v_cmp_eq_u32_e32 vcc_lo, 5, v0
	;; [unrolled: 5-line block ×9, first 2 shown]
	v_cndmask_b32_e32 v22, v22, v21, vcc_lo
	s_wait_dscnt 0x0
	s_delay_alu instid0(VALU_DEP_1)
	v_mul_f32_e32 v24, v22, v23
	s_cbranch_execz .LBB83_456
	s_branch .LBB83_457
.LBB83_455:
                                        ; implicit-def: $vgpr24
.LBB83_456:
	ds_load_b32 v24, v109
.LBB83_457:
	s_mov_b32 s1, exec_lo
	v_cmpx_ne_u32_e32 16, v0
	s_cbranch_execz .LBB83_461
; %bb.458:
	v_mov_b64_e32 v[22:23], v[0:1]
	v_lshl_add_u32 v25, v0, 2, 0x54
	s_mov_b32 s2, 0
.LBB83_459:                             ; =>This Inner Loop Header: Depth=1
	s_delay_alu instid0(VALU_DEP_2)
	v_add_nc_u64_e32 v[22:23], 1, v[22:23]
	ds_load_b32 v27, v25
	v_add_nc_u32_e32 v25, 4, v25
	v_cmp_eq_u32_e32 vcc_lo, 1, v22
	v_cndmask_b32_e32 v26, v2, v3, vcc_lo
	v_cmp_eq_u32_e32 vcc_lo, 2, v22
	s_delay_alu instid0(VALU_DEP_2) | instskip(SKIP_1) | instid1(VALU_DEP_2)
	v_cndmask_b32_e32 v26, v26, v4, vcc_lo
	v_cmp_eq_u32_e32 vcc_lo, 3, v22
	v_cndmask_b32_e32 v26, v26, v5, vcc_lo
	v_cmp_eq_u32_e32 vcc_lo, 4, v22
	s_delay_alu instid0(VALU_DEP_2) | instskip(SKIP_1) | instid1(VALU_DEP_2)
	v_cndmask_b32_e32 v26, v26, v6, vcc_lo
	v_cmp_eq_u32_e32 vcc_lo, 5, v22
	v_cndmask_b32_e32 v26, v26, v7, vcc_lo
	v_cmp_eq_u32_e32 vcc_lo, 6, v22
	s_delay_alu instid0(VALU_DEP_2) | instskip(SKIP_1) | instid1(VALU_DEP_2)
	v_cndmask_b32_e32 v26, v26, v8, vcc_lo
	v_cmp_eq_u32_e32 vcc_lo, 7, v22
	v_cndmask_b32_e32 v26, v26, v9, vcc_lo
	v_cmp_eq_u32_e32 vcc_lo, 8, v22
	s_delay_alu instid0(VALU_DEP_2) | instskip(SKIP_1) | instid1(VALU_DEP_2)
	v_cndmask_b32_e32 v26, v26, v10, vcc_lo
	v_cmp_eq_u32_e32 vcc_lo, 9, v22
	v_cndmask_b32_e32 v26, v26, v11, vcc_lo
	v_cmp_eq_u32_e32 vcc_lo, 10, v22
	s_delay_alu instid0(VALU_DEP_2) | instskip(SKIP_1) | instid1(VALU_DEP_2)
	v_cndmask_b32_e32 v26, v26, v12, vcc_lo
	v_cmp_eq_u32_e32 vcc_lo, 11, v22
	v_cndmask_b32_e32 v26, v26, v13, vcc_lo
	v_cmp_eq_u32_e32 vcc_lo, 12, v22
	s_delay_alu instid0(VALU_DEP_2) | instskip(SKIP_1) | instid1(VALU_DEP_2)
	v_cndmask_b32_e32 v26, v26, v14, vcc_lo
	v_cmp_eq_u32_e32 vcc_lo, 13, v22
	v_cndmask_b32_e32 v26, v26, v15, vcc_lo
	v_cmp_eq_u32_e32 vcc_lo, 14, v22
	s_delay_alu instid0(VALU_DEP_2) | instskip(SKIP_1) | instid1(VALU_DEP_2)
	v_cndmask_b32_e32 v26, v26, v16, vcc_lo
	v_cmp_eq_u32_e32 vcc_lo, 15, v22
	v_cndmask_b32_e32 v26, v26, v17, vcc_lo
	v_cmp_eq_u32_e32 vcc_lo, 16, v22
	s_delay_alu instid0(VALU_DEP_2) | instskip(SKIP_1) | instid1(VALU_DEP_2)
	v_cndmask_b32_e32 v26, v26, v18, vcc_lo
	v_cmp_eq_u32_e32 vcc_lo, 17, v22
	v_cndmask_b32_e32 v26, v26, v19, vcc_lo
	v_cmp_eq_u32_e32 vcc_lo, 18, v22
	s_delay_alu instid0(VALU_DEP_2) | instskip(SKIP_1) | instid1(VALU_DEP_2)
	v_cndmask_b32_e32 v26, v26, v20, vcc_lo
	v_cmp_eq_u32_e32 vcc_lo, 19, v22
	v_cndmask_b32_e32 v26, v26, v21, vcc_lo
	v_cmp_lt_u32_e32 vcc_lo, 15, v22
	s_wait_dscnt 0x0
	s_delay_alu instid0(VALU_DEP_2) | instskip(SKIP_1) | instid1(SALU_CYCLE_1)
	v_fmac_f32_e32 v24, v26, v27
	s_or_b32 s2, vcc_lo, s2
	s_and_not1_b32 exec_lo, exec_lo, s2
	s_cbranch_execnz .LBB83_459
; %bb.460:
	s_or_b32 exec_lo, exec_lo, s2
.LBB83_461:
	s_delay_alu instid0(SALU_CYCLE_1)
	s_or_b32 exec_lo, exec_lo, s1
	v_mov_b32_e32 v19, 0
	ds_load_b32 v19, v19 offset:68
	s_wait_dscnt 0x0
	v_mul_f32_e32 v19, v24, v19
.LBB83_462:
	s_or_b32 exec_lo, exec_lo, s0
	v_cmp_gt_u32_e64 s0, 18, v0
	ds_store_b32 v109, v20
	s_wait_dscnt 0x0
	s_barrier_signal -1
	s_barrier_wait -1
	s_and_saveexec_b32 s1, s0
	s_cbranch_execz .LBB83_472
; %bb.463:
	v_cmp_ne_u32_e32 vcc_lo, 1, v34
	s_cbranch_vccnz .LBB83_465
; %bb.464:
	v_cmp_eq_u32_e32 vcc_lo, 1, v0
	ds_load_b32 v23, v109
	v_cndmask_b32_e32 v22, v2, v3, vcc_lo
	v_cmp_eq_u32_e32 vcc_lo, 2, v0
	s_delay_alu instid0(VALU_DEP_2) | instskip(SKIP_1) | instid1(VALU_DEP_2)
	v_cndmask_b32_e32 v22, v22, v4, vcc_lo
	v_cmp_eq_u32_e32 vcc_lo, 3, v0
	v_cndmask_b32_e32 v22, v22, v5, vcc_lo
	v_cmp_eq_u32_e32 vcc_lo, 4, v0
	s_delay_alu instid0(VALU_DEP_2) | instskip(SKIP_1) | instid1(VALU_DEP_2)
	v_cndmask_b32_e32 v22, v22, v6, vcc_lo
	v_cmp_eq_u32_e32 vcc_lo, 5, v0
	v_cndmask_b32_e32 v22, v22, v7, vcc_lo
	v_cmp_eq_u32_e32 vcc_lo, 6, v0
	s_delay_alu instid0(VALU_DEP_2) | instskip(SKIP_1) | instid1(VALU_DEP_2)
	v_cndmask_b32_e32 v22, v22, v8, vcc_lo
	v_cmp_eq_u32_e32 vcc_lo, 7, v0
	v_cndmask_b32_e32 v22, v22, v9, vcc_lo
	v_cmp_eq_u32_e32 vcc_lo, 8, v0
	s_delay_alu instid0(VALU_DEP_2) | instskip(SKIP_1) | instid1(VALU_DEP_2)
	v_cndmask_b32_e32 v22, v22, v10, vcc_lo
	v_cmp_eq_u32_e32 vcc_lo, 9, v0
	v_cndmask_b32_e32 v22, v22, v11, vcc_lo
	v_cmp_eq_u32_e32 vcc_lo, 10, v0
	s_delay_alu instid0(VALU_DEP_2) | instskip(SKIP_1) | instid1(VALU_DEP_2)
	v_cndmask_b32_e32 v22, v22, v12, vcc_lo
	v_cmp_eq_u32_e32 vcc_lo, 11, v0
	v_cndmask_b32_e32 v22, v22, v13, vcc_lo
	v_cmp_eq_u32_e32 vcc_lo, 12, v0
	s_delay_alu instid0(VALU_DEP_2) | instskip(SKIP_1) | instid1(VALU_DEP_2)
	v_cndmask_b32_e32 v22, v22, v14, vcc_lo
	v_cmp_eq_u32_e32 vcc_lo, 13, v0
	v_cndmask_b32_e32 v22, v22, v15, vcc_lo
	v_cmp_eq_u32_e32 vcc_lo, 14, v0
	s_delay_alu instid0(VALU_DEP_2) | instskip(SKIP_1) | instid1(VALU_DEP_2)
	v_cndmask_b32_e32 v22, v22, v16, vcc_lo
	v_cmp_eq_u32_e32 vcc_lo, 15, v0
	v_cndmask_b32_e32 v22, v22, v17, vcc_lo
	v_cmp_eq_u32_e32 vcc_lo, 16, v0
	s_delay_alu instid0(VALU_DEP_2) | instskip(SKIP_1) | instid1(VALU_DEP_2)
	v_cndmask_b32_e32 v22, v22, v18, vcc_lo
	v_cmp_eq_u32_e32 vcc_lo, 17, v0
	v_cndmask_b32_e32 v22, v22, v19, vcc_lo
	v_cmp_eq_u32_e32 vcc_lo, 18, v0
	s_delay_alu instid0(VALU_DEP_2) | instskip(SKIP_1) | instid1(VALU_DEP_2)
	v_cndmask_b32_e32 v22, v22, v20, vcc_lo
	v_cmp_eq_u32_e32 vcc_lo, 19, v0
	v_cndmask_b32_e32 v22, v22, v21, vcc_lo
	s_wait_dscnt 0x0
	s_delay_alu instid0(VALU_DEP_1)
	v_mul_f32_e32 v24, v22, v23
	s_cbranch_execz .LBB83_466
	s_branch .LBB83_467
.LBB83_465:
                                        ; implicit-def: $vgpr24
.LBB83_466:
	ds_load_b32 v24, v109
.LBB83_467:
	s_mov_b32 s2, exec_lo
	v_cmpx_ne_u32_e32 17, v0
	s_cbranch_execz .LBB83_471
; %bb.468:
	v_mov_b64_e32 v[22:23], v[0:1]
	v_lshl_add_u32 v25, v0, 2, 0x54
	s_mov_b32 s3, 0
.LBB83_469:                             ; =>This Inner Loop Header: Depth=1
	s_delay_alu instid0(VALU_DEP_2)
	v_add_nc_u64_e32 v[22:23], 1, v[22:23]
	ds_load_b32 v27, v25
	v_add_nc_u32_e32 v25, 4, v25
	v_cmp_eq_u32_e32 vcc_lo, 1, v22
	v_cndmask_b32_e32 v26, v2, v3, vcc_lo
	v_cmp_eq_u32_e32 vcc_lo, 2, v22
	s_delay_alu instid0(VALU_DEP_2) | instskip(SKIP_1) | instid1(VALU_DEP_2)
	v_cndmask_b32_e32 v26, v26, v4, vcc_lo
	v_cmp_eq_u32_e32 vcc_lo, 3, v22
	v_cndmask_b32_e32 v26, v26, v5, vcc_lo
	v_cmp_eq_u32_e32 vcc_lo, 4, v22
	s_delay_alu instid0(VALU_DEP_2) | instskip(SKIP_1) | instid1(VALU_DEP_2)
	v_cndmask_b32_e32 v26, v26, v6, vcc_lo
	;; [unrolled: 5-line block ×9, first 2 shown]
	v_cmp_eq_u32_e32 vcc_lo, 19, v22
	v_cndmask_b32_e32 v26, v26, v21, vcc_lo
	v_cmp_lt_u32_e32 vcc_lo, 16, v22
	s_wait_dscnt 0x0
	s_delay_alu instid0(VALU_DEP_2) | instskip(SKIP_1) | instid1(SALU_CYCLE_1)
	v_fmac_f32_e32 v24, v26, v27
	s_or_b32 s3, vcc_lo, s3
	s_and_not1_b32 exec_lo, exec_lo, s3
	s_cbranch_execnz .LBB83_469
; %bb.470:
	s_or_b32 exec_lo, exec_lo, s3
.LBB83_471:
	s_delay_alu instid0(SALU_CYCLE_1)
	s_or_b32 exec_lo, exec_lo, s2
	v_mov_b32_e32 v20, 0
	ds_load_b32 v20, v20 offset:72
	s_wait_dscnt 0x0
	v_mul_f32_e32 v20, v24, v20
.LBB83_472:
	s_or_b32 exec_lo, exec_lo, s1
	s_delay_alu instid0(SALU_CYCLE_1)
	s_mov_b32 s1, exec_lo
	ds_store_b32 v109, v21
	s_wait_dscnt 0x0
	s_barrier_signal -1
	s_barrier_wait -1
	v_cmpx_ne_u32_e32 19, v0
	s_cbranch_execz .LBB83_482
; %bb.473:
	v_cmp_ne_u32_e32 vcc_lo, 1, v34
	s_cbranch_vccnz .LBB83_475
; %bb.474:
	v_cmp_eq_u32_e32 vcc_lo, 1, v0
	ds_load_b32 v23, v109
	v_cndmask_b32_e32 v22, v2, v3, vcc_lo
	v_cmp_eq_u32_e32 vcc_lo, 2, v0
	s_delay_alu instid0(VALU_DEP_2) | instskip(SKIP_1) | instid1(VALU_DEP_2)
	v_cndmask_b32_e32 v22, v22, v4, vcc_lo
	v_cmp_eq_u32_e32 vcc_lo, 3, v0
	v_cndmask_b32_e32 v22, v22, v5, vcc_lo
	v_cmp_eq_u32_e32 vcc_lo, 4, v0
	s_delay_alu instid0(VALU_DEP_2) | instskip(SKIP_1) | instid1(VALU_DEP_2)
	v_cndmask_b32_e32 v22, v22, v6, vcc_lo
	v_cmp_eq_u32_e32 vcc_lo, 5, v0
	;; [unrolled: 5-line block ×9, first 2 shown]
	v_cndmask_b32_e32 v22, v22, v21, vcc_lo
	s_wait_dscnt 0x0
	s_delay_alu instid0(VALU_DEP_1)
	v_mul_f32_e32 v22, v22, v23
	s_cbranch_execz .LBB83_476
	s_branch .LBB83_477
.LBB83_475:
                                        ; implicit-def: $vgpr22
.LBB83_476:
	ds_load_b32 v22, v109
.LBB83_477:
	s_and_saveexec_b32 s2, s0
	s_cbranch_execz .LBB83_481
; %bb.478:
	v_lshl_add_u32 v23, v0, 2, 0x54
	s_mov_b32 s0, 0
.LBB83_479:                             ; =>This Inner Loop Header: Depth=1
	v_add_nc_u64_e32 v[0:1], 1, v[0:1]
	ds_load_b32 v25, v23
	v_add_nc_u32_e32 v23, 4, v23
	v_cmp_eq_u32_e32 vcc_lo, 1, v0
	v_cndmask_b32_e32 v24, v2, v3, vcc_lo
	v_cmp_eq_u32_e32 vcc_lo, 2, v0
	s_delay_alu instid0(VALU_DEP_2) | instskip(SKIP_1) | instid1(VALU_DEP_2)
	v_cndmask_b32_e32 v24, v24, v4, vcc_lo
	v_cmp_eq_u32_e32 vcc_lo, 3, v0
	v_cndmask_b32_e32 v24, v24, v5, vcc_lo
	v_cmp_eq_u32_e32 vcc_lo, 4, v0
	s_delay_alu instid0(VALU_DEP_2) | instskip(SKIP_1) | instid1(VALU_DEP_2)
	v_cndmask_b32_e32 v24, v24, v6, vcc_lo
	;; [unrolled: 5-line block ×9, first 2 shown]
	v_cmp_eq_u32_e32 vcc_lo, 19, v0
	v_cndmask_b32_e32 v24, v24, v21, vcc_lo
	v_cmp_lt_u32_e32 vcc_lo, 17, v0
	s_wait_dscnt 0x0
	s_delay_alu instid0(VALU_DEP_2) | instskip(SKIP_1) | instid1(SALU_CYCLE_1)
	v_fmac_f32_e32 v22, v24, v25
	s_or_b32 s0, vcc_lo, s0
	s_and_not1_b32 exec_lo, exec_lo, s0
	s_cbranch_execnz .LBB83_479
; %bb.480:
	s_or_b32 exec_lo, exec_lo, s0
.LBB83_481:
	s_delay_alu instid0(SALU_CYCLE_1)
	s_or_b32 exec_lo, exec_lo, s2
	v_mov_b32_e32 v0, 0
	ds_load_b32 v0, v0 offset:76
	s_wait_dscnt 0x0
	v_mul_f32_e32 v21, v22, v0
.LBB83_482:
	s_or_b32 exec_lo, exec_lo, s1
	v_mov_b64_e32 v[64:65], v[32:33]
	s_delay_alu instid0(VALU_DEP_2)
	v_mov_b64_e32 v[52:53], v[20:21]
	v_mov_b64_e32 v[50:51], v[18:19]
	;; [unrolled: 1-line block ×15, first 2 shown]
.LBB83_483:
	s_wait_xcnt 0x3
	v_lshl_add_u64 v[0:1], v[66:67], 2, s[22:23]
	s_wait_loadcnt_dscnt 0x304
	v_lshl_add_u64 v[2:3], v[68:69], 2, s[22:23]
	v_lshl_add_u64 v[4:5], v[70:71], 2, s[22:23]
	;; [unrolled: 1-line block ×8, first 2 shown]
	s_wait_loadcnt_dscnt 0x203
	v_lshl_add_u64 v[18:19], v[84:85], 2, s[22:23]
	s_wait_loadcnt_dscnt 0x1
	v_lshl_add_u64 v[20:21], v[86:87], 2, s[22:23]
	v_lshl_add_u64 v[22:23], v[88:89], 2, s[22:23]
	;; [unrolled: 1-line block ×8, first 2 shown]
	s_clause 0x13
	flat_store_b32 v[90:91], v34
	flat_store_b32 v[96:97], v35
	;; [unrolled: 1-line block ×20, first 2 shown]
.LBB83_484:
	s_sendmsg sendmsg(MSG_DEALLOC_VGPRS)
	s_endpgm
	.section	.rodata,"a",@progbits
	.p2align	6, 0x0
	.amdhsa_kernel _ZN9rocsolver6v33100L18trti2_kernel_smallILi20EfPKPfEEv13rocblas_fill_17rocblas_diagonal_T1_iil
		.amdhsa_group_segment_fixed_size 160
		.amdhsa_private_segment_fixed_size 0
		.amdhsa_kernarg_size 32
		.amdhsa_user_sgpr_count 2
		.amdhsa_user_sgpr_dispatch_ptr 0
		.amdhsa_user_sgpr_queue_ptr 0
		.amdhsa_user_sgpr_kernarg_segment_ptr 1
		.amdhsa_user_sgpr_dispatch_id 0
		.amdhsa_user_sgpr_kernarg_preload_length 0
		.amdhsa_user_sgpr_kernarg_preload_offset 0
		.amdhsa_user_sgpr_private_segment_size 0
		.amdhsa_wavefront_size32 1
		.amdhsa_uses_dynamic_stack 0
		.amdhsa_enable_private_segment 0
		.amdhsa_system_sgpr_workgroup_id_x 1
		.amdhsa_system_sgpr_workgroup_id_y 0
		.amdhsa_system_sgpr_workgroup_id_z 0
		.amdhsa_system_sgpr_workgroup_info 0
		.amdhsa_system_vgpr_workitem_id 0
		.amdhsa_next_free_vgpr 121
		.amdhsa_next_free_sgpr 25
		.amdhsa_named_barrier_count 0
		.amdhsa_reserve_vcc 1
		.amdhsa_float_round_mode_32 0
		.amdhsa_float_round_mode_16_64 0
		.amdhsa_float_denorm_mode_32 3
		.amdhsa_float_denorm_mode_16_64 3
		.amdhsa_fp16_overflow 0
		.amdhsa_memory_ordered 1
		.amdhsa_forward_progress 1
		.amdhsa_inst_pref_size 225
		.amdhsa_round_robin_scheduling 0
		.amdhsa_exception_fp_ieee_invalid_op 0
		.amdhsa_exception_fp_denorm_src 0
		.amdhsa_exception_fp_ieee_div_zero 0
		.amdhsa_exception_fp_ieee_overflow 0
		.amdhsa_exception_fp_ieee_underflow 0
		.amdhsa_exception_fp_ieee_inexact 0
		.amdhsa_exception_int_div_zero 0
	.end_amdhsa_kernel
	.section	.text._ZN9rocsolver6v33100L18trti2_kernel_smallILi20EfPKPfEEv13rocblas_fill_17rocblas_diagonal_T1_iil,"axG",@progbits,_ZN9rocsolver6v33100L18trti2_kernel_smallILi20EfPKPfEEv13rocblas_fill_17rocblas_diagonal_T1_iil,comdat
.Lfunc_end83:
	.size	_ZN9rocsolver6v33100L18trti2_kernel_smallILi20EfPKPfEEv13rocblas_fill_17rocblas_diagonal_T1_iil, .Lfunc_end83-_ZN9rocsolver6v33100L18trti2_kernel_smallILi20EfPKPfEEv13rocblas_fill_17rocblas_diagonal_T1_iil
                                        ; -- End function
	.set _ZN9rocsolver6v33100L18trti2_kernel_smallILi20EfPKPfEEv13rocblas_fill_17rocblas_diagonal_T1_iil.num_vgpr, 121
	.set _ZN9rocsolver6v33100L18trti2_kernel_smallILi20EfPKPfEEv13rocblas_fill_17rocblas_diagonal_T1_iil.num_agpr, 0
	.set _ZN9rocsolver6v33100L18trti2_kernel_smallILi20EfPKPfEEv13rocblas_fill_17rocblas_diagonal_T1_iil.numbered_sgpr, 25
	.set _ZN9rocsolver6v33100L18trti2_kernel_smallILi20EfPKPfEEv13rocblas_fill_17rocblas_diagonal_T1_iil.num_named_barrier, 0
	.set _ZN9rocsolver6v33100L18trti2_kernel_smallILi20EfPKPfEEv13rocblas_fill_17rocblas_diagonal_T1_iil.private_seg_size, 0
	.set _ZN9rocsolver6v33100L18trti2_kernel_smallILi20EfPKPfEEv13rocblas_fill_17rocblas_diagonal_T1_iil.uses_vcc, 1
	.set _ZN9rocsolver6v33100L18trti2_kernel_smallILi20EfPKPfEEv13rocblas_fill_17rocblas_diagonal_T1_iil.uses_flat_scratch, 1
	.set _ZN9rocsolver6v33100L18trti2_kernel_smallILi20EfPKPfEEv13rocblas_fill_17rocblas_diagonal_T1_iil.has_dyn_sized_stack, 0
	.set _ZN9rocsolver6v33100L18trti2_kernel_smallILi20EfPKPfEEv13rocblas_fill_17rocblas_diagonal_T1_iil.has_recursion, 0
	.set _ZN9rocsolver6v33100L18trti2_kernel_smallILi20EfPKPfEEv13rocblas_fill_17rocblas_diagonal_T1_iil.has_indirect_call, 0
	.section	.AMDGPU.csdata,"",@progbits
; Kernel info:
; codeLenInByte = 28712
; TotalNumSgprs: 27
; NumVgprs: 121
; ScratchSize: 0
; MemoryBound: 0
; FloatMode: 240
; IeeeMode: 1
; LDSByteSize: 160 bytes/workgroup (compile time only)
; SGPRBlocks: 0
; VGPRBlocks: 7
; NumSGPRsForWavesPerEU: 27
; NumVGPRsForWavesPerEU: 121
; NamedBarCnt: 0
; Occupancy: 8
; WaveLimiterHint : 1
; COMPUTE_PGM_RSRC2:SCRATCH_EN: 0
; COMPUTE_PGM_RSRC2:USER_SGPR: 2
; COMPUTE_PGM_RSRC2:TRAP_HANDLER: 0
; COMPUTE_PGM_RSRC2:TGID_X_EN: 1
; COMPUTE_PGM_RSRC2:TGID_Y_EN: 0
; COMPUTE_PGM_RSRC2:TGID_Z_EN: 0
; COMPUTE_PGM_RSRC2:TIDIG_COMP_CNT: 0
	.section	.text._ZN9rocsolver6v33100L18trti2_kernel_smallILi21EfPKPfEEv13rocblas_fill_17rocblas_diagonal_T1_iil,"axG",@progbits,_ZN9rocsolver6v33100L18trti2_kernel_smallILi21EfPKPfEEv13rocblas_fill_17rocblas_diagonal_T1_iil,comdat
	.globl	_ZN9rocsolver6v33100L18trti2_kernel_smallILi21EfPKPfEEv13rocblas_fill_17rocblas_diagonal_T1_iil ; -- Begin function _ZN9rocsolver6v33100L18trti2_kernel_smallILi21EfPKPfEEv13rocblas_fill_17rocblas_diagonal_T1_iil
	.p2align	8
	.type	_ZN9rocsolver6v33100L18trti2_kernel_smallILi21EfPKPfEEv13rocblas_fill_17rocblas_diagonal_T1_iil,@function
_ZN9rocsolver6v33100L18trti2_kernel_smallILi21EfPKPfEEv13rocblas_fill_17rocblas_diagonal_T1_iil: ; @_ZN9rocsolver6v33100L18trti2_kernel_smallILi21EfPKPfEEv13rocblas_fill_17rocblas_diagonal_T1_iil
; %bb.0:
	s_mov_b32 s2, exec_lo
	v_cmpx_gt_u32_e32 21, v0
	s_cbranch_execz .LBB84_510
; %bb.1:
	s_clause 0x1
	s_load_b64 s[2:3], s[0:1], 0x10
	s_load_b128 s[24:27], s[0:1], 0x0
	s_wait_xcnt 0x0
	s_bfe_u32 s0, ttmp6, 0x4000c
	s_and_b32 s1, ttmp6, 15
	s_add_co_i32 s0, s0, 1
	s_getreg_b32 s4, hwreg(HW_REG_IB_STS2, 6, 4)
	s_mul_i32 s0, ttmp9, s0
	v_mov_b32_e32 v1, 0
	s_add_co_i32 s0, s1, s0
	s_delay_alu instid0(VALU_DEP_1)
	v_mov_b32_e32 v35, v1
	s_wait_kmcnt 0x0
	v_add3_u32 v66, s3, s3, v0
	s_ashr_i32 s1, s2, 31
	s_cmp_eq_u32 s4, 0
	s_cselect_b32 s4, ttmp9, s0
	s_delay_alu instid0(VALU_DEP_1)
	v_add_nc_u32_e32 v68, s3, v66
	s_ashr_i32 s5, s4, 31
	s_mov_b32 s0, s2
	s_lshl_b64 s[4:5], s[4:5], 3
	s_lshl_b64 s[0:1], s[0:1], 2
	v_add_nc_u32_e32 v70, s3, v68
	s_add_nc_u64 s[4:5], s[26:27], s[4:5]
	s_load_b64 s[4:5], s[4:5], 0x0
	s_delay_alu instid0(VALU_DEP_1) | instskip(NEXT) | instid1(VALU_DEP_1)
	v_add_nc_u32_e32 v72, s3, v70
	v_add_nc_u32_e32 v74, s3, v72
	s_delay_alu instid0(VALU_DEP_1) | instskip(NEXT) | instid1(VALU_DEP_1)
	v_add_nc_u32_e32 v76, s3, v74
	v_add_nc_u32_e32 v78, s3, v76
	s_wait_kmcnt 0x0
	s_add_nc_u64 s[22:23], s[4:5], s[0:1]
	s_mov_b32 s0, s3
	s_delay_alu instid0(VALU_DEP_1) | instskip(SKIP_3) | instid1(VALU_DEP_1)
	v_add_nc_u32_e32 v80, s3, v78
	s_ashr_i32 s1, s3, 31
	s_cmp_lg_u32 s25, 0x84
	s_cselect_b32 s21, -1, 0
	v_add_nc_u32_e32 v82, s3, v80
	s_cmp_eq_u32 s25, 0x84
	s_delay_alu instid0(VALU_DEP_1) | instskip(NEXT) | instid1(VALU_DEP_1)
	v_add_nc_u32_e32 v84, s3, v82
	v_add_nc_u32_e32 v86, s3, v84
	s_delay_alu instid0(VALU_DEP_1) | instskip(NEXT) | instid1(VALU_DEP_1)
	v_add_nc_u32_e32 v88, s3, v86
	v_add_nc_u32_e32 v92, s3, v88
	;; [unrolled: 3-line block ×3, first 2 shown]
	s_delay_alu instid0(VALU_DEP_1) | instskip(NEXT) | instid1(VALU_DEP_1)
	v_dual_lshlrev_b32 v34, 2, v0 :: v_dual_add_nc_u32 v100, s3, v98
	v_add_nc_u64_e32 v[90:91], s[22:23], v[34:35]
	s_delay_alu instid0(VALU_DEP_2) | instskip(NEXT) | instid1(VALU_DEP_2)
	v_dual_mov_b32 v35, -1.0 :: v_dual_add_nc_u32 v102, s3, v100
	v_lshl_add_u64 v[94:95], s[0:1], 2, v[90:91]
	v_cmp_eq_u32_e64 s0, 0, v0
	s_delay_alu instid0(VALU_DEP_3)
	v_add_nc_u32_e32 v104, s3, v102
	s_clause 0xf
	flat_load_b32 v3, v[94:95]
	flat_load_b32 v4, v66, s[22:23] scale_offset
	flat_load_b32 v5, v68, s[22:23] scale_offset
	;; [unrolled: 1-line block ×15, first 2 shown]
	v_add_nc_u32_e32 v106, s3, v104
	s_clause 0x4
	flat_load_b32 v2, v0, s[22:23] scale_offset
	flat_load_b32 v19, v100, s[22:23] scale_offset
	;; [unrolled: 1-line block ×5, first 2 shown]
	s_cbranch_scc1 .LBB84_3
; %bb.2:
	v_cmp_eq_u32_e64 s1, 1, v0
	v_cmp_eq_u32_e64 s2, 2, v0
	v_cmp_eq_u32_e64 s3, 3, v0
	v_cmp_eq_u32_e64 s4, 4, v0
	v_cmp_eq_u32_e64 s5, 5, v0
	s_wait_loadcnt_dscnt 0x404
	v_cndmask_b32_e64 v23, v2, v3, s1
	v_cmp_eq_u32_e64 s6, 6, v0
	v_cmp_eq_u32_e64 s7, 7, v0
	v_cmp_eq_u32_e64 s8, 8, v0
	v_cmp_eq_u32_e64 s9, 9, v0
	v_cndmask_b32_e64 v23, v23, v4, s2
	v_cmp_eq_u32_e64 s10, 10, v0
	v_cmp_eq_u32_e64 s11, 11, v0
	v_cmp_eq_u32_e64 s12, 12, v0
	v_cmp_eq_u32_e64 s13, 13, v0
	;; [unrolled: 5-line block ×3, first 2 shown]
	v_cndmask_b32_e64 v23, v23, v6, s4
	v_cmp_eq_u32_e64 s18, 18, v0
	v_cmp_eq_u32_e64 s19, 19, v0
	;; [unrolled: 1-line block ×3, first 2 shown]
	s_delay_alu instid0(VALU_DEP_4) | instskip(NEXT) | instid1(VALU_DEP_1)
	v_cndmask_b32_e64 v23, v23, v7, s5
	v_cndmask_b32_e64 v23, v23, v8, s6
	s_delay_alu instid0(VALU_DEP_1) | instskip(NEXT) | instid1(VALU_DEP_1)
	v_cndmask_b32_e64 v23, v23, v9, s7
	v_cndmask_b32_e64 v23, v23, v10, s8
	s_delay_alu instid0(VALU_DEP_1) | instskip(NEXT) | instid1(VALU_DEP_1)
	;; [unrolled: 3-line block ×5, first 2 shown]
	v_cndmask_b32_e64 v23, v23, v17, s15
	v_cndmask_b32_e64 v23, v23, v18, s16
	s_wait_loadcnt_dscnt 0x303
	s_delay_alu instid0(VALU_DEP_1) | instskip(SKIP_1) | instid1(VALU_DEP_1)
	v_cndmask_b32_e64 v23, v23, v19, s17
	s_wait_loadcnt_dscnt 0x202
	v_cndmask_b32_e64 v23, v23, v20, s18
	s_wait_loadcnt_dscnt 0x101
	s_delay_alu instid0(VALU_DEP_1) | instskip(SKIP_1) | instid1(VALU_DEP_1)
	v_cndmask_b32_e64 v23, v23, v21, s19
	s_wait_loadcnt_dscnt 0x0
	v_cndmask_b32_e64 v23, v23, v22, s20
	s_delay_alu instid0(VALU_DEP_1) | instskip(SKIP_1) | instid1(VALU_DEP_2)
	v_div_scale_f32 v24, null, v23, v23, 1.0
	v_div_scale_f32 v27, vcc_lo, 1.0, v23, 1.0
	v_rcp_f32_e32 v25, v24
	v_nop
	s_delay_alu instid0(TRANS32_DEP_1) | instskip(NEXT) | instid1(VALU_DEP_1)
	v_fma_f32 v26, -v24, v25, 1.0
	v_fmac_f32_e32 v25, v26, v25
	s_delay_alu instid0(VALU_DEP_1) | instskip(NEXT) | instid1(VALU_DEP_1)
	v_mul_f32_e32 v26, v27, v25
	v_fma_f32 v28, -v24, v26, v27
	s_delay_alu instid0(VALU_DEP_1) | instskip(NEXT) | instid1(VALU_DEP_1)
	v_fmac_f32_e32 v26, v28, v25
	v_fma_f32 v24, -v24, v26, v27
	s_delay_alu instid0(VALU_DEP_1) | instskip(NEXT) | instid1(VALU_DEP_1)
	v_div_fmas_f32 v24, v24, v25, v26
	v_div_fixup_f32 v23, v24, v23, 1.0
	s_delay_alu instid0(VALU_DEP_1)
	v_dual_cndmask_b32 v22, v22, v23, s20 :: v_dual_cndmask_b32 v21, v21, v23, s19
	v_dual_cndmask_b32 v20, v20, v23, s18 :: v_dual_cndmask_b32 v19, v19, v23, s17
	;; [unrolled: 1-line block ×10, first 2 shown]
	v_cndmask_b32_e64 v2, v2, v23, s0
	v_xor_b32_e32 v35, 0x80000000, v23
.LBB84_3:
	v_dual_ashrrev_i32 v67, 31, v66 :: v_dual_ashrrev_i32 v69, 31, v68
	v_dual_ashrrev_i32 v71, 31, v70 :: v_dual_ashrrev_i32 v73, 31, v72
	v_dual_ashrrev_i32 v75, 31, v74 :: v_dual_ashrrev_i32 v77, 31, v76
	v_dual_ashrrev_i32 v79, 31, v78 :: v_dual_ashrrev_i32 v81, 31, v80
	v_dual_ashrrev_i32 v83, 31, v82 :: v_dual_ashrrev_i32 v85, 31, v84
	v_dual_ashrrev_i32 v87, 31, v86 :: v_dual_ashrrev_i32 v89, 31, v88
	v_dual_ashrrev_i32 v93, 31, v92 :: v_dual_ashrrev_i32 v99, 31, v98
	v_dual_ashrrev_i32 v97, 31, v96 :: v_dual_ashrrev_i32 v103, 31, v102
	v_dual_ashrrev_i32 v101, 31, v100 :: v_dual_ashrrev_i32 v107, 31, v106
	v_ashrrev_i32_e32 v105, 31, v104
	v_add_nc_u32_e32 v111, 0x60, v34
	s_cmp_eq_u32 s24, 0x79
	ds_store_b32 v34, v35
	s_cbranch_scc1 .LBB84_7
; %bb.4:
	s_wait_loadcnt_dscnt 0x1
	v_mov_b64_e32 v[64:65], v[32:33]
	v_mov_b64_e32 v[62:63], v[30:31]
	v_mov_b64_e32 v[60:61], v[28:29]
	v_mov_b64_e32 v[58:59], v[26:27]
	v_mov_b64_e32 v[56:57], v[24:25]
	v_mov_b64_e32 v[54:55], v[22:23]
	v_mov_b64_e32 v[52:53], v[20:21]
	v_mov_b64_e32 v[50:51], v[18:19]
	v_mov_b64_e32 v[48:49], v[16:17]
	v_mov_b64_e32 v[46:47], v[14:15]
	v_mov_b64_e32 v[44:45], v[12:13]
	v_mov_b64_e32 v[42:43], v[10:11]
	v_mov_b64_e32 v[40:41], v[8:9]
	v_mov_b64_e32 v[38:39], v[6:7]
	v_mov_b64_e32 v[36:37], v[4:5]
	v_mov_b64_e32 v[34:35], v[2:3]
	v_cmp_eq_u32_e64 s1, 20, v0
	ds_store_b32 v111, v21
	s_wait_dscnt 0x0
	s_barrier_signal -1
	s_barrier_wait -1
	s_and_saveexec_b32 s0, s1
	s_cbranch_execz .LBB84_11
; %bb.5:
	s_and_b32 vcc_lo, exec_lo, s21
	s_cbranch_vccz .LBB84_8
; %bb.6:
	v_cmp_eq_u32_e32 vcc_lo, 1, v0
	ds_load_b32 v35, v111
	v_cndmask_b32_e32 v34, v2, v3, vcc_lo
	v_cmp_eq_u32_e32 vcc_lo, 2, v0
	s_delay_alu instid0(VALU_DEP_2) | instskip(SKIP_1) | instid1(VALU_DEP_2)
	v_cndmask_b32_e32 v34, v34, v4, vcc_lo
	v_cmp_eq_u32_e32 vcc_lo, 3, v0
	v_cndmask_b32_e32 v34, v34, v5, vcc_lo
	v_cmp_eq_u32_e32 vcc_lo, 4, v0
	s_delay_alu instid0(VALU_DEP_2) | instskip(SKIP_1) | instid1(VALU_DEP_2)
	v_cndmask_b32_e32 v34, v34, v6, vcc_lo
	v_cmp_eq_u32_e32 vcc_lo, 5, v0
	;; [unrolled: 5-line block ×9, first 2 shown]
	v_cndmask_b32_e32 v34, v34, v21, vcc_lo
	v_cmp_eq_u32_e32 vcc_lo, 20, v0
	s_delay_alu instid0(VALU_DEP_2) | instskip(SKIP_1) | instid1(VALU_DEP_1)
	v_cndmask_b32_e32 v34, v34, v22, vcc_lo
	s_wait_dscnt 0x0
	v_mul_f32_e32 v53, v34, v35
	s_cbranch_execz .LBB84_9
	s_branch .LBB84_10
.LBB84_7:
                                        ; implicit-def: $vgpr34_vgpr35_vgpr36_vgpr37_vgpr38_vgpr39_vgpr40_vgpr41_vgpr42_vgpr43_vgpr44_vgpr45_vgpr46_vgpr47_vgpr48_vgpr49_vgpr50_vgpr51_vgpr52_vgpr53_vgpr54_vgpr55_vgpr56_vgpr57_vgpr58_vgpr59_vgpr60_vgpr61_vgpr62_vgpr63_vgpr64_vgpr65
	s_cbranch_execnz .LBB84_306
	s_branch .LBB84_509
.LBB84_8:
                                        ; implicit-def: $vgpr53
.LBB84_9:
	ds_load_b32 v53, v111
.LBB84_10:
	v_dual_mov_b32 v34, 0 :: v_dual_mov_b32 v35, v3
	v_dual_mov_b32 v37, v5 :: v_dual_mov_b32 v38, v6
	;; [unrolled: 1-line block ×3, first 2 shown]
	ds_load_b32 v54, v34 offset:76
	v_dual_mov_b32 v34, v2 :: v_dual_mov_b32 v36, v4
	v_dual_mov_b32 v41, v9 :: v_dual_mov_b32 v42, v10
	;; [unrolled: 1-line block ×7, first 2 shown]
	s_wait_dscnt 0x0
	v_dual_mul_f32 v53, v53, v54 :: v_dual_mov_b32 v54, v22
.LBB84_11:
	s_or_b32 exec_lo, exec_lo, s0
	v_cmp_lt_u32_e64 s0, 18, v0
	ds_store_b32 v111, v52
	s_wait_dscnt 0x0
	s_barrier_signal -1
	s_barrier_wait -1
	s_and_saveexec_b32 s2, s0
	s_cbranch_execz .LBB84_17
; %bb.12:
	s_and_not1_b32 vcc_lo, exec_lo, s21
	s_cbranch_vccnz .LBB84_14
; %bb.13:
	v_cmp_eq_u32_e32 vcc_lo, 1, v0
	ds_load_b32 v56, v111
	v_cndmask_b32_e32 v55, v34, v35, vcc_lo
	v_cmp_eq_u32_e32 vcc_lo, 2, v0
	s_delay_alu instid0(VALU_DEP_2) | instskip(SKIP_1) | instid1(VALU_DEP_2)
	v_cndmask_b32_e32 v55, v55, v36, vcc_lo
	v_cmp_eq_u32_e32 vcc_lo, 3, v0
	v_cndmask_b32_e32 v55, v55, v37, vcc_lo
	v_cmp_eq_u32_e32 vcc_lo, 4, v0
	s_delay_alu instid0(VALU_DEP_2) | instskip(SKIP_1) | instid1(VALU_DEP_2)
	v_cndmask_b32_e32 v55, v55, v38, vcc_lo
	v_cmp_eq_u32_e32 vcc_lo, 5, v0
	;; [unrolled: 5-line block ×9, first 2 shown]
	v_cndmask_b32_e32 v52, v52, v53, vcc_lo
	v_cmp_eq_u32_e32 vcc_lo, 20, v0
	s_delay_alu instid0(VALU_DEP_2) | instskip(SKIP_1) | instid1(VALU_DEP_1)
	v_cndmask_b32_e32 v52, v52, v54, vcc_lo
	s_wait_dscnt 0x0
	v_mul_f32_e32 v52, v52, v56
	s_cbranch_execz .LBB84_15
	s_branch .LBB84_16
.LBB84_14:
                                        ; implicit-def: $vgpr52
.LBB84_15:
	ds_load_b32 v52, v111
.LBB84_16:
	v_mov_b32_e32 v55, 0
	ds_load_2addr_b32 v[56:57], v55 offset0:18 offset1:43
	s_wait_dscnt 0x0
	v_fma_f32 v55, v53, v57, v52
	s_delay_alu instid0(VALU_DEP_1) | instskip(NEXT) | instid1(VALU_DEP_1)
	v_cndmask_b32_e64 v52, v52, v55, s1
	v_mul_f32_e32 v52, v52, v56
.LBB84_17:
	s_or_b32 exec_lo, exec_lo, s2
	v_cmp_lt_u32_e64 s1, 17, v0
	ds_store_b32 v111, v51
	s_wait_dscnt 0x0
	s_barrier_signal -1
	s_barrier_wait -1
	s_and_saveexec_b32 s4, s1
	s_cbranch_execz .LBB84_33
; %bb.18:
	s_and_not1_b32 vcc_lo, exec_lo, s21
	s_cbranch_vccnz .LBB84_20
; %bb.19:
	v_cmp_eq_u32_e32 vcc_lo, 1, v0
	ds_load_b32 v109, v111
	v_cndmask_b32_e32 v108, v34, v35, vcc_lo
	v_cmp_eq_u32_e32 vcc_lo, 2, v0
	s_delay_alu instid0(VALU_DEP_2) | instskip(SKIP_1) | instid1(VALU_DEP_2)
	v_cndmask_b32_e32 v108, v108, v36, vcc_lo
	v_cmp_eq_u32_e32 vcc_lo, 3, v0
	v_cndmask_b32_e32 v108, v108, v37, vcc_lo
	v_cmp_eq_u32_e32 vcc_lo, 4, v0
	s_delay_alu instid0(VALU_DEP_2) | instskip(SKIP_1) | instid1(VALU_DEP_2)
	v_cndmask_b32_e32 v108, v108, v38, vcc_lo
	v_cmp_eq_u32_e32 vcc_lo, 5, v0
	;; [unrolled: 5-line block ×9, first 2 shown]
	v_cndmask_b32_e32 v108, v108, v53, vcc_lo
	v_cmp_eq_u32_e32 vcc_lo, 20, v0
	s_delay_alu instid0(VALU_DEP_2) | instskip(SKIP_1) | instid1(VALU_DEP_1)
	v_cndmask_b32_e32 v108, v108, v54, vcc_lo
	s_wait_dscnt 0x0
	v_mul_f32_e32 v112, v108, v109
	s_cbranch_execz .LBB84_21
	s_branch .LBB84_22
.LBB84_20:
                                        ; implicit-def: $vgpr112
.LBB84_21:
	ds_load_b32 v112, v111
.LBB84_22:
	s_and_saveexec_b32 s5, s0
	s_cbranch_execz .LBB84_32
; %bb.23:
	v_subrev_nc_u32_e32 v110, 19, v0
	v_mov_b32_e32 v108, 18
	v_subrev_nc_u32_e32 v109, 18, v0
	s_mov_b32 s0, exec_lo
	s_delay_alu instid0(VALU_DEP_3)
	v_cmpx_lt_u32_e32 6, v110
	s_cbranch_execz .LBB84_27
; %bb.24:
	s_delay_alu instid0(VALU_DEP_2) | instskip(SKIP_3) | instid1(VALU_DEP_1)
	v_and_b32_e32 v108, -8, v109
	s_mov_b32 s6, 0
	s_mov_b64 s[2:3], 25
	s_movk_i32 s7, 0xa8
	v_sub_nc_u32_e32 v110, 0, v108
.LBB84_25:                              ; =>This Inner Loop Header: Depth=1
	s_add_co_i32 m0, s2, -7
	v_movrels_b32_e32 v113, v34
	v_mov_b32_e32 v108, s7
	s_add_co_i32 m0, s2, -6
	s_add_co_i32 s7, s7, 32
	v_movrels_b32_e32 v122, v34
	s_add_co_i32 m0, s2, -5
	ds_load_2addr_b64 v[114:117], v108 offset1:1
	ds_load_2addr_b64 v[118:121], v108 offset0:2 offset1:3
	v_movrels_b32_e32 v108, v34
	s_add_co_i32 m0, s2, -4
	s_wait_dscnt 0x1
	v_fmac_f32_e32 v112, v113, v114
	v_movrels_b32_e32 v113, v34
	s_add_co_i32 m0, s2, -3
	s_delay_alu instid0(VALU_DEP_2) | instskip(NEXT) | instid1(VALU_DEP_1)
	v_fmac_f32_e32 v112, v122, v115
	v_fmac_f32_e32 v112, v108, v116
	v_movrels_b32_e32 v108, v34
	s_add_co_i32 m0, s2, -2
	s_delay_alu instid0(VALU_DEP_2) | instskip(SKIP_3) | instid1(VALU_DEP_2)
	v_fmac_f32_e32 v112, v113, v117
	v_movrels_b32_e32 v113, v34
	s_add_co_i32 m0, s2, -1
	s_wait_dscnt 0x0
	v_fmac_f32_e32 v112, v108, v118
	v_movrels_b32_e32 v108, v34
	s_mov_b32 m0, s2
	s_add_nc_u64 s[2:3], s[2:3], 8
	v_movrels_b32_e32 v114, v34
	v_dual_fmac_f32 v112, v113, v119 :: v_dual_add_nc_u32 v113, s2, v110
	s_add_co_i32 s8, s2, -7
	s_delay_alu instid0(VALU_DEP_1) | instskip(NEXT) | instid1(VALU_DEP_2)
	v_fmac_f32_e32 v112, v108, v120
	v_cmp_eq_u32_e32 vcc_lo, 25, v113
	s_delay_alu instid0(VALU_DEP_2) | instskip(SKIP_1) | instid1(SALU_CYCLE_1)
	v_dual_mov_b32 v108, s8 :: v_dual_fmac_f32 v112, v114, v121
	s_or_b32 s6, vcc_lo, s6
	s_and_not1_b32 exec_lo, exec_lo, s6
	s_cbranch_execnz .LBB84_25
; %bb.26:
	s_or_b32 exec_lo, exec_lo, s6
.LBB84_27:
	s_delay_alu instid0(SALU_CYCLE_1) | instskip(SKIP_3) | instid1(VALU_DEP_1)
	s_or_b32 exec_lo, exec_lo, s0
	v_and_b32_e32 v55, 7, v109
	s_mov_b32 s2, 0
	s_mov_b32 s0, exec_lo
	v_cmpx_ne_u32_e32 0, v55
	s_cbranch_execz .LBB84_31
; %bb.28:
	v_lshl_add_u32 v56, v108, 2, 0x60
	v_mov_b32_e32 v109, 0
.LBB84_29:                              ; =>This Inner Loop Header: Depth=1
	v_cmp_eq_u32_e32 vcc_lo, 1, v108
	ds_load_b32 v58, v56
	v_dual_add_nc_u32 v56, 4, v56 :: v_dual_add_nc_u32 v55, -1, v55
	v_cndmask_b32_e32 v57, v34, v35, vcc_lo
	v_cmp_eq_u32_e32 vcc_lo, 2, v108
	s_delay_alu instid0(VALU_DEP_2) | instskip(SKIP_1) | instid1(VALU_DEP_2)
	v_cndmask_b32_e32 v57, v57, v36, vcc_lo
	v_cmp_eq_u32_e32 vcc_lo, 3, v108
	v_cndmask_b32_e32 v57, v57, v37, vcc_lo
	v_cmp_eq_u32_e32 vcc_lo, 4, v108
	s_delay_alu instid0(VALU_DEP_2) | instskip(SKIP_1) | instid1(VALU_DEP_2)
	v_cndmask_b32_e32 v57, v57, v38, vcc_lo
	v_cmp_eq_u32_e32 vcc_lo, 5, v108
	;; [unrolled: 5-line block ×9, first 2 shown]
	v_cndmask_b32_e32 v57, v57, v53, vcc_lo
	v_cmp_eq_u32_e32 vcc_lo, 20, v108
	v_add_nc_u64_e32 v[108:109], 1, v[108:109]
	s_delay_alu instid0(VALU_DEP_3) | instskip(SKIP_2) | instid1(VALU_DEP_2)
	v_cndmask_b32_e32 v57, v57, v54, vcc_lo
	v_cmp_eq_u32_e32 vcc_lo, 0, v55
	s_wait_dscnt 0x0
	v_fmac_f32_e32 v112, v57, v58
	s_or_b32 s2, vcc_lo, s2
	s_delay_alu instid0(SALU_CYCLE_1)
	s_and_not1_b32 exec_lo, exec_lo, s2
	s_cbranch_execnz .LBB84_29
; %bb.30:
	s_or_b32 exec_lo, exec_lo, s2
.LBB84_31:
	s_delay_alu instid0(SALU_CYCLE_1)
	s_or_b32 exec_lo, exec_lo, s0
.LBB84_32:
	s_delay_alu instid0(SALU_CYCLE_1)
	s_or_b32 exec_lo, exec_lo, s5
	v_mov_b32_e32 v51, 0
	ds_load_b32 v51, v51 offset:68
	s_wait_dscnt 0x0
	v_mul_f32_e32 v51, v112, v51
.LBB84_33:
	s_or_b32 exec_lo, exec_lo, s4
	v_cmp_lt_u32_e64 s0, 16, v0
	ds_store_b32 v111, v50
	s_wait_dscnt 0x0
	s_barrier_signal -1
	s_barrier_wait -1
	s_and_saveexec_b32 s4, s0
	s_cbranch_execz .LBB84_49
; %bb.34:
	s_and_not1_b32 vcc_lo, exec_lo, s21
	s_cbranch_vccnz .LBB84_36
; %bb.35:
	v_cmp_eq_u32_e32 vcc_lo, 1, v0
	ds_load_b32 v109, v111
	v_cndmask_b32_e32 v108, v34, v35, vcc_lo
	v_cmp_eq_u32_e32 vcc_lo, 2, v0
	s_delay_alu instid0(VALU_DEP_2) | instskip(SKIP_1) | instid1(VALU_DEP_2)
	v_cndmask_b32_e32 v108, v108, v36, vcc_lo
	v_cmp_eq_u32_e32 vcc_lo, 3, v0
	v_cndmask_b32_e32 v108, v108, v37, vcc_lo
	v_cmp_eq_u32_e32 vcc_lo, 4, v0
	s_delay_alu instid0(VALU_DEP_2) | instskip(SKIP_1) | instid1(VALU_DEP_2)
	v_cndmask_b32_e32 v108, v108, v38, vcc_lo
	v_cmp_eq_u32_e32 vcc_lo, 5, v0
	;; [unrolled: 5-line block ×9, first 2 shown]
	v_cndmask_b32_e32 v108, v108, v53, vcc_lo
	v_cmp_eq_u32_e32 vcc_lo, 20, v0
	s_delay_alu instid0(VALU_DEP_2) | instskip(SKIP_1) | instid1(VALU_DEP_1)
	v_cndmask_b32_e32 v108, v108, v54, vcc_lo
	s_wait_dscnt 0x0
	v_mul_f32_e32 v112, v108, v109
	s_cbranch_execz .LBB84_37
	s_branch .LBB84_38
.LBB84_36:
                                        ; implicit-def: $vgpr112
.LBB84_37:
	ds_load_b32 v112, v111
.LBB84_38:
	s_and_saveexec_b32 s5, s1
	s_cbranch_execz .LBB84_48
; %bb.39:
	v_subrev_nc_u32_e32 v110, 18, v0
	v_mov_b32_e32 v108, 17
	v_subrev_nc_u32_e32 v109, 17, v0
	s_mov_b32 s1, exec_lo
	s_delay_alu instid0(VALU_DEP_3)
	v_cmpx_lt_u32_e32 6, v110
	s_cbranch_execz .LBB84_43
; %bb.40:
	s_delay_alu instid0(VALU_DEP_2) | instskip(SKIP_3) | instid1(VALU_DEP_1)
	v_and_b32_e32 v108, -8, v109
	s_mov_b32 s6, 0
	s_mov_b64 s[2:3], 24
	s_movk_i32 s7, 0xa4
	v_sub_nc_u32_e32 v110, 0, v108
.LBB84_41:                              ; =>This Inner Loop Header: Depth=1
	s_add_co_i32 m0, s2, -7
	v_movrels_b32_e32 v113, v34
	v_mov_b32_e32 v108, s7
	s_add_co_i32 m0, s2, -6
	s_add_co_i32 s7, s7, 32
	v_movrels_b32_e32 v122, v34
	ds_load_2addr_b32 v[114:115], v108 offset1:1
	ds_load_2addr_b32 v[116:117], v108 offset0:2 offset1:3
	s_add_co_i32 m0, s2, -5
	s_wait_dscnt 0x1
	v_fmac_f32_e32 v112, v113, v114
	ds_load_2addr_b32 v[118:119], v108 offset0:4 offset1:5
	ds_load_2addr_b32 v[120:121], v108 offset0:6 offset1:7
	v_movrels_b32_e32 v108, v34
	s_add_co_i32 m0, s2, -4
	v_fmac_f32_e32 v112, v122, v115
	v_movrels_b32_e32 v113, v34
	s_add_co_i32 m0, s2, -3
	s_wait_dscnt 0x2
	s_delay_alu instid0(VALU_DEP_2) | instskip(SKIP_2) | instid1(VALU_DEP_2)
	v_fmac_f32_e32 v112, v108, v116
	v_movrels_b32_e32 v108, v34
	s_add_co_i32 m0, s2, -2
	v_fmac_f32_e32 v112, v113, v117
	v_movrels_b32_e32 v113, v34
	s_add_co_i32 m0, s2, -1
	s_wait_dscnt 0x1
	s_delay_alu instid0(VALU_DEP_2)
	v_fmac_f32_e32 v112, v108, v118
	v_movrels_b32_e32 v108, v34
	s_mov_b32 m0, s2
	s_add_nc_u64 s[2:3], s[2:3], 8
	v_movrels_b32_e32 v114, v34
	v_dual_fmac_f32 v112, v113, v119 :: v_dual_add_nc_u32 v113, s2, v110
	s_add_co_i32 s8, s2, -7
	s_wait_dscnt 0x0
	s_delay_alu instid0(VALU_DEP_1) | instskip(NEXT) | instid1(VALU_DEP_2)
	v_fmac_f32_e32 v112, v108, v120
	v_cmp_eq_u32_e32 vcc_lo, 24, v113
	s_delay_alu instid0(VALU_DEP_2) | instskip(SKIP_1) | instid1(SALU_CYCLE_1)
	v_dual_mov_b32 v108, s8 :: v_dual_fmac_f32 v112, v114, v121
	s_or_b32 s6, vcc_lo, s6
	s_and_not1_b32 exec_lo, exec_lo, s6
	s_cbranch_execnz .LBB84_41
; %bb.42:
	s_or_b32 exec_lo, exec_lo, s6
.LBB84_43:
	s_delay_alu instid0(SALU_CYCLE_1) | instskip(SKIP_3) | instid1(VALU_DEP_1)
	s_or_b32 exec_lo, exec_lo, s1
	v_and_b32_e32 v55, 7, v109
	s_mov_b32 s2, 0
	s_mov_b32 s1, exec_lo
	v_cmpx_ne_u32_e32 0, v55
	s_cbranch_execz .LBB84_47
; %bb.44:
	v_lshl_add_u32 v56, v108, 2, 0x60
	v_mov_b32_e32 v109, 0
.LBB84_45:                              ; =>This Inner Loop Header: Depth=1
	v_cmp_eq_u32_e32 vcc_lo, 1, v108
	ds_load_b32 v58, v56
	v_dual_add_nc_u32 v56, 4, v56 :: v_dual_add_nc_u32 v55, -1, v55
	v_cndmask_b32_e32 v57, v34, v35, vcc_lo
	v_cmp_eq_u32_e32 vcc_lo, 2, v108
	s_delay_alu instid0(VALU_DEP_2) | instskip(SKIP_1) | instid1(VALU_DEP_2)
	v_cndmask_b32_e32 v57, v57, v36, vcc_lo
	v_cmp_eq_u32_e32 vcc_lo, 3, v108
	v_cndmask_b32_e32 v57, v57, v37, vcc_lo
	v_cmp_eq_u32_e32 vcc_lo, 4, v108
	s_delay_alu instid0(VALU_DEP_2) | instskip(SKIP_1) | instid1(VALU_DEP_2)
	v_cndmask_b32_e32 v57, v57, v38, vcc_lo
	v_cmp_eq_u32_e32 vcc_lo, 5, v108
	;; [unrolled: 5-line block ×9, first 2 shown]
	v_cndmask_b32_e32 v57, v57, v53, vcc_lo
	v_cmp_eq_u32_e32 vcc_lo, 20, v108
	v_add_nc_u64_e32 v[108:109], 1, v[108:109]
	s_delay_alu instid0(VALU_DEP_3) | instskip(SKIP_2) | instid1(VALU_DEP_2)
	v_cndmask_b32_e32 v57, v57, v54, vcc_lo
	v_cmp_eq_u32_e32 vcc_lo, 0, v55
	s_wait_dscnt 0x0
	v_fmac_f32_e32 v112, v57, v58
	s_or_b32 s2, vcc_lo, s2
	s_delay_alu instid0(SALU_CYCLE_1)
	s_and_not1_b32 exec_lo, exec_lo, s2
	s_cbranch_execnz .LBB84_45
; %bb.46:
	s_or_b32 exec_lo, exec_lo, s2
.LBB84_47:
	s_delay_alu instid0(SALU_CYCLE_1)
	s_or_b32 exec_lo, exec_lo, s1
.LBB84_48:
	s_delay_alu instid0(SALU_CYCLE_1)
	s_or_b32 exec_lo, exec_lo, s5
	v_mov_b32_e32 v50, 0
	ds_load_b32 v50, v50 offset:64
	s_wait_dscnt 0x0
	v_mul_f32_e32 v50, v112, v50
.LBB84_49:
	s_or_b32 exec_lo, exec_lo, s4
	v_cmp_lt_u32_e64 s1, 15, v0
	ds_store_b32 v111, v49
	s_wait_dscnt 0x0
	s_barrier_signal -1
	s_barrier_wait -1
	s_and_saveexec_b32 s4, s1
	s_cbranch_execz .LBB84_65
; %bb.50:
	s_and_not1_b32 vcc_lo, exec_lo, s21
	s_cbranch_vccnz .LBB84_52
; %bb.51:
	v_cmp_eq_u32_e32 vcc_lo, 1, v0
	ds_load_b32 v109, v111
	v_cndmask_b32_e32 v108, v34, v35, vcc_lo
	v_cmp_eq_u32_e32 vcc_lo, 2, v0
	s_delay_alu instid0(VALU_DEP_2) | instskip(SKIP_1) | instid1(VALU_DEP_2)
	v_cndmask_b32_e32 v108, v108, v36, vcc_lo
	v_cmp_eq_u32_e32 vcc_lo, 3, v0
	v_cndmask_b32_e32 v108, v108, v37, vcc_lo
	v_cmp_eq_u32_e32 vcc_lo, 4, v0
	s_delay_alu instid0(VALU_DEP_2) | instskip(SKIP_1) | instid1(VALU_DEP_2)
	v_cndmask_b32_e32 v108, v108, v38, vcc_lo
	v_cmp_eq_u32_e32 vcc_lo, 5, v0
	;; [unrolled: 5-line block ×9, first 2 shown]
	v_cndmask_b32_e32 v108, v108, v53, vcc_lo
	v_cmp_eq_u32_e32 vcc_lo, 20, v0
	s_delay_alu instid0(VALU_DEP_2) | instskip(SKIP_1) | instid1(VALU_DEP_1)
	v_cndmask_b32_e32 v108, v108, v54, vcc_lo
	s_wait_dscnt 0x0
	v_mul_f32_e32 v112, v108, v109
	s_cbranch_execz .LBB84_53
	s_branch .LBB84_54
.LBB84_52:
                                        ; implicit-def: $vgpr112
.LBB84_53:
	ds_load_b32 v112, v111
.LBB84_54:
	s_and_saveexec_b32 s5, s0
	s_cbranch_execz .LBB84_64
; %bb.55:
	v_subrev_nc_u32_e32 v108, 17, v0
	s_delay_alu instid0(VALU_DEP_1)
	v_cmp_lt_u32_e32 vcc_lo, 6, v108
	v_mov_b32_e32 v108, 16
	s_and_saveexec_b32 s0, vcc_lo
	s_cbranch_execz .LBB84_59
; %bb.56:
	v_and_b32_e32 v108, 24, v0
	s_mov_b32 s6, 0
	s_mov_b64 s[2:3], 23
	s_movk_i32 s7, 0xa0
	s_delay_alu instid0(VALU_DEP_1)
	v_sub_nc_u32_e32 v110, 0, v108
.LBB84_57:                              ; =>This Inner Loop Header: Depth=1
	s_add_co_i32 m0, s2, -7
	v_movrels_b32_e32 v109, v34
	v_mov_b32_e32 v108, s7
	s_add_co_i32 m0, s2, -6
	s_add_co_i32 s7, s7, 32
	v_movrels_b32_e32 v113, v34
	s_add_co_i32 m0, s2, -5
	ds_load_b128 v[114:117], v108
	ds_load_b128 v[118:121], v108 offset:16
	v_movrels_b32_e32 v108, v34
	s_add_co_i32 m0, s2, -4
	s_wait_dscnt 0x1
	v_fmac_f32_e32 v112, v109, v114
	v_movrels_b32_e32 v109, v34
	s_add_co_i32 m0, s2, -3
	s_delay_alu instid0(VALU_DEP_2) | instskip(NEXT) | instid1(VALU_DEP_1)
	v_fmac_f32_e32 v112, v113, v115
	v_fmac_f32_e32 v112, v108, v116
	v_movrels_b32_e32 v108, v34
	s_add_co_i32 m0, s2, -2
	s_delay_alu instid0(VALU_DEP_2) | instskip(SKIP_3) | instid1(VALU_DEP_2)
	v_fmac_f32_e32 v112, v109, v117
	v_movrels_b32_e32 v109, v34
	s_add_co_i32 m0, s2, -1
	s_wait_dscnt 0x0
	v_fmac_f32_e32 v112, v108, v118
	v_movrels_b32_e32 v108, v34
	s_mov_b32 m0, s2
	s_add_nc_u64 s[2:3], s[2:3], 8
	v_movrels_b32_e32 v113, v34
	v_dual_fmac_f32 v112, v109, v119 :: v_dual_add_nc_u32 v109, s2, v110
	s_add_co_i32 s8, s2, -7
	s_delay_alu instid0(VALU_DEP_1) | instskip(NEXT) | instid1(VALU_DEP_2)
	v_fmac_f32_e32 v112, v108, v120
	v_cmp_eq_u32_e32 vcc_lo, 7, v109
	s_delay_alu instid0(VALU_DEP_2) | instskip(SKIP_1) | instid1(SALU_CYCLE_1)
	v_dual_mov_b32 v108, s8 :: v_dual_fmac_f32 v112, v113, v121
	s_or_b32 s6, vcc_lo, s6
	s_and_not1_b32 exec_lo, exec_lo, s6
	s_cbranch_execnz .LBB84_57
; %bb.58:
	s_or_b32 exec_lo, exec_lo, s6
.LBB84_59:
	s_delay_alu instid0(SALU_CYCLE_1) | instskip(SKIP_3) | instid1(VALU_DEP_1)
	s_or_b32 exec_lo, exec_lo, s0
	v_and_b32_e32 v55, 7, v0
	s_mov_b32 s2, 0
	s_mov_b32 s0, exec_lo
	v_cmpx_ne_u32_e32 0, v55
	s_cbranch_execz .LBB84_63
; %bb.60:
	v_lshl_add_u32 v56, v108, 2, 0x60
	v_mov_b32_e32 v109, 0
.LBB84_61:                              ; =>This Inner Loop Header: Depth=1
	v_cmp_eq_u32_e32 vcc_lo, 1, v108
	ds_load_b32 v58, v56
	v_dual_add_nc_u32 v56, 4, v56 :: v_dual_add_nc_u32 v55, -1, v55
	v_cndmask_b32_e32 v57, v34, v35, vcc_lo
	v_cmp_eq_u32_e32 vcc_lo, 2, v108
	s_delay_alu instid0(VALU_DEP_2) | instskip(SKIP_1) | instid1(VALU_DEP_2)
	v_cndmask_b32_e32 v57, v57, v36, vcc_lo
	v_cmp_eq_u32_e32 vcc_lo, 3, v108
	v_cndmask_b32_e32 v57, v57, v37, vcc_lo
	v_cmp_eq_u32_e32 vcc_lo, 4, v108
	s_delay_alu instid0(VALU_DEP_2) | instskip(SKIP_1) | instid1(VALU_DEP_2)
	v_cndmask_b32_e32 v57, v57, v38, vcc_lo
	v_cmp_eq_u32_e32 vcc_lo, 5, v108
	;; [unrolled: 5-line block ×9, first 2 shown]
	v_cndmask_b32_e32 v57, v57, v53, vcc_lo
	v_cmp_eq_u32_e32 vcc_lo, 20, v108
	v_add_nc_u64_e32 v[108:109], 1, v[108:109]
	s_delay_alu instid0(VALU_DEP_3) | instskip(SKIP_2) | instid1(VALU_DEP_2)
	v_cndmask_b32_e32 v57, v57, v54, vcc_lo
	v_cmp_eq_u32_e32 vcc_lo, 0, v55
	s_wait_dscnt 0x0
	v_fmac_f32_e32 v112, v57, v58
	s_or_b32 s2, vcc_lo, s2
	s_delay_alu instid0(SALU_CYCLE_1)
	s_and_not1_b32 exec_lo, exec_lo, s2
	s_cbranch_execnz .LBB84_61
; %bb.62:
	s_or_b32 exec_lo, exec_lo, s2
.LBB84_63:
	s_delay_alu instid0(SALU_CYCLE_1)
	s_or_b32 exec_lo, exec_lo, s0
.LBB84_64:
	s_delay_alu instid0(SALU_CYCLE_1)
	s_or_b32 exec_lo, exec_lo, s5
	v_mov_b32_e32 v49, 0
	ds_load_b32 v49, v49 offset:60
	s_wait_dscnt 0x0
	v_mul_f32_e32 v49, v112, v49
.LBB84_65:
	s_or_b32 exec_lo, exec_lo, s4
	v_cmp_lt_u32_e64 s0, 14, v0
	ds_store_b32 v111, v48
	s_wait_dscnt 0x0
	s_barrier_signal -1
	s_barrier_wait -1
	s_and_saveexec_b32 s4, s0
	s_cbranch_execz .LBB84_81
; %bb.66:
	s_and_not1_b32 vcc_lo, exec_lo, s21
	s_cbranch_vccnz .LBB84_68
; %bb.67:
	v_cmp_eq_u32_e32 vcc_lo, 1, v0
	ds_load_b32 v109, v111
	v_cndmask_b32_e32 v108, v34, v35, vcc_lo
	v_cmp_eq_u32_e32 vcc_lo, 2, v0
	s_delay_alu instid0(VALU_DEP_2) | instskip(SKIP_1) | instid1(VALU_DEP_2)
	v_cndmask_b32_e32 v108, v108, v36, vcc_lo
	v_cmp_eq_u32_e32 vcc_lo, 3, v0
	v_cndmask_b32_e32 v108, v108, v37, vcc_lo
	v_cmp_eq_u32_e32 vcc_lo, 4, v0
	s_delay_alu instid0(VALU_DEP_2) | instskip(SKIP_1) | instid1(VALU_DEP_2)
	v_cndmask_b32_e32 v108, v108, v38, vcc_lo
	v_cmp_eq_u32_e32 vcc_lo, 5, v0
	;; [unrolled: 5-line block ×9, first 2 shown]
	v_cndmask_b32_e32 v108, v108, v53, vcc_lo
	v_cmp_eq_u32_e32 vcc_lo, 20, v0
	s_delay_alu instid0(VALU_DEP_2) | instskip(SKIP_1) | instid1(VALU_DEP_1)
	v_cndmask_b32_e32 v108, v108, v54, vcc_lo
	s_wait_dscnt 0x0
	v_mul_f32_e32 v112, v108, v109
	s_cbranch_execz .LBB84_69
	s_branch .LBB84_70
.LBB84_68:
                                        ; implicit-def: $vgpr112
.LBB84_69:
	ds_load_b32 v112, v111
.LBB84_70:
	s_and_saveexec_b32 s5, s1
	s_cbranch_execz .LBB84_80
; %bb.71:
	v_dual_add_nc_u32 v108, -16, v0 :: v_dual_add_nc_u32 v109, -15, v0
	s_delay_alu instid0(VALU_DEP_1)
	v_cmp_lt_u32_e32 vcc_lo, 6, v108
	v_mov_b32_e32 v108, 15
	s_and_saveexec_b32 s1, vcc_lo
	s_cbranch_execz .LBB84_75
; %bb.72:
	v_and_b32_e32 v108, -8, v109
	s_mov_b32 s6, 0
	s_mov_b64 s[2:3], 22
	s_movk_i32 s7, 0x9c
	s_delay_alu instid0(VALU_DEP_1)
	v_sub_nc_u32_e32 v110, 0, v108
.LBB84_73:                              ; =>This Inner Loop Header: Depth=1
	s_add_co_i32 m0, s2, -7
	v_movrels_b32_e32 v113, v34
	v_mov_b32_e32 v108, s7
	s_add_co_i32 m0, s2, -6
	s_add_co_i32 s7, s7, 32
	v_movrels_b32_e32 v122, v34
	ds_load_2addr_b32 v[114:115], v108 offset1:1
	ds_load_2addr_b32 v[116:117], v108 offset0:2 offset1:3
	s_add_co_i32 m0, s2, -5
	s_wait_dscnt 0x1
	v_fmac_f32_e32 v112, v113, v114
	ds_load_2addr_b32 v[118:119], v108 offset0:4 offset1:5
	ds_load_2addr_b32 v[120:121], v108 offset0:6 offset1:7
	v_movrels_b32_e32 v108, v34
	s_add_co_i32 m0, s2, -4
	v_fmac_f32_e32 v112, v122, v115
	v_movrels_b32_e32 v113, v34
	s_add_co_i32 m0, s2, -3
	s_wait_dscnt 0x2
	s_delay_alu instid0(VALU_DEP_2) | instskip(SKIP_2) | instid1(VALU_DEP_2)
	v_fmac_f32_e32 v112, v108, v116
	v_movrels_b32_e32 v108, v34
	s_add_co_i32 m0, s2, -2
	v_fmac_f32_e32 v112, v113, v117
	v_movrels_b32_e32 v113, v34
	s_add_co_i32 m0, s2, -1
	s_wait_dscnt 0x1
	s_delay_alu instid0(VALU_DEP_2)
	v_fmac_f32_e32 v112, v108, v118
	v_movrels_b32_e32 v108, v34
	s_mov_b32 m0, s2
	s_add_nc_u64 s[2:3], s[2:3], 8
	v_movrels_b32_e32 v114, v34
	v_dual_fmac_f32 v112, v113, v119 :: v_dual_add_nc_u32 v113, s2, v110
	s_add_co_i32 s8, s2, -7
	s_wait_dscnt 0x0
	s_delay_alu instid0(VALU_DEP_1) | instskip(NEXT) | instid1(VALU_DEP_2)
	v_fmac_f32_e32 v112, v108, v120
	v_cmp_eq_u32_e32 vcc_lo, 22, v113
	s_delay_alu instid0(VALU_DEP_2) | instskip(SKIP_1) | instid1(SALU_CYCLE_1)
	v_dual_mov_b32 v108, s8 :: v_dual_fmac_f32 v112, v114, v121
	s_or_b32 s6, vcc_lo, s6
	s_and_not1_b32 exec_lo, exec_lo, s6
	s_cbranch_execnz .LBB84_73
; %bb.74:
	s_or_b32 exec_lo, exec_lo, s6
.LBB84_75:
	s_delay_alu instid0(SALU_CYCLE_1) | instskip(SKIP_3) | instid1(VALU_DEP_1)
	s_or_b32 exec_lo, exec_lo, s1
	v_and_b32_e32 v55, 7, v109
	s_mov_b32 s2, 0
	s_mov_b32 s1, exec_lo
	v_cmpx_ne_u32_e32 0, v55
	s_cbranch_execz .LBB84_79
; %bb.76:
	v_lshl_add_u32 v56, v108, 2, 0x60
	v_mov_b32_e32 v109, 0
.LBB84_77:                              ; =>This Inner Loop Header: Depth=1
	v_cmp_eq_u32_e32 vcc_lo, 1, v108
	ds_load_b32 v58, v56
	v_dual_add_nc_u32 v56, 4, v56 :: v_dual_add_nc_u32 v55, -1, v55
	v_cndmask_b32_e32 v57, v34, v35, vcc_lo
	v_cmp_eq_u32_e32 vcc_lo, 2, v108
	s_delay_alu instid0(VALU_DEP_2) | instskip(SKIP_1) | instid1(VALU_DEP_2)
	v_cndmask_b32_e32 v57, v57, v36, vcc_lo
	v_cmp_eq_u32_e32 vcc_lo, 3, v108
	v_cndmask_b32_e32 v57, v57, v37, vcc_lo
	v_cmp_eq_u32_e32 vcc_lo, 4, v108
	s_delay_alu instid0(VALU_DEP_2) | instskip(SKIP_1) | instid1(VALU_DEP_2)
	v_cndmask_b32_e32 v57, v57, v38, vcc_lo
	v_cmp_eq_u32_e32 vcc_lo, 5, v108
	;; [unrolled: 5-line block ×9, first 2 shown]
	v_cndmask_b32_e32 v57, v57, v53, vcc_lo
	v_cmp_eq_u32_e32 vcc_lo, 20, v108
	v_add_nc_u64_e32 v[108:109], 1, v[108:109]
	s_delay_alu instid0(VALU_DEP_3) | instskip(SKIP_2) | instid1(VALU_DEP_2)
	v_cndmask_b32_e32 v57, v57, v54, vcc_lo
	v_cmp_eq_u32_e32 vcc_lo, 0, v55
	s_wait_dscnt 0x0
	v_fmac_f32_e32 v112, v57, v58
	s_or_b32 s2, vcc_lo, s2
	s_delay_alu instid0(SALU_CYCLE_1)
	s_and_not1_b32 exec_lo, exec_lo, s2
	s_cbranch_execnz .LBB84_77
; %bb.78:
	s_or_b32 exec_lo, exec_lo, s2
.LBB84_79:
	s_delay_alu instid0(SALU_CYCLE_1)
	s_or_b32 exec_lo, exec_lo, s1
.LBB84_80:
	s_delay_alu instid0(SALU_CYCLE_1)
	s_or_b32 exec_lo, exec_lo, s5
	v_mov_b32_e32 v48, 0
	ds_load_b32 v48, v48 offset:56
	s_wait_dscnt 0x0
	v_mul_f32_e32 v48, v112, v48
.LBB84_81:
	s_or_b32 exec_lo, exec_lo, s4
	v_cmp_lt_u32_e64 s1, 13, v0
	ds_store_b32 v111, v47
	s_wait_dscnt 0x0
	s_barrier_signal -1
	s_barrier_wait -1
	s_and_saveexec_b32 s4, s1
	s_cbranch_execz .LBB84_97
; %bb.82:
	s_and_not1_b32 vcc_lo, exec_lo, s21
	s_cbranch_vccnz .LBB84_84
; %bb.83:
	v_cmp_eq_u32_e32 vcc_lo, 1, v0
	ds_load_b32 v109, v111
	v_cndmask_b32_e32 v108, v34, v35, vcc_lo
	v_cmp_eq_u32_e32 vcc_lo, 2, v0
	s_delay_alu instid0(VALU_DEP_2) | instskip(SKIP_1) | instid1(VALU_DEP_2)
	v_cndmask_b32_e32 v108, v108, v36, vcc_lo
	v_cmp_eq_u32_e32 vcc_lo, 3, v0
	v_cndmask_b32_e32 v108, v108, v37, vcc_lo
	v_cmp_eq_u32_e32 vcc_lo, 4, v0
	s_delay_alu instid0(VALU_DEP_2) | instskip(SKIP_1) | instid1(VALU_DEP_2)
	v_cndmask_b32_e32 v108, v108, v38, vcc_lo
	v_cmp_eq_u32_e32 vcc_lo, 5, v0
	;; [unrolled: 5-line block ×9, first 2 shown]
	v_cndmask_b32_e32 v108, v108, v53, vcc_lo
	v_cmp_eq_u32_e32 vcc_lo, 20, v0
	s_delay_alu instid0(VALU_DEP_2) | instskip(SKIP_1) | instid1(VALU_DEP_1)
	v_cndmask_b32_e32 v108, v108, v54, vcc_lo
	s_wait_dscnt 0x0
	v_mul_f32_e32 v112, v108, v109
	s_cbranch_execz .LBB84_85
	s_branch .LBB84_86
.LBB84_84:
                                        ; implicit-def: $vgpr112
.LBB84_85:
	ds_load_b32 v112, v111
.LBB84_86:
	s_and_saveexec_b32 s5, s0
	s_cbranch_execz .LBB84_96
; %bb.87:
	v_dual_add_nc_u32 v108, -15, v0 :: v_dual_add_nc_u32 v109, -14, v0
	s_delay_alu instid0(VALU_DEP_1)
	v_cmp_lt_u32_e32 vcc_lo, 6, v108
	v_mov_b32_e32 v108, 14
	s_and_saveexec_b32 s0, vcc_lo
	s_cbranch_execz .LBB84_91
; %bb.88:
	v_and_b32_e32 v108, -8, v109
	s_mov_b32 s6, 0
	s_mov_b64 s[2:3], 21
	s_movk_i32 s7, 0x98
	s_delay_alu instid0(VALU_DEP_1)
	v_sub_nc_u32_e32 v110, 0, v108
.LBB84_89:                              ; =>This Inner Loop Header: Depth=1
	s_add_co_i32 m0, s2, -7
	v_movrels_b32_e32 v113, v34
	v_mov_b32_e32 v108, s7
	s_add_co_i32 m0, s2, -6
	s_add_co_i32 s7, s7, 32
	v_movrels_b32_e32 v122, v34
	s_add_co_i32 m0, s2, -5
	ds_load_2addr_b64 v[114:117], v108 offset1:1
	ds_load_2addr_b64 v[118:121], v108 offset0:2 offset1:3
	v_movrels_b32_e32 v108, v34
	s_add_co_i32 m0, s2, -4
	s_wait_dscnt 0x1
	v_fmac_f32_e32 v112, v113, v114
	v_movrels_b32_e32 v113, v34
	s_add_co_i32 m0, s2, -3
	s_delay_alu instid0(VALU_DEP_2) | instskip(NEXT) | instid1(VALU_DEP_1)
	v_fmac_f32_e32 v112, v122, v115
	v_fmac_f32_e32 v112, v108, v116
	v_movrels_b32_e32 v108, v34
	s_add_co_i32 m0, s2, -2
	s_delay_alu instid0(VALU_DEP_2) | instskip(SKIP_3) | instid1(VALU_DEP_2)
	v_fmac_f32_e32 v112, v113, v117
	v_movrels_b32_e32 v113, v34
	s_add_co_i32 m0, s2, -1
	s_wait_dscnt 0x0
	v_fmac_f32_e32 v112, v108, v118
	v_movrels_b32_e32 v108, v34
	s_mov_b32 m0, s2
	s_add_nc_u64 s[2:3], s[2:3], 8
	v_movrels_b32_e32 v114, v34
	v_dual_fmac_f32 v112, v113, v119 :: v_dual_add_nc_u32 v113, s2, v110
	s_add_co_i32 s8, s2, -7
	s_delay_alu instid0(VALU_DEP_1) | instskip(NEXT) | instid1(VALU_DEP_2)
	v_fmac_f32_e32 v112, v108, v120
	v_cmp_eq_u32_e32 vcc_lo, 21, v113
	s_delay_alu instid0(VALU_DEP_2) | instskip(SKIP_1) | instid1(SALU_CYCLE_1)
	v_dual_mov_b32 v108, s8 :: v_dual_fmac_f32 v112, v114, v121
	s_or_b32 s6, vcc_lo, s6
	s_and_not1_b32 exec_lo, exec_lo, s6
	s_cbranch_execnz .LBB84_89
; %bb.90:
	s_or_b32 exec_lo, exec_lo, s6
.LBB84_91:
	s_delay_alu instid0(SALU_CYCLE_1) | instskip(SKIP_3) | instid1(VALU_DEP_1)
	s_or_b32 exec_lo, exec_lo, s0
	v_and_b32_e32 v55, 7, v109
	s_mov_b32 s2, 0
	s_mov_b32 s0, exec_lo
	v_cmpx_ne_u32_e32 0, v55
	s_cbranch_execz .LBB84_95
; %bb.92:
	v_lshl_add_u32 v56, v108, 2, 0x60
	v_mov_b32_e32 v109, 0
.LBB84_93:                              ; =>This Inner Loop Header: Depth=1
	v_cmp_eq_u32_e32 vcc_lo, 1, v108
	ds_load_b32 v58, v56
	v_dual_add_nc_u32 v56, 4, v56 :: v_dual_add_nc_u32 v55, -1, v55
	v_cndmask_b32_e32 v57, v34, v35, vcc_lo
	v_cmp_eq_u32_e32 vcc_lo, 2, v108
	s_delay_alu instid0(VALU_DEP_2) | instskip(SKIP_1) | instid1(VALU_DEP_2)
	v_cndmask_b32_e32 v57, v57, v36, vcc_lo
	v_cmp_eq_u32_e32 vcc_lo, 3, v108
	v_cndmask_b32_e32 v57, v57, v37, vcc_lo
	v_cmp_eq_u32_e32 vcc_lo, 4, v108
	s_delay_alu instid0(VALU_DEP_2) | instskip(SKIP_1) | instid1(VALU_DEP_2)
	v_cndmask_b32_e32 v57, v57, v38, vcc_lo
	v_cmp_eq_u32_e32 vcc_lo, 5, v108
	;; [unrolled: 5-line block ×9, first 2 shown]
	v_cndmask_b32_e32 v57, v57, v53, vcc_lo
	v_cmp_eq_u32_e32 vcc_lo, 20, v108
	v_add_nc_u64_e32 v[108:109], 1, v[108:109]
	s_delay_alu instid0(VALU_DEP_3) | instskip(SKIP_2) | instid1(VALU_DEP_2)
	v_cndmask_b32_e32 v57, v57, v54, vcc_lo
	v_cmp_eq_u32_e32 vcc_lo, 0, v55
	s_wait_dscnt 0x0
	v_fmac_f32_e32 v112, v57, v58
	s_or_b32 s2, vcc_lo, s2
	s_delay_alu instid0(SALU_CYCLE_1)
	s_and_not1_b32 exec_lo, exec_lo, s2
	s_cbranch_execnz .LBB84_93
; %bb.94:
	s_or_b32 exec_lo, exec_lo, s2
.LBB84_95:
	s_delay_alu instid0(SALU_CYCLE_1)
	s_or_b32 exec_lo, exec_lo, s0
.LBB84_96:
	s_delay_alu instid0(SALU_CYCLE_1)
	s_or_b32 exec_lo, exec_lo, s5
	v_mov_b32_e32 v47, 0
	ds_load_b32 v47, v47 offset:52
	s_wait_dscnt 0x0
	v_mul_f32_e32 v47, v112, v47
.LBB84_97:
	s_or_b32 exec_lo, exec_lo, s4
	v_cmp_lt_u32_e64 s0, 12, v0
	ds_store_b32 v111, v46
	s_wait_dscnt 0x0
	s_barrier_signal -1
	s_barrier_wait -1
	s_and_saveexec_b32 s4, s0
	s_cbranch_execz .LBB84_113
; %bb.98:
	s_and_not1_b32 vcc_lo, exec_lo, s21
	s_cbranch_vccnz .LBB84_100
; %bb.99:
	v_cmp_eq_u32_e32 vcc_lo, 1, v0
	ds_load_b32 v109, v111
	v_cndmask_b32_e32 v108, v34, v35, vcc_lo
	v_cmp_eq_u32_e32 vcc_lo, 2, v0
	s_delay_alu instid0(VALU_DEP_2) | instskip(SKIP_1) | instid1(VALU_DEP_2)
	v_cndmask_b32_e32 v108, v108, v36, vcc_lo
	v_cmp_eq_u32_e32 vcc_lo, 3, v0
	v_cndmask_b32_e32 v108, v108, v37, vcc_lo
	v_cmp_eq_u32_e32 vcc_lo, 4, v0
	s_delay_alu instid0(VALU_DEP_2) | instskip(SKIP_1) | instid1(VALU_DEP_2)
	v_cndmask_b32_e32 v108, v108, v38, vcc_lo
	v_cmp_eq_u32_e32 vcc_lo, 5, v0
	;; [unrolled: 5-line block ×9, first 2 shown]
	v_cndmask_b32_e32 v108, v108, v53, vcc_lo
	v_cmp_eq_u32_e32 vcc_lo, 20, v0
	s_delay_alu instid0(VALU_DEP_2) | instskip(SKIP_1) | instid1(VALU_DEP_1)
	v_cndmask_b32_e32 v108, v108, v54, vcc_lo
	s_wait_dscnt 0x0
	v_mul_f32_e32 v112, v108, v109
	s_cbranch_execz .LBB84_101
	s_branch .LBB84_102
.LBB84_100:
                                        ; implicit-def: $vgpr112
.LBB84_101:
	ds_load_b32 v112, v111
.LBB84_102:
	s_and_saveexec_b32 s5, s1
	s_cbranch_execz .LBB84_112
; %bb.103:
	v_dual_add_nc_u32 v108, -14, v0 :: v_dual_add_nc_u32 v109, -13, v0
	s_delay_alu instid0(VALU_DEP_1)
	v_cmp_lt_u32_e32 vcc_lo, 6, v108
	v_mov_b32_e32 v108, 13
	s_and_saveexec_b32 s1, vcc_lo
	s_cbranch_execz .LBB84_107
; %bb.104:
	v_and_b32_e32 v108, -8, v109
	s_mov_b32 s6, 0
	s_mov_b64 s[2:3], 20
	s_movk_i32 s7, 0x94
	s_delay_alu instid0(VALU_DEP_1)
	v_sub_nc_u32_e32 v110, 0, v108
.LBB84_105:                             ; =>This Inner Loop Header: Depth=1
	s_add_co_i32 m0, s2, -7
	v_movrels_b32_e32 v113, v34
	v_mov_b32_e32 v108, s7
	s_add_co_i32 m0, s2, -6
	s_add_co_i32 s7, s7, 32
	v_movrels_b32_e32 v122, v34
	ds_load_2addr_b32 v[114:115], v108 offset1:1
	ds_load_2addr_b32 v[116:117], v108 offset0:2 offset1:3
	s_add_co_i32 m0, s2, -5
	s_wait_dscnt 0x1
	v_fmac_f32_e32 v112, v113, v114
	ds_load_2addr_b32 v[118:119], v108 offset0:4 offset1:5
	ds_load_2addr_b32 v[120:121], v108 offset0:6 offset1:7
	v_movrels_b32_e32 v108, v34
	s_add_co_i32 m0, s2, -4
	v_fmac_f32_e32 v112, v122, v115
	v_movrels_b32_e32 v113, v34
	s_add_co_i32 m0, s2, -3
	s_wait_dscnt 0x2
	s_delay_alu instid0(VALU_DEP_2) | instskip(SKIP_2) | instid1(VALU_DEP_2)
	v_fmac_f32_e32 v112, v108, v116
	v_movrels_b32_e32 v108, v34
	s_add_co_i32 m0, s2, -2
	v_fmac_f32_e32 v112, v113, v117
	v_movrels_b32_e32 v113, v34
	s_add_co_i32 m0, s2, -1
	s_wait_dscnt 0x1
	s_delay_alu instid0(VALU_DEP_2)
	v_fmac_f32_e32 v112, v108, v118
	v_movrels_b32_e32 v108, v34
	s_mov_b32 m0, s2
	s_add_nc_u64 s[2:3], s[2:3], 8
	v_movrels_b32_e32 v114, v34
	v_dual_fmac_f32 v112, v113, v119 :: v_dual_add_nc_u32 v113, s2, v110
	s_add_co_i32 s8, s2, -7
	s_wait_dscnt 0x0
	s_delay_alu instid0(VALU_DEP_1) | instskip(NEXT) | instid1(VALU_DEP_2)
	v_fmac_f32_e32 v112, v108, v120
	v_cmp_eq_u32_e32 vcc_lo, 20, v113
	s_delay_alu instid0(VALU_DEP_2) | instskip(SKIP_1) | instid1(SALU_CYCLE_1)
	v_dual_mov_b32 v108, s8 :: v_dual_fmac_f32 v112, v114, v121
	s_or_b32 s6, vcc_lo, s6
	s_and_not1_b32 exec_lo, exec_lo, s6
	s_cbranch_execnz .LBB84_105
; %bb.106:
	s_or_b32 exec_lo, exec_lo, s6
.LBB84_107:
	s_delay_alu instid0(SALU_CYCLE_1) | instskip(SKIP_3) | instid1(VALU_DEP_1)
	s_or_b32 exec_lo, exec_lo, s1
	v_and_b32_e32 v55, 7, v109
	s_mov_b32 s2, 0
	s_mov_b32 s1, exec_lo
	v_cmpx_ne_u32_e32 0, v55
	s_cbranch_execz .LBB84_111
; %bb.108:
	v_lshl_add_u32 v56, v108, 2, 0x60
	v_mov_b32_e32 v109, 0
.LBB84_109:                             ; =>This Inner Loop Header: Depth=1
	v_cmp_eq_u32_e32 vcc_lo, 1, v108
	ds_load_b32 v58, v56
	v_dual_add_nc_u32 v56, 4, v56 :: v_dual_add_nc_u32 v55, -1, v55
	v_cndmask_b32_e32 v57, v34, v35, vcc_lo
	v_cmp_eq_u32_e32 vcc_lo, 2, v108
	s_delay_alu instid0(VALU_DEP_2) | instskip(SKIP_1) | instid1(VALU_DEP_2)
	v_cndmask_b32_e32 v57, v57, v36, vcc_lo
	v_cmp_eq_u32_e32 vcc_lo, 3, v108
	v_cndmask_b32_e32 v57, v57, v37, vcc_lo
	v_cmp_eq_u32_e32 vcc_lo, 4, v108
	s_delay_alu instid0(VALU_DEP_2) | instskip(SKIP_1) | instid1(VALU_DEP_2)
	v_cndmask_b32_e32 v57, v57, v38, vcc_lo
	v_cmp_eq_u32_e32 vcc_lo, 5, v108
	;; [unrolled: 5-line block ×9, first 2 shown]
	v_cndmask_b32_e32 v57, v57, v53, vcc_lo
	v_cmp_eq_u32_e32 vcc_lo, 20, v108
	v_add_nc_u64_e32 v[108:109], 1, v[108:109]
	s_delay_alu instid0(VALU_DEP_3) | instskip(SKIP_2) | instid1(VALU_DEP_2)
	v_cndmask_b32_e32 v57, v57, v54, vcc_lo
	v_cmp_eq_u32_e32 vcc_lo, 0, v55
	s_wait_dscnt 0x0
	v_fmac_f32_e32 v112, v57, v58
	s_or_b32 s2, vcc_lo, s2
	s_delay_alu instid0(SALU_CYCLE_1)
	s_and_not1_b32 exec_lo, exec_lo, s2
	s_cbranch_execnz .LBB84_109
; %bb.110:
	s_or_b32 exec_lo, exec_lo, s2
.LBB84_111:
	s_delay_alu instid0(SALU_CYCLE_1)
	s_or_b32 exec_lo, exec_lo, s1
.LBB84_112:
	s_delay_alu instid0(SALU_CYCLE_1)
	s_or_b32 exec_lo, exec_lo, s5
	v_mov_b32_e32 v46, 0
	ds_load_b32 v46, v46 offset:48
	s_wait_dscnt 0x0
	v_mul_f32_e32 v46, v112, v46
.LBB84_113:
	s_or_b32 exec_lo, exec_lo, s4
	v_cmp_lt_u32_e64 s1, 11, v0
	ds_store_b32 v111, v45
	s_wait_dscnt 0x0
	s_barrier_signal -1
	s_barrier_wait -1
	s_and_saveexec_b32 s4, s1
	s_cbranch_execz .LBB84_129
; %bb.114:
	s_and_not1_b32 vcc_lo, exec_lo, s21
	s_cbranch_vccnz .LBB84_116
; %bb.115:
	v_cmp_eq_u32_e32 vcc_lo, 1, v0
	ds_load_b32 v109, v111
	v_cndmask_b32_e32 v108, v34, v35, vcc_lo
	v_cmp_eq_u32_e32 vcc_lo, 2, v0
	s_delay_alu instid0(VALU_DEP_2) | instskip(SKIP_1) | instid1(VALU_DEP_2)
	v_cndmask_b32_e32 v108, v108, v36, vcc_lo
	v_cmp_eq_u32_e32 vcc_lo, 3, v0
	v_cndmask_b32_e32 v108, v108, v37, vcc_lo
	v_cmp_eq_u32_e32 vcc_lo, 4, v0
	s_delay_alu instid0(VALU_DEP_2) | instskip(SKIP_1) | instid1(VALU_DEP_2)
	v_cndmask_b32_e32 v108, v108, v38, vcc_lo
	v_cmp_eq_u32_e32 vcc_lo, 5, v0
	;; [unrolled: 5-line block ×9, first 2 shown]
	v_cndmask_b32_e32 v108, v108, v53, vcc_lo
	v_cmp_eq_u32_e32 vcc_lo, 20, v0
	s_delay_alu instid0(VALU_DEP_2) | instskip(SKIP_1) | instid1(VALU_DEP_1)
	v_cndmask_b32_e32 v108, v108, v54, vcc_lo
	s_wait_dscnt 0x0
	v_mul_f32_e32 v112, v108, v109
	s_cbranch_execz .LBB84_117
	s_branch .LBB84_118
.LBB84_116:
                                        ; implicit-def: $vgpr112
.LBB84_117:
	ds_load_b32 v112, v111
.LBB84_118:
	s_and_saveexec_b32 s5, s0
	s_cbranch_execz .LBB84_128
; %bb.119:
	v_dual_add_nc_u32 v108, -13, v0 :: v_dual_add_nc_u32 v109, -12, v0
	s_delay_alu instid0(VALU_DEP_1)
	v_cmp_lt_u32_e32 vcc_lo, 6, v108
	v_mov_b32_e32 v108, 12
	s_and_saveexec_b32 s0, vcc_lo
	s_cbranch_execz .LBB84_123
; %bb.120:
	v_and_b32_e32 v108, -8, v109
	s_mov_b32 s6, 0
	s_mov_b64 s[2:3], 19
	s_movk_i32 s7, 0x90
	s_delay_alu instid0(VALU_DEP_1)
	v_sub_nc_u32_e32 v110, 0, v108
.LBB84_121:                             ; =>This Inner Loop Header: Depth=1
	s_add_co_i32 m0, s2, -7
	v_movrels_b32_e32 v113, v34
	v_mov_b32_e32 v108, s7
	s_add_co_i32 m0, s2, -6
	s_add_co_i32 s7, s7, 32
	v_movrels_b32_e32 v122, v34
	s_add_co_i32 m0, s2, -5
	ds_load_b128 v[114:117], v108
	ds_load_b128 v[118:121], v108 offset:16
	v_movrels_b32_e32 v108, v34
	s_add_co_i32 m0, s2, -4
	s_wait_dscnt 0x1
	v_fmac_f32_e32 v112, v113, v114
	v_movrels_b32_e32 v113, v34
	s_add_co_i32 m0, s2, -3
	s_delay_alu instid0(VALU_DEP_2) | instskip(NEXT) | instid1(VALU_DEP_1)
	v_fmac_f32_e32 v112, v122, v115
	v_fmac_f32_e32 v112, v108, v116
	v_movrels_b32_e32 v108, v34
	s_add_co_i32 m0, s2, -2
	s_delay_alu instid0(VALU_DEP_2) | instskip(SKIP_3) | instid1(VALU_DEP_2)
	v_fmac_f32_e32 v112, v113, v117
	v_movrels_b32_e32 v113, v34
	s_add_co_i32 m0, s2, -1
	s_wait_dscnt 0x0
	v_fmac_f32_e32 v112, v108, v118
	v_movrels_b32_e32 v108, v34
	s_mov_b32 m0, s2
	s_add_nc_u64 s[2:3], s[2:3], 8
	v_movrels_b32_e32 v114, v34
	v_dual_fmac_f32 v112, v113, v119 :: v_dual_add_nc_u32 v113, s2, v110
	s_add_co_i32 s8, s2, -7
	s_delay_alu instid0(VALU_DEP_1) | instskip(NEXT) | instid1(VALU_DEP_2)
	v_fmac_f32_e32 v112, v108, v120
	v_cmp_eq_u32_e32 vcc_lo, 19, v113
	s_delay_alu instid0(VALU_DEP_2) | instskip(SKIP_1) | instid1(SALU_CYCLE_1)
	v_dual_mov_b32 v108, s8 :: v_dual_fmac_f32 v112, v114, v121
	s_or_b32 s6, vcc_lo, s6
	s_and_not1_b32 exec_lo, exec_lo, s6
	s_cbranch_execnz .LBB84_121
; %bb.122:
	s_or_b32 exec_lo, exec_lo, s6
.LBB84_123:
	s_delay_alu instid0(SALU_CYCLE_1) | instskip(SKIP_3) | instid1(VALU_DEP_1)
	s_or_b32 exec_lo, exec_lo, s0
	v_and_b32_e32 v55, 7, v109
	s_mov_b32 s2, 0
	s_mov_b32 s0, exec_lo
	v_cmpx_ne_u32_e32 0, v55
	s_cbranch_execz .LBB84_127
; %bb.124:
	v_lshl_add_u32 v56, v108, 2, 0x60
	v_mov_b32_e32 v109, 0
.LBB84_125:                             ; =>This Inner Loop Header: Depth=1
	v_cmp_eq_u32_e32 vcc_lo, 1, v108
	ds_load_b32 v58, v56
	v_dual_add_nc_u32 v56, 4, v56 :: v_dual_add_nc_u32 v55, -1, v55
	v_cndmask_b32_e32 v57, v34, v35, vcc_lo
	v_cmp_eq_u32_e32 vcc_lo, 2, v108
	s_delay_alu instid0(VALU_DEP_2) | instskip(SKIP_1) | instid1(VALU_DEP_2)
	v_cndmask_b32_e32 v57, v57, v36, vcc_lo
	v_cmp_eq_u32_e32 vcc_lo, 3, v108
	v_cndmask_b32_e32 v57, v57, v37, vcc_lo
	v_cmp_eq_u32_e32 vcc_lo, 4, v108
	s_delay_alu instid0(VALU_DEP_2) | instskip(SKIP_1) | instid1(VALU_DEP_2)
	v_cndmask_b32_e32 v57, v57, v38, vcc_lo
	v_cmp_eq_u32_e32 vcc_lo, 5, v108
	;; [unrolled: 5-line block ×9, first 2 shown]
	v_cndmask_b32_e32 v57, v57, v53, vcc_lo
	v_cmp_eq_u32_e32 vcc_lo, 20, v108
	v_add_nc_u64_e32 v[108:109], 1, v[108:109]
	s_delay_alu instid0(VALU_DEP_3) | instskip(SKIP_2) | instid1(VALU_DEP_2)
	v_cndmask_b32_e32 v57, v57, v54, vcc_lo
	v_cmp_eq_u32_e32 vcc_lo, 0, v55
	s_wait_dscnt 0x0
	v_fmac_f32_e32 v112, v57, v58
	s_or_b32 s2, vcc_lo, s2
	s_delay_alu instid0(SALU_CYCLE_1)
	s_and_not1_b32 exec_lo, exec_lo, s2
	s_cbranch_execnz .LBB84_125
; %bb.126:
	s_or_b32 exec_lo, exec_lo, s2
.LBB84_127:
	s_delay_alu instid0(SALU_CYCLE_1)
	s_or_b32 exec_lo, exec_lo, s0
.LBB84_128:
	s_delay_alu instid0(SALU_CYCLE_1)
	s_or_b32 exec_lo, exec_lo, s5
	v_mov_b32_e32 v45, 0
	ds_load_b32 v45, v45 offset:44
	s_wait_dscnt 0x0
	v_mul_f32_e32 v45, v112, v45
.LBB84_129:
	s_or_b32 exec_lo, exec_lo, s4
	v_cmp_lt_u32_e64 s0, 10, v0
	ds_store_b32 v111, v44
	s_wait_dscnt 0x0
	s_barrier_signal -1
	s_barrier_wait -1
	s_and_saveexec_b32 s4, s0
	s_cbranch_execz .LBB84_145
; %bb.130:
	s_and_not1_b32 vcc_lo, exec_lo, s21
	s_cbranch_vccnz .LBB84_132
; %bb.131:
	v_cmp_eq_u32_e32 vcc_lo, 1, v0
	ds_load_b32 v109, v111
	v_cndmask_b32_e32 v108, v34, v35, vcc_lo
	v_cmp_eq_u32_e32 vcc_lo, 2, v0
	s_delay_alu instid0(VALU_DEP_2) | instskip(SKIP_1) | instid1(VALU_DEP_2)
	v_cndmask_b32_e32 v108, v108, v36, vcc_lo
	v_cmp_eq_u32_e32 vcc_lo, 3, v0
	v_cndmask_b32_e32 v108, v108, v37, vcc_lo
	v_cmp_eq_u32_e32 vcc_lo, 4, v0
	s_delay_alu instid0(VALU_DEP_2) | instskip(SKIP_1) | instid1(VALU_DEP_2)
	v_cndmask_b32_e32 v108, v108, v38, vcc_lo
	v_cmp_eq_u32_e32 vcc_lo, 5, v0
	;; [unrolled: 5-line block ×9, first 2 shown]
	v_cndmask_b32_e32 v108, v108, v53, vcc_lo
	v_cmp_eq_u32_e32 vcc_lo, 20, v0
	s_delay_alu instid0(VALU_DEP_2) | instskip(SKIP_1) | instid1(VALU_DEP_1)
	v_cndmask_b32_e32 v108, v108, v54, vcc_lo
	s_wait_dscnt 0x0
	v_mul_f32_e32 v112, v108, v109
	s_cbranch_execz .LBB84_133
	s_branch .LBB84_134
.LBB84_132:
                                        ; implicit-def: $vgpr112
.LBB84_133:
	ds_load_b32 v112, v111
.LBB84_134:
	s_and_saveexec_b32 s5, s1
	s_cbranch_execz .LBB84_144
; %bb.135:
	v_dual_add_nc_u32 v108, -12, v0 :: v_dual_add_nc_u32 v109, -11, v0
	s_delay_alu instid0(VALU_DEP_1)
	v_cmp_lt_u32_e32 vcc_lo, 6, v108
	v_mov_b32_e32 v108, 11
	s_and_saveexec_b32 s1, vcc_lo
	s_cbranch_execz .LBB84_139
; %bb.136:
	v_and_b32_e32 v108, -8, v109
	s_mov_b32 s6, 0
	s_mov_b64 s[2:3], 18
	s_movk_i32 s7, 0x8c
	s_delay_alu instid0(VALU_DEP_1)
	v_sub_nc_u32_e32 v110, 0, v108
.LBB84_137:                             ; =>This Inner Loop Header: Depth=1
	s_add_co_i32 m0, s2, -7
	v_movrels_b32_e32 v113, v34
	v_mov_b32_e32 v108, s7
	s_add_co_i32 m0, s2, -6
	s_add_co_i32 s7, s7, 32
	v_movrels_b32_e32 v122, v34
	ds_load_2addr_b32 v[114:115], v108 offset1:1
	ds_load_2addr_b32 v[116:117], v108 offset0:2 offset1:3
	s_add_co_i32 m0, s2, -5
	s_wait_dscnt 0x1
	v_fmac_f32_e32 v112, v113, v114
	ds_load_2addr_b32 v[118:119], v108 offset0:4 offset1:5
	ds_load_2addr_b32 v[120:121], v108 offset0:6 offset1:7
	v_movrels_b32_e32 v108, v34
	s_add_co_i32 m0, s2, -4
	v_fmac_f32_e32 v112, v122, v115
	v_movrels_b32_e32 v113, v34
	s_add_co_i32 m0, s2, -3
	s_wait_dscnt 0x2
	s_delay_alu instid0(VALU_DEP_2) | instskip(SKIP_2) | instid1(VALU_DEP_2)
	v_fmac_f32_e32 v112, v108, v116
	v_movrels_b32_e32 v108, v34
	s_add_co_i32 m0, s2, -2
	v_fmac_f32_e32 v112, v113, v117
	v_movrels_b32_e32 v113, v34
	s_add_co_i32 m0, s2, -1
	s_wait_dscnt 0x1
	s_delay_alu instid0(VALU_DEP_2)
	v_fmac_f32_e32 v112, v108, v118
	v_movrels_b32_e32 v108, v34
	s_mov_b32 m0, s2
	s_add_nc_u64 s[2:3], s[2:3], 8
	v_movrels_b32_e32 v114, v34
	v_dual_fmac_f32 v112, v113, v119 :: v_dual_add_nc_u32 v113, s2, v110
	s_add_co_i32 s8, s2, -7
	s_wait_dscnt 0x0
	s_delay_alu instid0(VALU_DEP_1) | instskip(NEXT) | instid1(VALU_DEP_2)
	v_fmac_f32_e32 v112, v108, v120
	v_cmp_eq_u32_e32 vcc_lo, 18, v113
	s_delay_alu instid0(VALU_DEP_2) | instskip(SKIP_1) | instid1(SALU_CYCLE_1)
	v_dual_mov_b32 v108, s8 :: v_dual_fmac_f32 v112, v114, v121
	s_or_b32 s6, vcc_lo, s6
	s_and_not1_b32 exec_lo, exec_lo, s6
	s_cbranch_execnz .LBB84_137
; %bb.138:
	s_or_b32 exec_lo, exec_lo, s6
.LBB84_139:
	s_delay_alu instid0(SALU_CYCLE_1) | instskip(SKIP_3) | instid1(VALU_DEP_1)
	s_or_b32 exec_lo, exec_lo, s1
	v_and_b32_e32 v55, 7, v109
	s_mov_b32 s2, 0
	s_mov_b32 s1, exec_lo
	v_cmpx_ne_u32_e32 0, v55
	s_cbranch_execz .LBB84_143
; %bb.140:
	v_lshl_add_u32 v56, v108, 2, 0x60
	v_mov_b32_e32 v109, 0
.LBB84_141:                             ; =>This Inner Loop Header: Depth=1
	v_cmp_eq_u32_e32 vcc_lo, 1, v108
	ds_load_b32 v58, v56
	v_dual_add_nc_u32 v56, 4, v56 :: v_dual_add_nc_u32 v55, -1, v55
	v_cndmask_b32_e32 v57, v34, v35, vcc_lo
	v_cmp_eq_u32_e32 vcc_lo, 2, v108
	s_delay_alu instid0(VALU_DEP_2) | instskip(SKIP_1) | instid1(VALU_DEP_2)
	v_cndmask_b32_e32 v57, v57, v36, vcc_lo
	v_cmp_eq_u32_e32 vcc_lo, 3, v108
	v_cndmask_b32_e32 v57, v57, v37, vcc_lo
	v_cmp_eq_u32_e32 vcc_lo, 4, v108
	s_delay_alu instid0(VALU_DEP_2) | instskip(SKIP_1) | instid1(VALU_DEP_2)
	v_cndmask_b32_e32 v57, v57, v38, vcc_lo
	v_cmp_eq_u32_e32 vcc_lo, 5, v108
	;; [unrolled: 5-line block ×9, first 2 shown]
	v_cndmask_b32_e32 v57, v57, v53, vcc_lo
	v_cmp_eq_u32_e32 vcc_lo, 20, v108
	v_add_nc_u64_e32 v[108:109], 1, v[108:109]
	s_delay_alu instid0(VALU_DEP_3) | instskip(SKIP_2) | instid1(VALU_DEP_2)
	v_cndmask_b32_e32 v57, v57, v54, vcc_lo
	v_cmp_eq_u32_e32 vcc_lo, 0, v55
	s_wait_dscnt 0x0
	v_fmac_f32_e32 v112, v57, v58
	s_or_b32 s2, vcc_lo, s2
	s_delay_alu instid0(SALU_CYCLE_1)
	s_and_not1_b32 exec_lo, exec_lo, s2
	s_cbranch_execnz .LBB84_141
; %bb.142:
	s_or_b32 exec_lo, exec_lo, s2
.LBB84_143:
	s_delay_alu instid0(SALU_CYCLE_1)
	s_or_b32 exec_lo, exec_lo, s1
.LBB84_144:
	s_delay_alu instid0(SALU_CYCLE_1)
	s_or_b32 exec_lo, exec_lo, s5
	v_mov_b32_e32 v44, 0
	ds_load_b32 v44, v44 offset:40
	s_wait_dscnt 0x0
	v_mul_f32_e32 v44, v112, v44
.LBB84_145:
	s_or_b32 exec_lo, exec_lo, s4
	v_cmp_lt_u32_e64 s1, 9, v0
	ds_store_b32 v111, v43
	s_wait_dscnt 0x0
	s_barrier_signal -1
	s_barrier_wait -1
	s_and_saveexec_b32 s4, s1
	s_cbranch_execz .LBB84_161
; %bb.146:
	s_and_not1_b32 vcc_lo, exec_lo, s21
	s_cbranch_vccnz .LBB84_148
; %bb.147:
	v_cmp_eq_u32_e32 vcc_lo, 1, v0
	ds_load_b32 v109, v111
	v_cndmask_b32_e32 v108, v34, v35, vcc_lo
	v_cmp_eq_u32_e32 vcc_lo, 2, v0
	s_delay_alu instid0(VALU_DEP_2) | instskip(SKIP_1) | instid1(VALU_DEP_2)
	v_cndmask_b32_e32 v108, v108, v36, vcc_lo
	v_cmp_eq_u32_e32 vcc_lo, 3, v0
	v_cndmask_b32_e32 v108, v108, v37, vcc_lo
	v_cmp_eq_u32_e32 vcc_lo, 4, v0
	s_delay_alu instid0(VALU_DEP_2) | instskip(SKIP_1) | instid1(VALU_DEP_2)
	v_cndmask_b32_e32 v108, v108, v38, vcc_lo
	v_cmp_eq_u32_e32 vcc_lo, 5, v0
	;; [unrolled: 5-line block ×9, first 2 shown]
	v_cndmask_b32_e32 v108, v108, v53, vcc_lo
	v_cmp_eq_u32_e32 vcc_lo, 20, v0
	s_delay_alu instid0(VALU_DEP_2) | instskip(SKIP_1) | instid1(VALU_DEP_1)
	v_cndmask_b32_e32 v108, v108, v54, vcc_lo
	s_wait_dscnt 0x0
	v_mul_f32_e32 v112, v108, v109
	s_cbranch_execz .LBB84_149
	s_branch .LBB84_150
.LBB84_148:
                                        ; implicit-def: $vgpr112
.LBB84_149:
	ds_load_b32 v112, v111
.LBB84_150:
	s_and_saveexec_b32 s5, s0
	s_cbranch_execz .LBB84_160
; %bb.151:
	v_dual_add_nc_u32 v108, -11, v0 :: v_dual_add_nc_u32 v109, -10, v0
	s_delay_alu instid0(VALU_DEP_1)
	v_cmp_lt_u32_e32 vcc_lo, 6, v108
	v_mov_b32_e32 v108, 10
	s_and_saveexec_b32 s0, vcc_lo
	s_cbranch_execz .LBB84_155
; %bb.152:
	v_and_b32_e32 v108, -8, v109
	s_mov_b32 s6, 0
	s_mov_b64 s[2:3], 17
	s_movk_i32 s7, 0x88
	s_delay_alu instid0(VALU_DEP_1)
	v_sub_nc_u32_e32 v110, 0, v108
.LBB84_153:                             ; =>This Inner Loop Header: Depth=1
	s_add_co_i32 m0, s2, -7
	v_movrels_b32_e32 v113, v34
	v_mov_b32_e32 v108, s7
	s_add_co_i32 m0, s2, -6
	s_add_co_i32 s7, s7, 32
	v_movrels_b32_e32 v122, v34
	s_add_co_i32 m0, s2, -5
	ds_load_2addr_b64 v[114:117], v108 offset1:1
	ds_load_2addr_b64 v[118:121], v108 offset0:2 offset1:3
	v_movrels_b32_e32 v108, v34
	s_add_co_i32 m0, s2, -4
	s_wait_dscnt 0x1
	v_fmac_f32_e32 v112, v113, v114
	v_movrels_b32_e32 v113, v34
	s_add_co_i32 m0, s2, -3
	s_delay_alu instid0(VALU_DEP_2) | instskip(NEXT) | instid1(VALU_DEP_1)
	v_fmac_f32_e32 v112, v122, v115
	v_fmac_f32_e32 v112, v108, v116
	v_movrels_b32_e32 v108, v34
	s_add_co_i32 m0, s2, -2
	s_delay_alu instid0(VALU_DEP_2) | instskip(SKIP_3) | instid1(VALU_DEP_2)
	v_fmac_f32_e32 v112, v113, v117
	v_movrels_b32_e32 v113, v34
	s_add_co_i32 m0, s2, -1
	s_wait_dscnt 0x0
	v_fmac_f32_e32 v112, v108, v118
	v_movrels_b32_e32 v108, v34
	s_mov_b32 m0, s2
	s_add_nc_u64 s[2:3], s[2:3], 8
	v_movrels_b32_e32 v114, v34
	v_dual_fmac_f32 v112, v113, v119 :: v_dual_add_nc_u32 v113, s2, v110
	s_add_co_i32 s8, s2, -7
	s_delay_alu instid0(VALU_DEP_1) | instskip(NEXT) | instid1(VALU_DEP_2)
	v_fmac_f32_e32 v112, v108, v120
	v_cmp_eq_u32_e32 vcc_lo, 17, v113
	s_delay_alu instid0(VALU_DEP_2) | instskip(SKIP_1) | instid1(SALU_CYCLE_1)
	v_dual_mov_b32 v108, s8 :: v_dual_fmac_f32 v112, v114, v121
	s_or_b32 s6, vcc_lo, s6
	s_and_not1_b32 exec_lo, exec_lo, s6
	s_cbranch_execnz .LBB84_153
; %bb.154:
	s_or_b32 exec_lo, exec_lo, s6
.LBB84_155:
	s_delay_alu instid0(SALU_CYCLE_1) | instskip(SKIP_3) | instid1(VALU_DEP_1)
	s_or_b32 exec_lo, exec_lo, s0
	v_and_b32_e32 v55, 7, v109
	s_mov_b32 s2, 0
	s_mov_b32 s0, exec_lo
	v_cmpx_ne_u32_e32 0, v55
	s_cbranch_execz .LBB84_159
; %bb.156:
	v_lshl_add_u32 v56, v108, 2, 0x60
	v_mov_b32_e32 v109, 0
.LBB84_157:                             ; =>This Inner Loop Header: Depth=1
	v_cmp_eq_u32_e32 vcc_lo, 1, v108
	ds_load_b32 v58, v56
	v_dual_add_nc_u32 v56, 4, v56 :: v_dual_add_nc_u32 v55, -1, v55
	v_cndmask_b32_e32 v57, v34, v35, vcc_lo
	v_cmp_eq_u32_e32 vcc_lo, 2, v108
	s_delay_alu instid0(VALU_DEP_2) | instskip(SKIP_1) | instid1(VALU_DEP_2)
	v_cndmask_b32_e32 v57, v57, v36, vcc_lo
	v_cmp_eq_u32_e32 vcc_lo, 3, v108
	v_cndmask_b32_e32 v57, v57, v37, vcc_lo
	v_cmp_eq_u32_e32 vcc_lo, 4, v108
	s_delay_alu instid0(VALU_DEP_2) | instskip(SKIP_1) | instid1(VALU_DEP_2)
	v_cndmask_b32_e32 v57, v57, v38, vcc_lo
	v_cmp_eq_u32_e32 vcc_lo, 5, v108
	;; [unrolled: 5-line block ×9, first 2 shown]
	v_cndmask_b32_e32 v57, v57, v53, vcc_lo
	v_cmp_eq_u32_e32 vcc_lo, 20, v108
	v_add_nc_u64_e32 v[108:109], 1, v[108:109]
	s_delay_alu instid0(VALU_DEP_3) | instskip(SKIP_2) | instid1(VALU_DEP_2)
	v_cndmask_b32_e32 v57, v57, v54, vcc_lo
	v_cmp_eq_u32_e32 vcc_lo, 0, v55
	s_wait_dscnt 0x0
	v_fmac_f32_e32 v112, v57, v58
	s_or_b32 s2, vcc_lo, s2
	s_delay_alu instid0(SALU_CYCLE_1)
	s_and_not1_b32 exec_lo, exec_lo, s2
	s_cbranch_execnz .LBB84_157
; %bb.158:
	s_or_b32 exec_lo, exec_lo, s2
.LBB84_159:
	s_delay_alu instid0(SALU_CYCLE_1)
	s_or_b32 exec_lo, exec_lo, s0
.LBB84_160:
	s_delay_alu instid0(SALU_CYCLE_1)
	s_or_b32 exec_lo, exec_lo, s5
	v_mov_b32_e32 v43, 0
	ds_load_b32 v43, v43 offset:36
	s_wait_dscnt 0x0
	v_mul_f32_e32 v43, v112, v43
.LBB84_161:
	s_or_b32 exec_lo, exec_lo, s4
	v_cmp_lt_u32_e64 s0, 8, v0
	ds_store_b32 v111, v42
	s_wait_dscnt 0x0
	s_barrier_signal -1
	s_barrier_wait -1
	s_and_saveexec_b32 s4, s0
	s_cbranch_execz .LBB84_177
; %bb.162:
	s_and_not1_b32 vcc_lo, exec_lo, s21
	s_cbranch_vccnz .LBB84_164
; %bb.163:
	v_cmp_eq_u32_e32 vcc_lo, 1, v0
	ds_load_b32 v109, v111
	v_cndmask_b32_e32 v108, v34, v35, vcc_lo
	v_cmp_eq_u32_e32 vcc_lo, 2, v0
	s_delay_alu instid0(VALU_DEP_2) | instskip(SKIP_1) | instid1(VALU_DEP_2)
	v_cndmask_b32_e32 v108, v108, v36, vcc_lo
	v_cmp_eq_u32_e32 vcc_lo, 3, v0
	v_cndmask_b32_e32 v108, v108, v37, vcc_lo
	v_cmp_eq_u32_e32 vcc_lo, 4, v0
	s_delay_alu instid0(VALU_DEP_2) | instskip(SKIP_1) | instid1(VALU_DEP_2)
	v_cndmask_b32_e32 v108, v108, v38, vcc_lo
	v_cmp_eq_u32_e32 vcc_lo, 5, v0
	v_cndmask_b32_e32 v108, v108, v39, vcc_lo
	v_cmp_eq_u32_e32 vcc_lo, 6, v0
	s_delay_alu instid0(VALU_DEP_2) | instskip(SKIP_1) | instid1(VALU_DEP_2)
	v_cndmask_b32_e32 v108, v108, v40, vcc_lo
	v_cmp_eq_u32_e32 vcc_lo, 7, v0
	v_cndmask_b32_e32 v108, v108, v41, vcc_lo
	v_cmp_eq_u32_e32 vcc_lo, 8, v0
	s_delay_alu instid0(VALU_DEP_2) | instskip(SKIP_1) | instid1(VALU_DEP_2)
	v_cndmask_b32_e32 v108, v108, v42, vcc_lo
	v_cmp_eq_u32_e32 vcc_lo, 9, v0
	v_cndmask_b32_e32 v108, v108, v43, vcc_lo
	v_cmp_eq_u32_e32 vcc_lo, 10, v0
	s_delay_alu instid0(VALU_DEP_2) | instskip(SKIP_1) | instid1(VALU_DEP_2)
	v_cndmask_b32_e32 v108, v108, v44, vcc_lo
	v_cmp_eq_u32_e32 vcc_lo, 11, v0
	v_cndmask_b32_e32 v108, v108, v45, vcc_lo
	v_cmp_eq_u32_e32 vcc_lo, 12, v0
	s_delay_alu instid0(VALU_DEP_2) | instskip(SKIP_1) | instid1(VALU_DEP_2)
	v_cndmask_b32_e32 v108, v108, v46, vcc_lo
	v_cmp_eq_u32_e32 vcc_lo, 13, v0
	v_cndmask_b32_e32 v108, v108, v47, vcc_lo
	v_cmp_eq_u32_e32 vcc_lo, 14, v0
	s_delay_alu instid0(VALU_DEP_2) | instskip(SKIP_1) | instid1(VALU_DEP_2)
	v_cndmask_b32_e32 v108, v108, v48, vcc_lo
	v_cmp_eq_u32_e32 vcc_lo, 15, v0
	v_cndmask_b32_e32 v108, v108, v49, vcc_lo
	v_cmp_eq_u32_e32 vcc_lo, 16, v0
	s_delay_alu instid0(VALU_DEP_2) | instskip(SKIP_1) | instid1(VALU_DEP_2)
	v_cndmask_b32_e32 v108, v108, v50, vcc_lo
	v_cmp_eq_u32_e32 vcc_lo, 17, v0
	v_cndmask_b32_e32 v108, v108, v51, vcc_lo
	v_cmp_eq_u32_e32 vcc_lo, 18, v0
	s_delay_alu instid0(VALU_DEP_2) | instskip(SKIP_1) | instid1(VALU_DEP_2)
	v_cndmask_b32_e32 v108, v108, v52, vcc_lo
	v_cmp_eq_u32_e32 vcc_lo, 19, v0
	v_cndmask_b32_e32 v108, v108, v53, vcc_lo
	v_cmp_eq_u32_e32 vcc_lo, 20, v0
	s_delay_alu instid0(VALU_DEP_2) | instskip(SKIP_1) | instid1(VALU_DEP_1)
	v_cndmask_b32_e32 v108, v108, v54, vcc_lo
	s_wait_dscnt 0x0
	v_mul_f32_e32 v112, v108, v109
	s_cbranch_execz .LBB84_165
	s_branch .LBB84_166
.LBB84_164:
                                        ; implicit-def: $vgpr112
.LBB84_165:
	ds_load_b32 v112, v111
.LBB84_166:
	s_and_saveexec_b32 s5, s1
	s_cbranch_execz .LBB84_176
; %bb.167:
	v_dual_add_nc_u32 v108, -10, v0 :: v_dual_add_nc_u32 v109, -9, v0
	s_delay_alu instid0(VALU_DEP_1)
	v_cmp_lt_u32_e32 vcc_lo, 6, v108
	v_mov_b32_e32 v108, 9
	s_and_saveexec_b32 s1, vcc_lo
	s_cbranch_execz .LBB84_171
; %bb.168:
	v_and_b32_e32 v108, -8, v109
	s_mov_b32 s6, 0
	s_mov_b64 s[2:3], 16
	s_movk_i32 s7, 0x84
	s_delay_alu instid0(VALU_DEP_1)
	v_sub_nc_u32_e32 v110, 0, v108
.LBB84_169:                             ; =>This Inner Loop Header: Depth=1
	s_add_co_i32 m0, s2, -7
	v_movrels_b32_e32 v113, v34
	v_mov_b32_e32 v108, s7
	s_add_co_i32 m0, s2, -6
	s_add_co_i32 s7, s7, 32
	v_movrels_b32_e32 v122, v34
	ds_load_2addr_b32 v[114:115], v108 offset1:1
	ds_load_2addr_b32 v[116:117], v108 offset0:2 offset1:3
	s_add_co_i32 m0, s2, -5
	s_wait_dscnt 0x1
	v_fmac_f32_e32 v112, v113, v114
	ds_load_2addr_b32 v[118:119], v108 offset0:4 offset1:5
	ds_load_2addr_b32 v[120:121], v108 offset0:6 offset1:7
	v_movrels_b32_e32 v108, v34
	s_add_co_i32 m0, s2, -4
	v_fmac_f32_e32 v112, v122, v115
	v_movrels_b32_e32 v113, v34
	s_add_co_i32 m0, s2, -3
	s_wait_dscnt 0x2
	s_delay_alu instid0(VALU_DEP_2) | instskip(SKIP_2) | instid1(VALU_DEP_2)
	v_fmac_f32_e32 v112, v108, v116
	v_movrels_b32_e32 v108, v34
	s_add_co_i32 m0, s2, -2
	v_fmac_f32_e32 v112, v113, v117
	v_movrels_b32_e32 v113, v34
	s_add_co_i32 m0, s2, -1
	s_wait_dscnt 0x1
	s_delay_alu instid0(VALU_DEP_2)
	v_fmac_f32_e32 v112, v108, v118
	v_movrels_b32_e32 v108, v34
	s_mov_b32 m0, s2
	s_add_nc_u64 s[2:3], s[2:3], 8
	v_movrels_b32_e32 v114, v34
	v_dual_fmac_f32 v112, v113, v119 :: v_dual_add_nc_u32 v113, s2, v110
	s_add_co_i32 s8, s2, -7
	s_wait_dscnt 0x0
	s_delay_alu instid0(VALU_DEP_1) | instskip(NEXT) | instid1(VALU_DEP_2)
	v_fmac_f32_e32 v112, v108, v120
	v_cmp_eq_u32_e32 vcc_lo, 16, v113
	s_delay_alu instid0(VALU_DEP_2) | instskip(SKIP_1) | instid1(SALU_CYCLE_1)
	v_dual_mov_b32 v108, s8 :: v_dual_fmac_f32 v112, v114, v121
	s_or_b32 s6, vcc_lo, s6
	s_and_not1_b32 exec_lo, exec_lo, s6
	s_cbranch_execnz .LBB84_169
; %bb.170:
	s_or_b32 exec_lo, exec_lo, s6
.LBB84_171:
	s_delay_alu instid0(SALU_CYCLE_1) | instskip(SKIP_3) | instid1(VALU_DEP_1)
	s_or_b32 exec_lo, exec_lo, s1
	v_and_b32_e32 v55, 7, v109
	s_mov_b32 s2, 0
	s_mov_b32 s1, exec_lo
	v_cmpx_ne_u32_e32 0, v55
	s_cbranch_execz .LBB84_175
; %bb.172:
	v_lshl_add_u32 v56, v108, 2, 0x60
	v_mov_b32_e32 v109, 0
.LBB84_173:                             ; =>This Inner Loop Header: Depth=1
	v_cmp_eq_u32_e32 vcc_lo, 1, v108
	ds_load_b32 v58, v56
	v_dual_add_nc_u32 v56, 4, v56 :: v_dual_add_nc_u32 v55, -1, v55
	v_cndmask_b32_e32 v57, v34, v35, vcc_lo
	v_cmp_eq_u32_e32 vcc_lo, 2, v108
	s_delay_alu instid0(VALU_DEP_2) | instskip(SKIP_1) | instid1(VALU_DEP_2)
	v_cndmask_b32_e32 v57, v57, v36, vcc_lo
	v_cmp_eq_u32_e32 vcc_lo, 3, v108
	v_cndmask_b32_e32 v57, v57, v37, vcc_lo
	v_cmp_eq_u32_e32 vcc_lo, 4, v108
	s_delay_alu instid0(VALU_DEP_2) | instskip(SKIP_1) | instid1(VALU_DEP_2)
	v_cndmask_b32_e32 v57, v57, v38, vcc_lo
	v_cmp_eq_u32_e32 vcc_lo, 5, v108
	;; [unrolled: 5-line block ×9, first 2 shown]
	v_cndmask_b32_e32 v57, v57, v53, vcc_lo
	v_cmp_eq_u32_e32 vcc_lo, 20, v108
	v_add_nc_u64_e32 v[108:109], 1, v[108:109]
	s_delay_alu instid0(VALU_DEP_3) | instskip(SKIP_2) | instid1(VALU_DEP_2)
	v_cndmask_b32_e32 v57, v57, v54, vcc_lo
	v_cmp_eq_u32_e32 vcc_lo, 0, v55
	s_wait_dscnt 0x0
	v_fmac_f32_e32 v112, v57, v58
	s_or_b32 s2, vcc_lo, s2
	s_delay_alu instid0(SALU_CYCLE_1)
	s_and_not1_b32 exec_lo, exec_lo, s2
	s_cbranch_execnz .LBB84_173
; %bb.174:
	s_or_b32 exec_lo, exec_lo, s2
.LBB84_175:
	s_delay_alu instid0(SALU_CYCLE_1)
	s_or_b32 exec_lo, exec_lo, s1
.LBB84_176:
	s_delay_alu instid0(SALU_CYCLE_1)
	s_or_b32 exec_lo, exec_lo, s5
	v_mov_b32_e32 v42, 0
	ds_load_b32 v42, v42 offset:32
	s_wait_dscnt 0x0
	v_mul_f32_e32 v42, v112, v42
.LBB84_177:
	s_or_b32 exec_lo, exec_lo, s4
	v_cmp_lt_u32_e64 s1, 7, v0
	ds_store_b32 v111, v41
	s_wait_dscnt 0x0
	s_barrier_signal -1
	s_barrier_wait -1
	s_and_saveexec_b32 s4, s1
	s_cbranch_execz .LBB84_193
; %bb.178:
	s_and_not1_b32 vcc_lo, exec_lo, s21
	s_cbranch_vccnz .LBB84_180
; %bb.179:
	v_cmp_eq_u32_e32 vcc_lo, 1, v0
	ds_load_b32 v109, v111
	v_cndmask_b32_e32 v108, v34, v35, vcc_lo
	v_cmp_eq_u32_e32 vcc_lo, 2, v0
	s_delay_alu instid0(VALU_DEP_2) | instskip(SKIP_1) | instid1(VALU_DEP_2)
	v_cndmask_b32_e32 v108, v108, v36, vcc_lo
	v_cmp_eq_u32_e32 vcc_lo, 3, v0
	v_cndmask_b32_e32 v108, v108, v37, vcc_lo
	v_cmp_eq_u32_e32 vcc_lo, 4, v0
	s_delay_alu instid0(VALU_DEP_2) | instskip(SKIP_1) | instid1(VALU_DEP_2)
	v_cndmask_b32_e32 v108, v108, v38, vcc_lo
	v_cmp_eq_u32_e32 vcc_lo, 5, v0
	;; [unrolled: 5-line block ×9, first 2 shown]
	v_cndmask_b32_e32 v108, v108, v53, vcc_lo
	v_cmp_eq_u32_e32 vcc_lo, 20, v0
	s_delay_alu instid0(VALU_DEP_2) | instskip(SKIP_1) | instid1(VALU_DEP_1)
	v_cndmask_b32_e32 v108, v108, v54, vcc_lo
	s_wait_dscnt 0x0
	v_mul_f32_e32 v112, v108, v109
	s_cbranch_execz .LBB84_181
	s_branch .LBB84_182
.LBB84_180:
                                        ; implicit-def: $vgpr112
.LBB84_181:
	ds_load_b32 v112, v111
.LBB84_182:
	s_and_saveexec_b32 s5, s0
	s_cbranch_execz .LBB84_192
; %bb.183:
	v_add_nc_u32_e32 v108, -9, v0
	s_delay_alu instid0(VALU_DEP_1)
	v_cmp_lt_u32_e32 vcc_lo, 6, v108
	v_mov_b32_e32 v108, 8
	s_and_saveexec_b32 s0, vcc_lo
	s_cbranch_execz .LBB84_187
; %bb.184:
	v_and_b32_e32 v108, 24, v0
	s_mov_b32 s6, 0
	s_mov_b64 s[2:3], 15
	s_movk_i32 s7, 0x80
	s_delay_alu instid0(VALU_DEP_1)
	v_sub_nc_u32_e32 v110, 0, v108
.LBB84_185:                             ; =>This Inner Loop Header: Depth=1
	s_add_co_i32 m0, s2, -7
	v_movrels_b32_e32 v109, v34
	v_mov_b32_e32 v108, s7
	s_add_co_i32 m0, s2, -6
	s_add_co_i32 s7, s7, 32
	v_movrels_b32_e32 v113, v34
	s_add_co_i32 m0, s2, -5
	ds_load_b128 v[114:117], v108
	ds_load_b128 v[118:121], v108 offset:16
	v_movrels_b32_e32 v108, v34
	s_add_co_i32 m0, s2, -4
	s_wait_dscnt 0x1
	v_fmac_f32_e32 v112, v109, v114
	v_movrels_b32_e32 v109, v34
	s_add_co_i32 m0, s2, -3
	s_delay_alu instid0(VALU_DEP_2) | instskip(NEXT) | instid1(VALU_DEP_1)
	v_fmac_f32_e32 v112, v113, v115
	v_fmac_f32_e32 v112, v108, v116
	v_movrels_b32_e32 v108, v34
	s_add_co_i32 m0, s2, -2
	s_delay_alu instid0(VALU_DEP_2) | instskip(SKIP_3) | instid1(VALU_DEP_2)
	v_fmac_f32_e32 v112, v109, v117
	v_movrels_b32_e32 v109, v34
	s_add_co_i32 m0, s2, -1
	s_wait_dscnt 0x0
	v_fmac_f32_e32 v112, v108, v118
	v_movrels_b32_e32 v108, v34
	s_mov_b32 m0, s2
	s_add_nc_u64 s[2:3], s[2:3], 8
	v_movrels_b32_e32 v113, v34
	v_dual_fmac_f32 v112, v109, v119 :: v_dual_add_nc_u32 v109, s2, v110
	s_add_co_i32 s8, s2, -7
	s_delay_alu instid0(VALU_DEP_1) | instskip(NEXT) | instid1(VALU_DEP_2)
	v_fmac_f32_e32 v112, v108, v120
	v_cmp_eq_u32_e32 vcc_lo, 7, v109
	s_delay_alu instid0(VALU_DEP_2) | instskip(SKIP_1) | instid1(SALU_CYCLE_1)
	v_dual_mov_b32 v108, s8 :: v_dual_fmac_f32 v112, v113, v121
	s_or_b32 s6, vcc_lo, s6
	s_and_not1_b32 exec_lo, exec_lo, s6
	s_cbranch_execnz .LBB84_185
; %bb.186:
	s_or_b32 exec_lo, exec_lo, s6
.LBB84_187:
	s_delay_alu instid0(SALU_CYCLE_1) | instskip(SKIP_3) | instid1(VALU_DEP_1)
	s_or_b32 exec_lo, exec_lo, s0
	v_and_b32_e32 v55, 7, v0
	s_mov_b32 s2, 0
	s_mov_b32 s0, exec_lo
	v_cmpx_ne_u32_e32 0, v55
	s_cbranch_execz .LBB84_191
; %bb.188:
	v_lshl_add_u32 v56, v108, 2, 0x60
	v_mov_b32_e32 v109, 0
.LBB84_189:                             ; =>This Inner Loop Header: Depth=1
	v_cmp_eq_u32_e32 vcc_lo, 1, v108
	ds_load_b32 v58, v56
	v_dual_add_nc_u32 v56, 4, v56 :: v_dual_add_nc_u32 v55, -1, v55
	v_cndmask_b32_e32 v57, v34, v35, vcc_lo
	v_cmp_eq_u32_e32 vcc_lo, 2, v108
	s_delay_alu instid0(VALU_DEP_2) | instskip(SKIP_1) | instid1(VALU_DEP_2)
	v_cndmask_b32_e32 v57, v57, v36, vcc_lo
	v_cmp_eq_u32_e32 vcc_lo, 3, v108
	v_cndmask_b32_e32 v57, v57, v37, vcc_lo
	v_cmp_eq_u32_e32 vcc_lo, 4, v108
	s_delay_alu instid0(VALU_DEP_2) | instskip(SKIP_1) | instid1(VALU_DEP_2)
	v_cndmask_b32_e32 v57, v57, v38, vcc_lo
	v_cmp_eq_u32_e32 vcc_lo, 5, v108
	;; [unrolled: 5-line block ×9, first 2 shown]
	v_cndmask_b32_e32 v57, v57, v53, vcc_lo
	v_cmp_eq_u32_e32 vcc_lo, 20, v108
	v_add_nc_u64_e32 v[108:109], 1, v[108:109]
	s_delay_alu instid0(VALU_DEP_3) | instskip(SKIP_2) | instid1(VALU_DEP_2)
	v_cndmask_b32_e32 v57, v57, v54, vcc_lo
	v_cmp_eq_u32_e32 vcc_lo, 0, v55
	s_wait_dscnt 0x0
	v_fmac_f32_e32 v112, v57, v58
	s_or_b32 s2, vcc_lo, s2
	s_delay_alu instid0(SALU_CYCLE_1)
	s_and_not1_b32 exec_lo, exec_lo, s2
	s_cbranch_execnz .LBB84_189
; %bb.190:
	s_or_b32 exec_lo, exec_lo, s2
.LBB84_191:
	s_delay_alu instid0(SALU_CYCLE_1)
	s_or_b32 exec_lo, exec_lo, s0
.LBB84_192:
	s_delay_alu instid0(SALU_CYCLE_1)
	s_or_b32 exec_lo, exec_lo, s5
	v_mov_b32_e32 v41, 0
	ds_load_b32 v41, v41 offset:28
	s_wait_dscnt 0x0
	v_mul_f32_e32 v41, v112, v41
.LBB84_193:
	s_or_b32 exec_lo, exec_lo, s4
	v_cmp_lt_u32_e64 s0, 6, v0
	ds_store_b32 v111, v40
	s_wait_dscnt 0x0
	s_barrier_signal -1
	s_barrier_wait -1
	s_and_saveexec_b32 s4, s0
	s_cbranch_execz .LBB84_209
; %bb.194:
	s_and_not1_b32 vcc_lo, exec_lo, s21
	s_cbranch_vccnz .LBB84_196
; %bb.195:
	v_cmp_eq_u32_e32 vcc_lo, 1, v0
	ds_load_b32 v109, v111
	v_cndmask_b32_e32 v108, v34, v35, vcc_lo
	v_cmp_eq_u32_e32 vcc_lo, 2, v0
	s_delay_alu instid0(VALU_DEP_2) | instskip(SKIP_1) | instid1(VALU_DEP_2)
	v_cndmask_b32_e32 v108, v108, v36, vcc_lo
	v_cmp_eq_u32_e32 vcc_lo, 3, v0
	v_cndmask_b32_e32 v108, v108, v37, vcc_lo
	v_cmp_eq_u32_e32 vcc_lo, 4, v0
	s_delay_alu instid0(VALU_DEP_2) | instskip(SKIP_1) | instid1(VALU_DEP_2)
	v_cndmask_b32_e32 v108, v108, v38, vcc_lo
	v_cmp_eq_u32_e32 vcc_lo, 5, v0
	;; [unrolled: 5-line block ×9, first 2 shown]
	v_cndmask_b32_e32 v108, v108, v53, vcc_lo
	v_cmp_eq_u32_e32 vcc_lo, 20, v0
	s_delay_alu instid0(VALU_DEP_2) | instskip(SKIP_1) | instid1(VALU_DEP_1)
	v_cndmask_b32_e32 v108, v108, v54, vcc_lo
	s_wait_dscnt 0x0
	v_mul_f32_e32 v112, v108, v109
	s_cbranch_execz .LBB84_197
	s_branch .LBB84_198
.LBB84_196:
                                        ; implicit-def: $vgpr112
.LBB84_197:
	ds_load_b32 v112, v111
.LBB84_198:
	s_and_saveexec_b32 s5, s1
	s_cbranch_execz .LBB84_208
; %bb.199:
	v_dual_add_nc_u32 v108, -8, v0 :: v_dual_add_nc_u32 v109, -7, v0
	s_delay_alu instid0(VALU_DEP_1)
	v_cmp_lt_u32_e32 vcc_lo, 6, v108
	v_mov_b32_e32 v108, 7
	s_and_saveexec_b32 s1, vcc_lo
	s_cbranch_execz .LBB84_203
; %bb.200:
	v_and_b32_e32 v108, -8, v109
	s_mov_b32 s6, 0
	s_mov_b64 s[2:3], 14
	s_movk_i32 s7, 0x7c
	s_delay_alu instid0(VALU_DEP_1)
	v_sub_nc_u32_e32 v110, 0, v108
.LBB84_201:                             ; =>This Inner Loop Header: Depth=1
	s_add_co_i32 m0, s2, -7
	v_movrels_b32_e32 v113, v34
	v_mov_b32_e32 v108, s7
	s_add_co_i32 m0, s2, -6
	s_add_co_i32 s7, s7, 32
	v_movrels_b32_e32 v122, v34
	ds_load_2addr_b32 v[114:115], v108 offset1:1
	ds_load_2addr_b32 v[116:117], v108 offset0:2 offset1:3
	s_add_co_i32 m0, s2, -5
	s_wait_dscnt 0x1
	v_fmac_f32_e32 v112, v113, v114
	ds_load_2addr_b32 v[118:119], v108 offset0:4 offset1:5
	ds_load_2addr_b32 v[120:121], v108 offset0:6 offset1:7
	v_movrels_b32_e32 v108, v34
	s_add_co_i32 m0, s2, -4
	v_fmac_f32_e32 v112, v122, v115
	v_movrels_b32_e32 v113, v34
	s_add_co_i32 m0, s2, -3
	s_wait_dscnt 0x2
	s_delay_alu instid0(VALU_DEP_2) | instskip(SKIP_2) | instid1(VALU_DEP_2)
	v_fmac_f32_e32 v112, v108, v116
	v_movrels_b32_e32 v108, v34
	s_add_co_i32 m0, s2, -2
	v_fmac_f32_e32 v112, v113, v117
	v_movrels_b32_e32 v113, v34
	s_add_co_i32 m0, s2, -1
	s_wait_dscnt 0x1
	s_delay_alu instid0(VALU_DEP_2)
	v_fmac_f32_e32 v112, v108, v118
	v_movrels_b32_e32 v108, v34
	s_mov_b32 m0, s2
	s_add_nc_u64 s[2:3], s[2:3], 8
	v_movrels_b32_e32 v114, v34
	v_dual_fmac_f32 v112, v113, v119 :: v_dual_add_nc_u32 v113, s2, v110
	s_add_co_i32 s8, s2, -7
	s_wait_dscnt 0x0
	s_delay_alu instid0(VALU_DEP_1) | instskip(NEXT) | instid1(VALU_DEP_2)
	v_fmac_f32_e32 v112, v108, v120
	v_cmp_eq_u32_e32 vcc_lo, 14, v113
	s_delay_alu instid0(VALU_DEP_2) | instskip(SKIP_1) | instid1(SALU_CYCLE_1)
	v_dual_mov_b32 v108, s8 :: v_dual_fmac_f32 v112, v114, v121
	s_or_b32 s6, vcc_lo, s6
	s_and_not1_b32 exec_lo, exec_lo, s6
	s_cbranch_execnz .LBB84_201
; %bb.202:
	s_or_b32 exec_lo, exec_lo, s6
.LBB84_203:
	s_delay_alu instid0(SALU_CYCLE_1) | instskip(SKIP_3) | instid1(VALU_DEP_1)
	s_or_b32 exec_lo, exec_lo, s1
	v_and_b32_e32 v55, 7, v109
	s_mov_b32 s2, 0
	s_mov_b32 s1, exec_lo
	v_cmpx_ne_u32_e32 0, v55
	s_cbranch_execz .LBB84_207
; %bb.204:
	v_lshl_add_u32 v56, v108, 2, 0x60
	v_mov_b32_e32 v109, 0
.LBB84_205:                             ; =>This Inner Loop Header: Depth=1
	v_cmp_eq_u32_e32 vcc_lo, 1, v108
	ds_load_b32 v58, v56
	v_dual_add_nc_u32 v56, 4, v56 :: v_dual_add_nc_u32 v55, -1, v55
	v_cndmask_b32_e32 v57, v34, v35, vcc_lo
	v_cmp_eq_u32_e32 vcc_lo, 2, v108
	s_delay_alu instid0(VALU_DEP_2) | instskip(SKIP_1) | instid1(VALU_DEP_2)
	v_cndmask_b32_e32 v57, v57, v36, vcc_lo
	v_cmp_eq_u32_e32 vcc_lo, 3, v108
	v_cndmask_b32_e32 v57, v57, v37, vcc_lo
	v_cmp_eq_u32_e32 vcc_lo, 4, v108
	s_delay_alu instid0(VALU_DEP_2) | instskip(SKIP_1) | instid1(VALU_DEP_2)
	v_cndmask_b32_e32 v57, v57, v38, vcc_lo
	v_cmp_eq_u32_e32 vcc_lo, 5, v108
	v_cndmask_b32_e32 v57, v57, v39, vcc_lo
	v_cmp_eq_u32_e32 vcc_lo, 6, v108
	s_delay_alu instid0(VALU_DEP_2) | instskip(SKIP_1) | instid1(VALU_DEP_2)
	v_cndmask_b32_e32 v57, v57, v40, vcc_lo
	v_cmp_eq_u32_e32 vcc_lo, 7, v108
	v_cndmask_b32_e32 v57, v57, v41, vcc_lo
	v_cmp_eq_u32_e32 vcc_lo, 8, v108
	s_delay_alu instid0(VALU_DEP_2) | instskip(SKIP_1) | instid1(VALU_DEP_2)
	v_cndmask_b32_e32 v57, v57, v42, vcc_lo
	v_cmp_eq_u32_e32 vcc_lo, 9, v108
	v_cndmask_b32_e32 v57, v57, v43, vcc_lo
	v_cmp_eq_u32_e32 vcc_lo, 10, v108
	s_delay_alu instid0(VALU_DEP_2) | instskip(SKIP_1) | instid1(VALU_DEP_2)
	v_cndmask_b32_e32 v57, v57, v44, vcc_lo
	v_cmp_eq_u32_e32 vcc_lo, 11, v108
	v_cndmask_b32_e32 v57, v57, v45, vcc_lo
	v_cmp_eq_u32_e32 vcc_lo, 12, v108
	s_delay_alu instid0(VALU_DEP_2) | instskip(SKIP_1) | instid1(VALU_DEP_2)
	v_cndmask_b32_e32 v57, v57, v46, vcc_lo
	v_cmp_eq_u32_e32 vcc_lo, 13, v108
	v_cndmask_b32_e32 v57, v57, v47, vcc_lo
	v_cmp_eq_u32_e32 vcc_lo, 14, v108
	s_delay_alu instid0(VALU_DEP_2) | instskip(SKIP_1) | instid1(VALU_DEP_2)
	v_cndmask_b32_e32 v57, v57, v48, vcc_lo
	v_cmp_eq_u32_e32 vcc_lo, 15, v108
	v_cndmask_b32_e32 v57, v57, v49, vcc_lo
	v_cmp_eq_u32_e32 vcc_lo, 16, v108
	s_delay_alu instid0(VALU_DEP_2) | instskip(SKIP_1) | instid1(VALU_DEP_2)
	v_cndmask_b32_e32 v57, v57, v50, vcc_lo
	v_cmp_eq_u32_e32 vcc_lo, 17, v108
	v_cndmask_b32_e32 v57, v57, v51, vcc_lo
	v_cmp_eq_u32_e32 vcc_lo, 18, v108
	s_delay_alu instid0(VALU_DEP_2) | instskip(SKIP_1) | instid1(VALU_DEP_2)
	v_cndmask_b32_e32 v57, v57, v52, vcc_lo
	v_cmp_eq_u32_e32 vcc_lo, 19, v108
	v_cndmask_b32_e32 v57, v57, v53, vcc_lo
	v_cmp_eq_u32_e32 vcc_lo, 20, v108
	v_add_nc_u64_e32 v[108:109], 1, v[108:109]
	s_delay_alu instid0(VALU_DEP_3) | instskip(SKIP_2) | instid1(VALU_DEP_2)
	v_cndmask_b32_e32 v57, v57, v54, vcc_lo
	v_cmp_eq_u32_e32 vcc_lo, 0, v55
	s_wait_dscnt 0x0
	v_fmac_f32_e32 v112, v57, v58
	s_or_b32 s2, vcc_lo, s2
	s_delay_alu instid0(SALU_CYCLE_1)
	s_and_not1_b32 exec_lo, exec_lo, s2
	s_cbranch_execnz .LBB84_205
; %bb.206:
	s_or_b32 exec_lo, exec_lo, s2
.LBB84_207:
	s_delay_alu instid0(SALU_CYCLE_1)
	s_or_b32 exec_lo, exec_lo, s1
.LBB84_208:
	s_delay_alu instid0(SALU_CYCLE_1)
	s_or_b32 exec_lo, exec_lo, s5
	v_mov_b32_e32 v40, 0
	ds_load_b32 v40, v40 offset:24
	s_wait_dscnt 0x0
	v_mul_f32_e32 v40, v112, v40
.LBB84_209:
	s_or_b32 exec_lo, exec_lo, s4
	v_cmp_lt_u32_e64 s1, 5, v0
	ds_store_b32 v111, v39
	s_wait_dscnt 0x0
	s_barrier_signal -1
	s_barrier_wait -1
	s_and_saveexec_b32 s4, s1
	s_cbranch_execz .LBB84_225
; %bb.210:
	s_and_not1_b32 vcc_lo, exec_lo, s21
	s_cbranch_vccnz .LBB84_212
; %bb.211:
	v_cmp_eq_u32_e32 vcc_lo, 1, v0
	ds_load_b32 v109, v111
	v_cndmask_b32_e32 v108, v34, v35, vcc_lo
	v_cmp_eq_u32_e32 vcc_lo, 2, v0
	s_delay_alu instid0(VALU_DEP_2) | instskip(SKIP_1) | instid1(VALU_DEP_2)
	v_cndmask_b32_e32 v108, v108, v36, vcc_lo
	v_cmp_eq_u32_e32 vcc_lo, 3, v0
	v_cndmask_b32_e32 v108, v108, v37, vcc_lo
	v_cmp_eq_u32_e32 vcc_lo, 4, v0
	s_delay_alu instid0(VALU_DEP_2) | instskip(SKIP_1) | instid1(VALU_DEP_2)
	v_cndmask_b32_e32 v108, v108, v38, vcc_lo
	v_cmp_eq_u32_e32 vcc_lo, 5, v0
	;; [unrolled: 5-line block ×9, first 2 shown]
	v_cndmask_b32_e32 v108, v108, v53, vcc_lo
	v_cmp_eq_u32_e32 vcc_lo, 20, v0
	s_delay_alu instid0(VALU_DEP_2) | instskip(SKIP_1) | instid1(VALU_DEP_1)
	v_cndmask_b32_e32 v108, v108, v54, vcc_lo
	s_wait_dscnt 0x0
	v_mul_f32_e32 v112, v108, v109
	s_cbranch_execz .LBB84_213
	s_branch .LBB84_214
.LBB84_212:
                                        ; implicit-def: $vgpr112
.LBB84_213:
	ds_load_b32 v112, v111
.LBB84_214:
	s_and_saveexec_b32 s5, s0
	s_cbranch_execz .LBB84_224
; %bb.215:
	v_dual_add_nc_u32 v110, -7, v0 :: v_dual_add_nc_u32 v109, -6, v0
	v_mov_b32_e32 v108, 6
	s_mov_b32 s0, exec_lo
	s_delay_alu instid0(VALU_DEP_2)
	v_cmpx_lt_u32_e32 6, v110
	s_cbranch_execz .LBB84_219
; %bb.216:
	v_and_b32_e32 v108, -8, v109
	s_mov_b32 s6, 0
	s_mov_b64 s[2:3], 13
	s_movk_i32 s7, 0x78
	s_delay_alu instid0(VALU_DEP_1)
	v_sub_nc_u32_e32 v110, 0, v108
.LBB84_217:                             ; =>This Inner Loop Header: Depth=1
	s_add_co_i32 m0, s2, -7
	v_movrels_b32_e32 v113, v34
	v_mov_b32_e32 v108, s7
	s_add_co_i32 m0, s2, -6
	s_add_co_i32 s7, s7, 32
	v_movrels_b32_e32 v122, v34
	s_add_co_i32 m0, s2, -5
	ds_load_2addr_b64 v[114:117], v108 offset1:1
	ds_load_2addr_b64 v[118:121], v108 offset0:2 offset1:3
	v_movrels_b32_e32 v108, v34
	s_add_co_i32 m0, s2, -4
	s_wait_dscnt 0x1
	v_fmac_f32_e32 v112, v113, v114
	v_movrels_b32_e32 v113, v34
	s_add_co_i32 m0, s2, -3
	s_delay_alu instid0(VALU_DEP_2) | instskip(NEXT) | instid1(VALU_DEP_1)
	v_fmac_f32_e32 v112, v122, v115
	v_fmac_f32_e32 v112, v108, v116
	v_movrels_b32_e32 v108, v34
	s_add_co_i32 m0, s2, -2
	s_delay_alu instid0(VALU_DEP_2) | instskip(SKIP_3) | instid1(VALU_DEP_2)
	v_fmac_f32_e32 v112, v113, v117
	v_movrels_b32_e32 v113, v34
	s_add_co_i32 m0, s2, -1
	s_wait_dscnt 0x0
	v_fmac_f32_e32 v112, v108, v118
	v_movrels_b32_e32 v108, v34
	s_mov_b32 m0, s2
	s_add_nc_u64 s[2:3], s[2:3], 8
	v_movrels_b32_e32 v114, v34
	v_dual_fmac_f32 v112, v113, v119 :: v_dual_add_nc_u32 v113, s2, v110
	s_add_co_i32 s8, s2, -7
	s_delay_alu instid0(VALU_DEP_1) | instskip(NEXT) | instid1(VALU_DEP_2)
	v_fmac_f32_e32 v112, v108, v120
	v_cmp_eq_u32_e32 vcc_lo, 13, v113
	s_delay_alu instid0(VALU_DEP_2) | instskip(SKIP_1) | instid1(SALU_CYCLE_1)
	v_dual_mov_b32 v108, s8 :: v_dual_fmac_f32 v112, v114, v121
	s_or_b32 s6, vcc_lo, s6
	s_and_not1_b32 exec_lo, exec_lo, s6
	s_cbranch_execnz .LBB84_217
; %bb.218:
	s_or_b32 exec_lo, exec_lo, s6
.LBB84_219:
	s_delay_alu instid0(SALU_CYCLE_1) | instskip(SKIP_3) | instid1(VALU_DEP_1)
	s_or_b32 exec_lo, exec_lo, s0
	v_and_b32_e32 v55, 7, v109
	s_mov_b32 s2, 0
	s_mov_b32 s0, exec_lo
	v_cmpx_ne_u32_e32 0, v55
	s_cbranch_execz .LBB84_223
; %bb.220:
	v_lshl_add_u32 v56, v108, 2, 0x60
	v_mov_b32_e32 v109, 0
.LBB84_221:                             ; =>This Inner Loop Header: Depth=1
	v_cmp_eq_u32_e32 vcc_lo, 1, v108
	ds_load_b32 v58, v56
	v_dual_add_nc_u32 v56, 4, v56 :: v_dual_add_nc_u32 v55, -1, v55
	v_cndmask_b32_e32 v57, v34, v35, vcc_lo
	v_cmp_eq_u32_e32 vcc_lo, 2, v108
	s_delay_alu instid0(VALU_DEP_2) | instskip(SKIP_1) | instid1(VALU_DEP_2)
	v_cndmask_b32_e32 v57, v57, v36, vcc_lo
	v_cmp_eq_u32_e32 vcc_lo, 3, v108
	v_cndmask_b32_e32 v57, v57, v37, vcc_lo
	v_cmp_eq_u32_e32 vcc_lo, 4, v108
	s_delay_alu instid0(VALU_DEP_2) | instskip(SKIP_1) | instid1(VALU_DEP_2)
	v_cndmask_b32_e32 v57, v57, v38, vcc_lo
	v_cmp_eq_u32_e32 vcc_lo, 5, v108
	;; [unrolled: 5-line block ×9, first 2 shown]
	v_cndmask_b32_e32 v57, v57, v53, vcc_lo
	v_cmp_eq_u32_e32 vcc_lo, 20, v108
	v_add_nc_u64_e32 v[108:109], 1, v[108:109]
	s_delay_alu instid0(VALU_DEP_3) | instskip(SKIP_2) | instid1(VALU_DEP_2)
	v_cndmask_b32_e32 v57, v57, v54, vcc_lo
	v_cmp_eq_u32_e32 vcc_lo, 0, v55
	s_wait_dscnt 0x0
	v_fmac_f32_e32 v112, v57, v58
	s_or_b32 s2, vcc_lo, s2
	s_delay_alu instid0(SALU_CYCLE_1)
	s_and_not1_b32 exec_lo, exec_lo, s2
	s_cbranch_execnz .LBB84_221
; %bb.222:
	s_or_b32 exec_lo, exec_lo, s2
.LBB84_223:
	s_delay_alu instid0(SALU_CYCLE_1)
	s_or_b32 exec_lo, exec_lo, s0
.LBB84_224:
	s_delay_alu instid0(SALU_CYCLE_1)
	s_or_b32 exec_lo, exec_lo, s5
	v_mov_b32_e32 v39, 0
	ds_load_b32 v39, v39 offset:20
	s_wait_dscnt 0x0
	v_mul_f32_e32 v39, v112, v39
.LBB84_225:
	s_or_b32 exec_lo, exec_lo, s4
	v_cmp_lt_u32_e64 s0, 4, v0
	ds_store_b32 v111, v38
	s_wait_dscnt 0x0
	s_barrier_signal -1
	s_barrier_wait -1
	s_and_saveexec_b32 s4, s0
	s_cbranch_execz .LBB84_241
; %bb.226:
	s_and_not1_b32 vcc_lo, exec_lo, s21
	s_cbranch_vccnz .LBB84_228
; %bb.227:
	v_cmp_eq_u32_e32 vcc_lo, 1, v0
	ds_load_b32 v109, v111
	v_cndmask_b32_e32 v108, v34, v35, vcc_lo
	v_cmp_eq_u32_e32 vcc_lo, 2, v0
	s_delay_alu instid0(VALU_DEP_2) | instskip(SKIP_1) | instid1(VALU_DEP_2)
	v_cndmask_b32_e32 v108, v108, v36, vcc_lo
	v_cmp_eq_u32_e32 vcc_lo, 3, v0
	v_cndmask_b32_e32 v108, v108, v37, vcc_lo
	v_cmp_eq_u32_e32 vcc_lo, 4, v0
	s_delay_alu instid0(VALU_DEP_2) | instskip(SKIP_1) | instid1(VALU_DEP_2)
	v_cndmask_b32_e32 v108, v108, v38, vcc_lo
	v_cmp_eq_u32_e32 vcc_lo, 5, v0
	;; [unrolled: 5-line block ×9, first 2 shown]
	v_cndmask_b32_e32 v108, v108, v53, vcc_lo
	v_cmp_eq_u32_e32 vcc_lo, 20, v0
	s_delay_alu instid0(VALU_DEP_2) | instskip(SKIP_1) | instid1(VALU_DEP_1)
	v_cndmask_b32_e32 v108, v108, v54, vcc_lo
	s_wait_dscnt 0x0
	v_mul_f32_e32 v112, v108, v109
	s_cbranch_execz .LBB84_229
	s_branch .LBB84_230
.LBB84_228:
                                        ; implicit-def: $vgpr112
.LBB84_229:
	ds_load_b32 v112, v111
.LBB84_230:
	s_and_saveexec_b32 s5, s1
	s_cbranch_execz .LBB84_240
; %bb.231:
	v_dual_add_nc_u32 v108, -6, v0 :: v_dual_add_nc_u32 v109, -5, v0
	s_delay_alu instid0(VALU_DEP_1)
	v_cmp_lt_u32_e32 vcc_lo, 6, v108
	v_mov_b32_e32 v108, 5
	s_and_saveexec_b32 s1, vcc_lo
	s_cbranch_execz .LBB84_235
; %bb.232:
	v_and_b32_e32 v108, -8, v109
	s_mov_b32 s6, 0
	s_mov_b64 s[2:3], 12
	s_movk_i32 s7, 0x74
	s_delay_alu instid0(VALU_DEP_1)
	v_sub_nc_u32_e32 v110, 0, v108
.LBB84_233:                             ; =>This Inner Loop Header: Depth=1
	s_add_co_i32 m0, s2, -7
	v_movrels_b32_e32 v113, v34
	v_mov_b32_e32 v108, s7
	s_add_co_i32 m0, s2, -6
	s_add_co_i32 s7, s7, 32
	v_movrels_b32_e32 v122, v34
	ds_load_2addr_b32 v[114:115], v108 offset1:1
	ds_load_2addr_b32 v[116:117], v108 offset0:2 offset1:3
	s_add_co_i32 m0, s2, -5
	s_wait_dscnt 0x1
	v_fmac_f32_e32 v112, v113, v114
	ds_load_2addr_b32 v[118:119], v108 offset0:4 offset1:5
	ds_load_2addr_b32 v[120:121], v108 offset0:6 offset1:7
	v_movrels_b32_e32 v108, v34
	s_add_co_i32 m0, s2, -4
	v_fmac_f32_e32 v112, v122, v115
	v_movrels_b32_e32 v113, v34
	s_add_co_i32 m0, s2, -3
	s_wait_dscnt 0x2
	s_delay_alu instid0(VALU_DEP_2) | instskip(SKIP_2) | instid1(VALU_DEP_2)
	v_fmac_f32_e32 v112, v108, v116
	v_movrels_b32_e32 v108, v34
	s_add_co_i32 m0, s2, -2
	v_fmac_f32_e32 v112, v113, v117
	v_movrels_b32_e32 v113, v34
	s_add_co_i32 m0, s2, -1
	s_wait_dscnt 0x1
	s_delay_alu instid0(VALU_DEP_2)
	v_fmac_f32_e32 v112, v108, v118
	v_movrels_b32_e32 v108, v34
	s_mov_b32 m0, s2
	s_add_nc_u64 s[2:3], s[2:3], 8
	v_movrels_b32_e32 v114, v34
	v_dual_fmac_f32 v112, v113, v119 :: v_dual_add_nc_u32 v113, s2, v110
	s_add_co_i32 s8, s2, -7
	s_wait_dscnt 0x0
	s_delay_alu instid0(VALU_DEP_1) | instskip(NEXT) | instid1(VALU_DEP_2)
	v_fmac_f32_e32 v112, v108, v120
	v_cmp_eq_u32_e32 vcc_lo, 12, v113
	s_delay_alu instid0(VALU_DEP_2) | instskip(SKIP_1) | instid1(SALU_CYCLE_1)
	v_dual_mov_b32 v108, s8 :: v_dual_fmac_f32 v112, v114, v121
	s_or_b32 s6, vcc_lo, s6
	s_and_not1_b32 exec_lo, exec_lo, s6
	s_cbranch_execnz .LBB84_233
; %bb.234:
	s_or_b32 exec_lo, exec_lo, s6
.LBB84_235:
	s_delay_alu instid0(SALU_CYCLE_1) | instskip(SKIP_3) | instid1(VALU_DEP_1)
	s_or_b32 exec_lo, exec_lo, s1
	v_and_b32_e32 v55, 7, v109
	s_mov_b32 s2, 0
	s_mov_b32 s1, exec_lo
	v_cmpx_ne_u32_e32 0, v55
	s_cbranch_execz .LBB84_239
; %bb.236:
	v_lshl_add_u32 v56, v108, 2, 0x60
	v_mov_b32_e32 v109, 0
.LBB84_237:                             ; =>This Inner Loop Header: Depth=1
	v_cmp_eq_u32_e32 vcc_lo, 1, v108
	ds_load_b32 v58, v56
	v_dual_add_nc_u32 v56, 4, v56 :: v_dual_add_nc_u32 v55, -1, v55
	v_cndmask_b32_e32 v57, v34, v35, vcc_lo
	v_cmp_eq_u32_e32 vcc_lo, 2, v108
	s_delay_alu instid0(VALU_DEP_2) | instskip(SKIP_1) | instid1(VALU_DEP_2)
	v_cndmask_b32_e32 v57, v57, v36, vcc_lo
	v_cmp_eq_u32_e32 vcc_lo, 3, v108
	v_cndmask_b32_e32 v57, v57, v37, vcc_lo
	v_cmp_eq_u32_e32 vcc_lo, 4, v108
	s_delay_alu instid0(VALU_DEP_2) | instskip(SKIP_1) | instid1(VALU_DEP_2)
	v_cndmask_b32_e32 v57, v57, v38, vcc_lo
	v_cmp_eq_u32_e32 vcc_lo, 5, v108
	;; [unrolled: 5-line block ×9, first 2 shown]
	v_cndmask_b32_e32 v57, v57, v53, vcc_lo
	v_cmp_eq_u32_e32 vcc_lo, 20, v108
	v_add_nc_u64_e32 v[108:109], 1, v[108:109]
	s_delay_alu instid0(VALU_DEP_3) | instskip(SKIP_2) | instid1(VALU_DEP_2)
	v_cndmask_b32_e32 v57, v57, v54, vcc_lo
	v_cmp_eq_u32_e32 vcc_lo, 0, v55
	s_wait_dscnt 0x0
	v_fmac_f32_e32 v112, v57, v58
	s_or_b32 s2, vcc_lo, s2
	s_delay_alu instid0(SALU_CYCLE_1)
	s_and_not1_b32 exec_lo, exec_lo, s2
	s_cbranch_execnz .LBB84_237
; %bb.238:
	s_or_b32 exec_lo, exec_lo, s2
.LBB84_239:
	s_delay_alu instid0(SALU_CYCLE_1)
	s_or_b32 exec_lo, exec_lo, s1
.LBB84_240:
	s_delay_alu instid0(SALU_CYCLE_1)
	s_or_b32 exec_lo, exec_lo, s5
	v_mov_b32_e32 v38, 0
	ds_load_b32 v38, v38 offset:16
	s_wait_dscnt 0x0
	v_mul_f32_e32 v38, v112, v38
.LBB84_241:
	s_or_b32 exec_lo, exec_lo, s4
	v_cmp_lt_u32_e64 s1, 3, v0
	ds_store_b32 v111, v37
	s_wait_dscnt 0x0
	s_barrier_signal -1
	s_barrier_wait -1
	s_and_saveexec_b32 s4, s1
	s_cbranch_execz .LBB84_257
; %bb.242:
	s_and_not1_b32 vcc_lo, exec_lo, s21
	s_cbranch_vccnz .LBB84_244
; %bb.243:
	v_cmp_eq_u32_e32 vcc_lo, 1, v0
	ds_load_b32 v109, v111
	v_cndmask_b32_e32 v108, v34, v35, vcc_lo
	v_cmp_eq_u32_e32 vcc_lo, 2, v0
	s_delay_alu instid0(VALU_DEP_2) | instskip(SKIP_1) | instid1(VALU_DEP_2)
	v_cndmask_b32_e32 v108, v108, v36, vcc_lo
	v_cmp_eq_u32_e32 vcc_lo, 3, v0
	v_cndmask_b32_e32 v108, v108, v37, vcc_lo
	v_cmp_eq_u32_e32 vcc_lo, 4, v0
	s_delay_alu instid0(VALU_DEP_2) | instskip(SKIP_1) | instid1(VALU_DEP_2)
	v_cndmask_b32_e32 v108, v108, v38, vcc_lo
	v_cmp_eq_u32_e32 vcc_lo, 5, v0
	;; [unrolled: 5-line block ×9, first 2 shown]
	v_cndmask_b32_e32 v108, v108, v53, vcc_lo
	v_cmp_eq_u32_e32 vcc_lo, 20, v0
	s_delay_alu instid0(VALU_DEP_2) | instskip(SKIP_1) | instid1(VALU_DEP_1)
	v_cndmask_b32_e32 v108, v108, v54, vcc_lo
	s_wait_dscnt 0x0
	v_mul_f32_e32 v112, v108, v109
	s_cbranch_execz .LBB84_245
	s_branch .LBB84_246
.LBB84_244:
                                        ; implicit-def: $vgpr112
.LBB84_245:
	ds_load_b32 v112, v111
.LBB84_246:
	s_and_saveexec_b32 s5, s0
	s_cbranch_execz .LBB84_256
; %bb.247:
	v_dual_add_nc_u32 v108, -5, v0 :: v_dual_add_nc_u32 v109, -4, v0
	s_delay_alu instid0(VALU_DEP_1)
	v_cmp_lt_u32_e32 vcc_lo, 6, v108
	v_mov_b32_e32 v108, 4
	s_and_saveexec_b32 s0, vcc_lo
	s_cbranch_execz .LBB84_251
; %bb.248:
	v_and_b32_e32 v108, -8, v109
	s_mov_b32 s6, 0
	s_mov_b64 s[2:3], 5
	s_movk_i32 s7, 0x70
	s_delay_alu instid0(VALU_DEP_1)
	v_sub_nc_u32_e32 v110, 0, v108
.LBB84_249:                             ; =>This Inner Loop Header: Depth=1
	s_add_co_i32 m0, s2, -1
	v_movrels_b32_e32 v113, v34
	v_mov_b32_e32 v108, s7
	s_mov_b32 m0, s2
	s_add_co_i32 s7, s7, 32
	v_movrels_b32_e32 v122, v34
	s_add_co_i32 m0, s2, 1
	ds_load_b128 v[114:117], v108
	ds_load_b128 v[118:121], v108 offset:16
	v_movrels_b32_e32 v108, v34
	s_add_co_i32 m0, s2, 2
	s_wait_dscnt 0x1
	v_fmac_f32_e32 v112, v113, v114
	v_movrels_b32_e32 v113, v34
	s_add_co_i32 m0, s2, 3
	s_delay_alu instid0(VALU_DEP_2) | instskip(NEXT) | instid1(VALU_DEP_1)
	v_fmac_f32_e32 v112, v122, v115
	v_fmac_f32_e32 v112, v108, v116
	v_movrels_b32_e32 v108, v34
	s_add_co_i32 m0, s2, 4
	s_delay_alu instid0(VALU_DEP_2) | instskip(SKIP_3) | instid1(VALU_DEP_2)
	v_fmac_f32_e32 v112, v113, v117
	v_movrels_b32_e32 v113, v34
	s_add_co_i32 m0, s2, 5
	s_wait_dscnt 0x0
	v_fmac_f32_e32 v112, v108, v118
	v_movrels_b32_e32 v108, v34
	s_add_co_i32 m0, s2, 6
	s_add_nc_u64 s[2:3], s[2:3], 8
	v_movrels_b32_e32 v114, v34
	v_dual_fmac_f32 v112, v113, v119 :: v_dual_add_nc_u32 v113, s2, v110
	s_add_co_i32 s8, s2, -1
	s_delay_alu instid0(VALU_DEP_1) | instskip(NEXT) | instid1(VALU_DEP_2)
	v_fmac_f32_e32 v112, v108, v120
	v_cmp_eq_u32_e32 vcc_lo, 5, v113
	s_delay_alu instid0(VALU_DEP_2) | instskip(SKIP_1) | instid1(SALU_CYCLE_1)
	v_dual_mov_b32 v108, s8 :: v_dual_fmac_f32 v112, v114, v121
	s_or_b32 s6, vcc_lo, s6
	s_and_not1_b32 exec_lo, exec_lo, s6
	s_cbranch_execnz .LBB84_249
; %bb.250:
	s_or_b32 exec_lo, exec_lo, s6
.LBB84_251:
	s_delay_alu instid0(SALU_CYCLE_1) | instskip(SKIP_3) | instid1(VALU_DEP_1)
	s_or_b32 exec_lo, exec_lo, s0
	v_and_b32_e32 v55, 7, v109
	s_mov_b32 s2, 0
	s_mov_b32 s0, exec_lo
	v_cmpx_ne_u32_e32 0, v55
	s_cbranch_execz .LBB84_255
; %bb.252:
	v_lshl_add_u32 v56, v108, 2, 0x60
	v_mov_b32_e32 v109, 0
.LBB84_253:                             ; =>This Inner Loop Header: Depth=1
	v_cmp_eq_u32_e32 vcc_lo, 1, v108
	ds_load_b32 v58, v56
	v_dual_add_nc_u32 v56, 4, v56 :: v_dual_add_nc_u32 v55, -1, v55
	v_cndmask_b32_e32 v57, v34, v35, vcc_lo
	v_cmp_eq_u32_e32 vcc_lo, 2, v108
	s_delay_alu instid0(VALU_DEP_2) | instskip(SKIP_1) | instid1(VALU_DEP_2)
	v_cndmask_b32_e32 v57, v57, v36, vcc_lo
	v_cmp_eq_u32_e32 vcc_lo, 3, v108
	v_cndmask_b32_e32 v57, v57, v37, vcc_lo
	v_cmp_eq_u32_e32 vcc_lo, 4, v108
	s_delay_alu instid0(VALU_DEP_2) | instskip(SKIP_1) | instid1(VALU_DEP_2)
	v_cndmask_b32_e32 v57, v57, v38, vcc_lo
	v_cmp_eq_u32_e32 vcc_lo, 5, v108
	;; [unrolled: 5-line block ×9, first 2 shown]
	v_cndmask_b32_e32 v57, v57, v53, vcc_lo
	v_cmp_eq_u32_e32 vcc_lo, 20, v108
	v_add_nc_u64_e32 v[108:109], 1, v[108:109]
	s_delay_alu instid0(VALU_DEP_3) | instskip(SKIP_2) | instid1(VALU_DEP_2)
	v_cndmask_b32_e32 v57, v57, v54, vcc_lo
	v_cmp_eq_u32_e32 vcc_lo, 0, v55
	s_wait_dscnt 0x0
	v_fmac_f32_e32 v112, v57, v58
	s_or_b32 s2, vcc_lo, s2
	s_delay_alu instid0(SALU_CYCLE_1)
	s_and_not1_b32 exec_lo, exec_lo, s2
	s_cbranch_execnz .LBB84_253
; %bb.254:
	s_or_b32 exec_lo, exec_lo, s2
.LBB84_255:
	s_delay_alu instid0(SALU_CYCLE_1)
	s_or_b32 exec_lo, exec_lo, s0
.LBB84_256:
	s_delay_alu instid0(SALU_CYCLE_1)
	s_or_b32 exec_lo, exec_lo, s5
	v_mov_b32_e32 v37, 0
	ds_load_b32 v37, v37 offset:12
	s_wait_dscnt 0x0
	v_mul_f32_e32 v37, v112, v37
.LBB84_257:
	s_or_b32 exec_lo, exec_lo, s4
	v_cmp_lt_u32_e64 s0, 2, v0
	ds_store_b32 v111, v36
	s_wait_dscnt 0x0
	s_barrier_signal -1
	s_barrier_wait -1
	s_and_saveexec_b32 s4, s0
	s_cbranch_execz .LBB84_273
; %bb.258:
	s_and_not1_b32 vcc_lo, exec_lo, s21
	s_cbranch_vccnz .LBB84_260
; %bb.259:
	v_cmp_eq_u32_e32 vcc_lo, 1, v0
	ds_load_b32 v109, v111
	v_cndmask_b32_e32 v108, v34, v35, vcc_lo
	v_cmp_eq_u32_e32 vcc_lo, 2, v0
	s_delay_alu instid0(VALU_DEP_2) | instskip(SKIP_1) | instid1(VALU_DEP_2)
	v_cndmask_b32_e32 v108, v108, v36, vcc_lo
	v_cmp_eq_u32_e32 vcc_lo, 3, v0
	v_cndmask_b32_e32 v108, v108, v37, vcc_lo
	v_cmp_eq_u32_e32 vcc_lo, 4, v0
	s_delay_alu instid0(VALU_DEP_2) | instskip(SKIP_1) | instid1(VALU_DEP_2)
	v_cndmask_b32_e32 v108, v108, v38, vcc_lo
	v_cmp_eq_u32_e32 vcc_lo, 5, v0
	;; [unrolled: 5-line block ×9, first 2 shown]
	v_cndmask_b32_e32 v108, v108, v53, vcc_lo
	v_cmp_eq_u32_e32 vcc_lo, 20, v0
	s_delay_alu instid0(VALU_DEP_2) | instskip(SKIP_1) | instid1(VALU_DEP_1)
	v_cndmask_b32_e32 v108, v108, v54, vcc_lo
	s_wait_dscnt 0x0
	v_mul_f32_e32 v112, v108, v109
	s_cbranch_execz .LBB84_261
	s_branch .LBB84_262
.LBB84_260:
                                        ; implicit-def: $vgpr112
.LBB84_261:
	ds_load_b32 v112, v111
.LBB84_262:
	s_and_saveexec_b32 s5, s1
	s_cbranch_execz .LBB84_272
; %bb.263:
	v_dual_add_nc_u32 v108, -4, v0 :: v_dual_add_nc_u32 v109, -3, v0
	s_delay_alu instid0(VALU_DEP_1)
	v_cmp_lt_u32_e32 vcc_lo, 6, v108
	v_mov_b32_e32 v108, 3
	s_and_saveexec_b32 s1, vcc_lo
	s_cbranch_execz .LBB84_267
; %bb.264:
	v_and_b32_e32 v108, -8, v109
	s_mov_b32 s6, 0
	s_mov_b64 s[2:3], 10
	s_movk_i32 s7, 0x6c
	s_delay_alu instid0(VALU_DEP_1)
	v_sub_nc_u32_e32 v110, 0, v108
.LBB84_265:                             ; =>This Inner Loop Header: Depth=1
	s_add_co_i32 m0, s2, -7
	v_movrels_b32_e32 v113, v34
	v_mov_b32_e32 v108, s7
	s_add_co_i32 m0, s2, -6
	s_add_co_i32 s7, s7, 32
	v_movrels_b32_e32 v122, v34
	ds_load_2addr_b32 v[114:115], v108 offset1:1
	ds_load_2addr_b32 v[116:117], v108 offset0:2 offset1:3
	s_add_co_i32 m0, s2, -5
	s_wait_dscnt 0x1
	v_fmac_f32_e32 v112, v113, v114
	ds_load_2addr_b32 v[118:119], v108 offset0:4 offset1:5
	ds_load_2addr_b32 v[120:121], v108 offset0:6 offset1:7
	v_movrels_b32_e32 v108, v34
	s_add_co_i32 m0, s2, -4
	v_fmac_f32_e32 v112, v122, v115
	v_movrels_b32_e32 v113, v34
	s_add_co_i32 m0, s2, -3
	s_wait_dscnt 0x2
	s_delay_alu instid0(VALU_DEP_2) | instskip(SKIP_2) | instid1(VALU_DEP_2)
	v_fmac_f32_e32 v112, v108, v116
	v_movrels_b32_e32 v108, v34
	s_add_co_i32 m0, s2, -2
	v_fmac_f32_e32 v112, v113, v117
	v_movrels_b32_e32 v113, v34
	s_add_co_i32 m0, s2, -1
	s_wait_dscnt 0x1
	s_delay_alu instid0(VALU_DEP_2)
	v_fmac_f32_e32 v112, v108, v118
	v_movrels_b32_e32 v108, v34
	s_mov_b32 m0, s2
	s_add_nc_u64 s[2:3], s[2:3], 8
	v_movrels_b32_e32 v114, v34
	v_dual_fmac_f32 v112, v113, v119 :: v_dual_add_nc_u32 v113, s2, v110
	s_add_co_i32 s8, s2, -7
	s_wait_dscnt 0x0
	s_delay_alu instid0(VALU_DEP_1) | instskip(NEXT) | instid1(VALU_DEP_2)
	v_fmac_f32_e32 v112, v108, v120
	v_cmp_eq_u32_e32 vcc_lo, 10, v113
	s_delay_alu instid0(VALU_DEP_2) | instskip(SKIP_1) | instid1(SALU_CYCLE_1)
	v_dual_mov_b32 v108, s8 :: v_dual_fmac_f32 v112, v114, v121
	s_or_b32 s6, vcc_lo, s6
	s_and_not1_b32 exec_lo, exec_lo, s6
	s_cbranch_execnz .LBB84_265
; %bb.266:
	s_or_b32 exec_lo, exec_lo, s6
.LBB84_267:
	s_delay_alu instid0(SALU_CYCLE_1) | instskip(SKIP_3) | instid1(VALU_DEP_1)
	s_or_b32 exec_lo, exec_lo, s1
	v_and_b32_e32 v55, 7, v109
	s_mov_b32 s2, 0
	s_mov_b32 s1, exec_lo
	v_cmpx_ne_u32_e32 0, v55
	s_cbranch_execz .LBB84_271
; %bb.268:
	v_lshl_add_u32 v56, v108, 2, 0x60
	v_mov_b32_e32 v109, 0
.LBB84_269:                             ; =>This Inner Loop Header: Depth=1
	v_cmp_eq_u32_e32 vcc_lo, 1, v108
	ds_load_b32 v58, v56
	v_dual_add_nc_u32 v56, 4, v56 :: v_dual_add_nc_u32 v55, -1, v55
	v_cndmask_b32_e32 v57, v34, v35, vcc_lo
	v_cmp_eq_u32_e32 vcc_lo, 2, v108
	s_delay_alu instid0(VALU_DEP_2) | instskip(SKIP_1) | instid1(VALU_DEP_2)
	v_cndmask_b32_e32 v57, v57, v36, vcc_lo
	v_cmp_eq_u32_e32 vcc_lo, 3, v108
	v_cndmask_b32_e32 v57, v57, v37, vcc_lo
	v_cmp_eq_u32_e32 vcc_lo, 4, v108
	s_delay_alu instid0(VALU_DEP_2) | instskip(SKIP_1) | instid1(VALU_DEP_2)
	v_cndmask_b32_e32 v57, v57, v38, vcc_lo
	v_cmp_eq_u32_e32 vcc_lo, 5, v108
	;; [unrolled: 5-line block ×9, first 2 shown]
	v_cndmask_b32_e32 v57, v57, v53, vcc_lo
	v_cmp_eq_u32_e32 vcc_lo, 20, v108
	v_add_nc_u64_e32 v[108:109], 1, v[108:109]
	s_delay_alu instid0(VALU_DEP_3) | instskip(SKIP_2) | instid1(VALU_DEP_2)
	v_cndmask_b32_e32 v57, v57, v54, vcc_lo
	v_cmp_eq_u32_e32 vcc_lo, 0, v55
	s_wait_dscnt 0x0
	v_fmac_f32_e32 v112, v57, v58
	s_or_b32 s2, vcc_lo, s2
	s_delay_alu instid0(SALU_CYCLE_1)
	s_and_not1_b32 exec_lo, exec_lo, s2
	s_cbranch_execnz .LBB84_269
; %bb.270:
	s_or_b32 exec_lo, exec_lo, s2
.LBB84_271:
	s_delay_alu instid0(SALU_CYCLE_1)
	s_or_b32 exec_lo, exec_lo, s1
.LBB84_272:
	s_delay_alu instid0(SALU_CYCLE_1)
	s_or_b32 exec_lo, exec_lo, s5
	v_mov_b32_e32 v36, 0
	ds_load_b32 v36, v36 offset:8
	s_wait_dscnt 0x0
	v_mul_f32_e32 v36, v112, v36
.LBB84_273:
	s_or_b32 exec_lo, exec_lo, s4
	v_cmp_lt_u32_e64 s1, 1, v0
	ds_store_b32 v111, v35
	s_wait_dscnt 0x0
	s_barrier_signal -1
	s_barrier_wait -1
	s_and_saveexec_b32 s4, s1
	s_cbranch_execz .LBB84_289
; %bb.274:
	s_and_not1_b32 vcc_lo, exec_lo, s21
	s_cbranch_vccnz .LBB84_276
; %bb.275:
	v_cmp_eq_u32_e32 vcc_lo, 1, v0
	ds_load_b32 v109, v111
	v_cndmask_b32_e32 v108, v34, v35, vcc_lo
	v_cmp_eq_u32_e32 vcc_lo, 2, v0
	s_delay_alu instid0(VALU_DEP_2) | instskip(SKIP_1) | instid1(VALU_DEP_2)
	v_cndmask_b32_e32 v108, v108, v36, vcc_lo
	v_cmp_eq_u32_e32 vcc_lo, 3, v0
	v_cndmask_b32_e32 v108, v108, v37, vcc_lo
	v_cmp_eq_u32_e32 vcc_lo, 4, v0
	s_delay_alu instid0(VALU_DEP_2) | instskip(SKIP_1) | instid1(VALU_DEP_2)
	v_cndmask_b32_e32 v108, v108, v38, vcc_lo
	v_cmp_eq_u32_e32 vcc_lo, 5, v0
	;; [unrolled: 5-line block ×9, first 2 shown]
	v_cndmask_b32_e32 v108, v108, v53, vcc_lo
	v_cmp_eq_u32_e32 vcc_lo, 20, v0
	s_delay_alu instid0(VALU_DEP_2) | instskip(SKIP_1) | instid1(VALU_DEP_1)
	v_cndmask_b32_e32 v108, v108, v54, vcc_lo
	s_wait_dscnt 0x0
	v_mul_f32_e32 v112, v108, v109
	s_cbranch_execz .LBB84_277
	s_branch .LBB84_278
.LBB84_276:
                                        ; implicit-def: $vgpr112
.LBB84_277:
	ds_load_b32 v112, v111
.LBB84_278:
	s_and_saveexec_b32 s5, s0
	s_cbranch_execz .LBB84_288
; %bb.279:
	v_dual_add_nc_u32 v108, -3, v0 :: v_dual_add_nc_u32 v109, -2, v0
	s_delay_alu instid0(VALU_DEP_1)
	v_cmp_lt_u32_e32 vcc_lo, 6, v108
	v_mov_b32_e32 v108, 2
	s_and_saveexec_b32 s0, vcc_lo
	s_cbranch_execz .LBB84_283
; %bb.280:
	v_and_b32_e32 v108, -8, v109
	s_mov_b32 s6, 0
	s_mov_b64 s[2:3], 9
	s_movk_i32 s7, 0x68
	s_delay_alu instid0(VALU_DEP_1)
	v_sub_nc_u32_e32 v110, 0, v108
.LBB84_281:                             ; =>This Inner Loop Header: Depth=1
	s_add_co_i32 m0, s2, -7
	v_movrels_b32_e32 v113, v34
	v_mov_b32_e32 v108, s7
	s_add_co_i32 m0, s2, -6
	s_add_co_i32 s7, s7, 32
	v_movrels_b32_e32 v122, v34
	s_add_co_i32 m0, s2, -5
	ds_load_2addr_b64 v[114:117], v108 offset1:1
	ds_load_2addr_b64 v[118:121], v108 offset0:2 offset1:3
	v_movrels_b32_e32 v108, v34
	s_add_co_i32 m0, s2, -4
	s_wait_dscnt 0x1
	v_fmac_f32_e32 v112, v113, v114
	v_movrels_b32_e32 v113, v34
	s_add_co_i32 m0, s2, -3
	s_delay_alu instid0(VALU_DEP_2) | instskip(NEXT) | instid1(VALU_DEP_1)
	v_fmac_f32_e32 v112, v122, v115
	v_fmac_f32_e32 v112, v108, v116
	v_movrels_b32_e32 v108, v34
	s_add_co_i32 m0, s2, -2
	s_delay_alu instid0(VALU_DEP_2) | instskip(SKIP_3) | instid1(VALU_DEP_2)
	v_fmac_f32_e32 v112, v113, v117
	v_movrels_b32_e32 v113, v34
	s_add_co_i32 m0, s2, -1
	s_wait_dscnt 0x0
	v_fmac_f32_e32 v112, v108, v118
	v_movrels_b32_e32 v108, v34
	s_mov_b32 m0, s2
	s_add_nc_u64 s[2:3], s[2:3], 8
	v_movrels_b32_e32 v114, v34
	v_dual_fmac_f32 v112, v113, v119 :: v_dual_add_nc_u32 v113, s2, v110
	s_add_co_i32 s8, s2, -7
	s_delay_alu instid0(VALU_DEP_1) | instskip(NEXT) | instid1(VALU_DEP_2)
	v_fmac_f32_e32 v112, v108, v120
	v_cmp_eq_u32_e32 vcc_lo, 9, v113
	s_delay_alu instid0(VALU_DEP_2) | instskip(SKIP_1) | instid1(SALU_CYCLE_1)
	v_dual_mov_b32 v108, s8 :: v_dual_fmac_f32 v112, v114, v121
	s_or_b32 s6, vcc_lo, s6
	s_and_not1_b32 exec_lo, exec_lo, s6
	s_cbranch_execnz .LBB84_281
; %bb.282:
	s_or_b32 exec_lo, exec_lo, s6
.LBB84_283:
	s_delay_alu instid0(SALU_CYCLE_1) | instskip(SKIP_3) | instid1(VALU_DEP_1)
	s_or_b32 exec_lo, exec_lo, s0
	v_and_b32_e32 v55, 7, v109
	s_mov_b32 s2, 0
	s_mov_b32 s0, exec_lo
	v_cmpx_ne_u32_e32 0, v55
	s_cbranch_execz .LBB84_287
; %bb.284:
	v_lshl_add_u32 v56, v108, 2, 0x60
	v_mov_b32_e32 v109, 0
.LBB84_285:                             ; =>This Inner Loop Header: Depth=1
	v_cmp_eq_u32_e32 vcc_lo, 1, v108
	ds_load_b32 v58, v56
	v_dual_add_nc_u32 v56, 4, v56 :: v_dual_add_nc_u32 v55, -1, v55
	v_cndmask_b32_e32 v57, v34, v35, vcc_lo
	v_cmp_eq_u32_e32 vcc_lo, 2, v108
	s_delay_alu instid0(VALU_DEP_2) | instskip(SKIP_1) | instid1(VALU_DEP_2)
	v_cndmask_b32_e32 v57, v57, v36, vcc_lo
	v_cmp_eq_u32_e32 vcc_lo, 3, v108
	v_cndmask_b32_e32 v57, v57, v37, vcc_lo
	v_cmp_eq_u32_e32 vcc_lo, 4, v108
	s_delay_alu instid0(VALU_DEP_2) | instskip(SKIP_1) | instid1(VALU_DEP_2)
	v_cndmask_b32_e32 v57, v57, v38, vcc_lo
	v_cmp_eq_u32_e32 vcc_lo, 5, v108
	;; [unrolled: 5-line block ×9, first 2 shown]
	v_cndmask_b32_e32 v57, v57, v53, vcc_lo
	v_cmp_eq_u32_e32 vcc_lo, 20, v108
	v_add_nc_u64_e32 v[108:109], 1, v[108:109]
	s_delay_alu instid0(VALU_DEP_3) | instskip(SKIP_2) | instid1(VALU_DEP_2)
	v_cndmask_b32_e32 v57, v57, v54, vcc_lo
	v_cmp_eq_u32_e32 vcc_lo, 0, v55
	s_wait_dscnt 0x0
	v_fmac_f32_e32 v112, v57, v58
	s_or_b32 s2, vcc_lo, s2
	s_delay_alu instid0(SALU_CYCLE_1)
	s_and_not1_b32 exec_lo, exec_lo, s2
	s_cbranch_execnz .LBB84_285
; %bb.286:
	s_or_b32 exec_lo, exec_lo, s2
.LBB84_287:
	s_delay_alu instid0(SALU_CYCLE_1)
	s_or_b32 exec_lo, exec_lo, s0
.LBB84_288:
	s_delay_alu instid0(SALU_CYCLE_1)
	s_or_b32 exec_lo, exec_lo, s5
	v_mov_b32_e32 v35, 0
	ds_load_b32 v35, v35 offset:4
	s_wait_dscnt 0x0
	v_mul_f32_e32 v35, v112, v35
.LBB84_289:
	s_or_b32 exec_lo, exec_lo, s4
	s_mov_b32 s2, 0
	s_mov_b32 s3, exec_lo
	ds_store_b32 v111, v34
	s_wait_dscnt 0x0
	s_barrier_signal -1
	s_barrier_wait -1
	v_cmpx_ne_u32_e32 0, v0
	s_cbranch_execz .LBB84_305
; %bb.290:
	s_and_not1_b32 vcc_lo, exec_lo, s21
	s_cbranch_vccnz .LBB84_292
; %bb.291:
	v_cmp_eq_u32_e32 vcc_lo, 1, v0
	ds_load_b32 v109, v111
	v_cndmask_b32_e32 v108, v34, v35, vcc_lo
	v_cmp_eq_u32_e32 vcc_lo, 2, v0
	s_delay_alu instid0(VALU_DEP_2) | instskip(SKIP_1) | instid1(VALU_DEP_2)
	v_cndmask_b32_e32 v108, v108, v36, vcc_lo
	v_cmp_eq_u32_e32 vcc_lo, 3, v0
	v_cndmask_b32_e32 v108, v108, v37, vcc_lo
	v_cmp_eq_u32_e32 vcc_lo, 4, v0
	s_delay_alu instid0(VALU_DEP_2) | instskip(SKIP_1) | instid1(VALU_DEP_2)
	v_cndmask_b32_e32 v108, v108, v38, vcc_lo
	v_cmp_eq_u32_e32 vcc_lo, 5, v0
	;; [unrolled: 5-line block ×9, first 2 shown]
	v_cndmask_b32_e32 v108, v108, v53, vcc_lo
	v_cmp_eq_u32_e32 vcc_lo, 20, v0
	s_delay_alu instid0(VALU_DEP_2) | instskip(SKIP_1) | instid1(VALU_DEP_1)
	v_cndmask_b32_e32 v108, v108, v54, vcc_lo
	s_wait_dscnt 0x0
	v_mul_f32_e32 v112, v108, v109
	s_cbranch_execz .LBB84_293
	s_branch .LBB84_294
.LBB84_292:
                                        ; implicit-def: $vgpr112
.LBB84_293:
	ds_load_b32 v112, v111
.LBB84_294:
	s_and_saveexec_b32 s4, s1
	s_cbranch_execz .LBB84_304
; %bb.295:
	v_dual_add_nc_u32 v108, -2, v0 :: v_dual_add_nc_u32 v109, -1, v0
	s_delay_alu instid0(VALU_DEP_1)
	v_cmp_lt_u32_e32 vcc_lo, 6, v108
	v_mov_b32_e32 v108, 1
	s_and_saveexec_b32 s5, vcc_lo
	s_cbranch_execz .LBB84_299
; %bb.296:
	v_and_b32_e32 v108, -8, v109
	s_mov_b32 s6, 0
	s_mov_b64 s[0:1], 8
	s_movk_i32 s7, 0x64
	s_delay_alu instid0(VALU_DEP_1)
	v_sub_nc_u32_e32 v110, 0, v108
.LBB84_297:                             ; =>This Inner Loop Header: Depth=1
	s_add_co_i32 m0, s0, -7
	v_movrels_b32_e32 v113, v34
	v_mov_b32_e32 v108, s7
	s_add_co_i32 m0, s0, -6
	s_add_co_i32 s7, s7, 32
	v_movrels_b32_e32 v122, v34
	ds_load_2addr_b32 v[114:115], v108 offset1:1
	ds_load_2addr_b32 v[116:117], v108 offset0:2 offset1:3
	s_add_co_i32 m0, s0, -5
	s_wait_dscnt 0x1
	v_fmac_f32_e32 v112, v113, v114
	ds_load_2addr_b32 v[118:119], v108 offset0:4 offset1:5
	ds_load_2addr_b32 v[120:121], v108 offset0:6 offset1:7
	v_movrels_b32_e32 v108, v34
	s_add_co_i32 m0, s0, -4
	v_fmac_f32_e32 v112, v122, v115
	v_movrels_b32_e32 v113, v34
	s_add_co_i32 m0, s0, -3
	s_wait_dscnt 0x2
	s_delay_alu instid0(VALU_DEP_2) | instskip(SKIP_2) | instid1(VALU_DEP_2)
	v_fmac_f32_e32 v112, v108, v116
	v_movrels_b32_e32 v108, v34
	s_add_co_i32 m0, s0, -2
	v_fmac_f32_e32 v112, v113, v117
	v_movrels_b32_e32 v113, v34
	s_add_co_i32 m0, s0, -1
	s_wait_dscnt 0x1
	s_delay_alu instid0(VALU_DEP_2)
	v_fmac_f32_e32 v112, v108, v118
	v_movrels_b32_e32 v108, v34
	s_mov_b32 m0, s0
	s_add_nc_u64 s[0:1], s[0:1], 8
	v_movrels_b32_e32 v114, v34
	v_dual_fmac_f32 v112, v113, v119 :: v_dual_add_nc_u32 v113, s0, v110
	s_add_co_i32 s8, s0, -7
	s_wait_dscnt 0x0
	s_delay_alu instid0(VALU_DEP_1) | instskip(NEXT) | instid1(VALU_DEP_2)
	v_fmac_f32_e32 v112, v108, v120
	v_cmp_eq_u32_e32 vcc_lo, 8, v113
	s_delay_alu instid0(VALU_DEP_2) | instskip(SKIP_1) | instid1(SALU_CYCLE_1)
	v_dual_mov_b32 v108, s8 :: v_dual_fmac_f32 v112, v114, v121
	s_or_b32 s6, vcc_lo, s6
	s_and_not1_b32 exec_lo, exec_lo, s6
	s_cbranch_execnz .LBB84_297
; %bb.298:
	s_or_b32 exec_lo, exec_lo, s6
.LBB84_299:
	s_delay_alu instid0(SALU_CYCLE_1) | instskip(SKIP_3) | instid1(VALU_DEP_1)
	s_or_b32 exec_lo, exec_lo, s5
	v_and_b32_e32 v55, 7, v109
	s_mov_b32 s1, 0
	s_mov_b32 s0, exec_lo
	v_cmpx_ne_u32_e32 0, v55
	s_cbranch_execz .LBB84_303
; %bb.300:
	v_lshl_add_u32 v56, v108, 2, 0x60
	v_mov_b32_e32 v109, 0
.LBB84_301:                             ; =>This Inner Loop Header: Depth=1
	v_cmp_eq_u32_e32 vcc_lo, 1, v108
	ds_load_b32 v58, v56
	v_dual_add_nc_u32 v56, 4, v56 :: v_dual_add_nc_u32 v55, -1, v55
	v_cndmask_b32_e32 v57, v34, v35, vcc_lo
	v_cmp_eq_u32_e32 vcc_lo, 2, v108
	s_delay_alu instid0(VALU_DEP_2) | instskip(SKIP_1) | instid1(VALU_DEP_2)
	v_cndmask_b32_e32 v57, v57, v36, vcc_lo
	v_cmp_eq_u32_e32 vcc_lo, 3, v108
	v_cndmask_b32_e32 v57, v57, v37, vcc_lo
	v_cmp_eq_u32_e32 vcc_lo, 4, v108
	s_delay_alu instid0(VALU_DEP_2) | instskip(SKIP_1) | instid1(VALU_DEP_2)
	v_cndmask_b32_e32 v57, v57, v38, vcc_lo
	v_cmp_eq_u32_e32 vcc_lo, 5, v108
	;; [unrolled: 5-line block ×9, first 2 shown]
	v_cndmask_b32_e32 v57, v57, v53, vcc_lo
	v_cmp_eq_u32_e32 vcc_lo, 20, v108
	v_add_nc_u64_e32 v[108:109], 1, v[108:109]
	s_delay_alu instid0(VALU_DEP_3) | instskip(SKIP_2) | instid1(VALU_DEP_2)
	v_cndmask_b32_e32 v57, v57, v54, vcc_lo
	v_cmp_eq_u32_e32 vcc_lo, 0, v55
	s_wait_dscnt 0x0
	v_fmac_f32_e32 v112, v57, v58
	s_or_b32 s1, vcc_lo, s1
	s_delay_alu instid0(SALU_CYCLE_1)
	s_and_not1_b32 exec_lo, exec_lo, s1
	s_cbranch_execnz .LBB84_301
; %bb.302:
	s_or_b32 exec_lo, exec_lo, s1
.LBB84_303:
	s_delay_alu instid0(SALU_CYCLE_1)
	s_or_b32 exec_lo, exec_lo, s0
.LBB84_304:
	s_delay_alu instid0(SALU_CYCLE_1)
	s_or_b32 exec_lo, exec_lo, s4
	v_mov_b32_e32 v34, 0
	ds_load_b32 v34, v34
	s_wait_dscnt 0x0
	v_mul_f32_e32 v34, v112, v34
.LBB84_305:
	s_or_b32 exec_lo, exec_lo, s3
	s_delay_alu instid0(SALU_CYCLE_1)
	s_and_b32 vcc_lo, exec_lo, s2
	s_cbranch_vccz .LBB84_509
.LBB84_306:
	v_cmp_eq_u32_e64 s0, 0, v0
	s_wait_loadcnt_dscnt 0x1415
	ds_store_b32 v111, v3
	s_wait_loadcnt_dscnt 0x0
	s_barrier_signal -1
	s_barrier_wait -1
	s_and_saveexec_b32 s1, s0
	s_cbranch_execz .LBB84_312
; %bb.307:
	s_and_b32 vcc_lo, exec_lo, s21
	s_cbranch_vccz .LBB84_309
; %bb.308:
	v_cmp_eq_u32_e32 vcc_lo, 1, v0
	ds_load_b32 v23, v111
	v_cndmask_b32_e32 v3, v2, v3, vcc_lo
	v_cmp_eq_u32_e32 vcc_lo, 2, v0
	s_delay_alu instid0(VALU_DEP_2) | instskip(SKIP_1) | instid1(VALU_DEP_2)
	v_cndmask_b32_e32 v3, v3, v4, vcc_lo
	v_cmp_eq_u32_e32 vcc_lo, 3, v0
	v_cndmask_b32_e32 v3, v3, v5, vcc_lo
	v_cmp_eq_u32_e32 vcc_lo, 4, v0
	s_delay_alu instid0(VALU_DEP_2) | instskip(SKIP_1) | instid1(VALU_DEP_2)
	v_cndmask_b32_e32 v3, v3, v6, vcc_lo
	v_cmp_eq_u32_e32 vcc_lo, 5, v0
	;; [unrolled: 5-line block ×9, first 2 shown]
	v_cndmask_b32_e32 v3, v3, v21, vcc_lo
	v_cmp_eq_u32_e32 vcc_lo, 20, v0
	s_delay_alu instid0(VALU_DEP_2) | instskip(SKIP_1) | instid1(VALU_DEP_1)
	v_cndmask_b32_e32 v3, v3, v22, vcc_lo
	s_wait_dscnt 0x0
	v_mul_f32_e32 v3, v3, v23
	s_cbranch_execz .LBB84_310
	s_branch .LBB84_311
.LBB84_309:
                                        ; implicit-def: $vgpr3
.LBB84_310:
	ds_load_b32 v3, v111
.LBB84_311:
	v_mov_b32_e32 v23, 0
	ds_load_b32 v23, v23 offset:4
	s_wait_dscnt 0x0
	v_mul_f32_e32 v3, v3, v23
.LBB84_312:
	s_or_b32 exec_lo, exec_lo, s1
	v_cndmask_b32_e64 v34, 0, 1, s21
	s_mov_b32 s1, exec_lo
	ds_store_b32 v111, v4
	s_wait_dscnt 0x0
	s_barrier_signal -1
	s_barrier_wait -1
	v_cmpx_gt_u32_e32 2, v0
	s_cbranch_execz .LBB84_318
; %bb.313:
	s_and_not1_b32 vcc_lo, exec_lo, s21
	s_cbranch_vccnz .LBB84_315
; %bb.314:
	v_cmp_eq_u32_e32 vcc_lo, 1, v0
	v_cndmask_b32_e32 v23, v2, v3, vcc_lo
	v_cmp_eq_u32_e32 vcc_lo, 2, v0
	s_delay_alu instid0(VALU_DEP_2) | instskip(SKIP_4) | instid1(VALU_DEP_2)
	v_cndmask_b32_e32 v4, v23, v4, vcc_lo
	v_cmp_eq_u32_e32 vcc_lo, 3, v0
	ds_load_b32 v23, v111
	v_cndmask_b32_e32 v4, v4, v5, vcc_lo
	v_cmp_eq_u32_e32 vcc_lo, 4, v0
	v_cndmask_b32_e32 v4, v4, v6, vcc_lo
	v_cmp_eq_u32_e32 vcc_lo, 5, v0
	s_delay_alu instid0(VALU_DEP_2) | instskip(SKIP_1) | instid1(VALU_DEP_2)
	v_cndmask_b32_e32 v4, v4, v7, vcc_lo
	v_cmp_eq_u32_e32 vcc_lo, 6, v0
	v_cndmask_b32_e32 v4, v4, v8, vcc_lo
	v_cmp_eq_u32_e32 vcc_lo, 7, v0
	s_delay_alu instid0(VALU_DEP_2) | instskip(SKIP_1) | instid1(VALU_DEP_2)
	;; [unrolled: 5-line block ×8, first 2 shown]
	v_cndmask_b32_e32 v4, v4, v21, vcc_lo
	v_cmp_eq_u32_e32 vcc_lo, 20, v0
	v_cndmask_b32_e32 v4, v4, v22, vcc_lo
	s_wait_dscnt 0x0
	s_delay_alu instid0(VALU_DEP_1)
	v_mul_f32_e32 v4, v4, v23
	s_cbranch_execz .LBB84_316
	s_branch .LBB84_317
.LBB84_315:
                                        ; implicit-def: $vgpr4
.LBB84_316:
	ds_load_b32 v4, v111
.LBB84_317:
	v_mov_b32_e32 v23, 0
	ds_load_2addr_b32 v[24:25], v23 offset0:2 offset1:25
	s_wait_dscnt 0x0
	v_fma_f32 v23, v3, v25, v4
	s_delay_alu instid0(VALU_DEP_1) | instskip(NEXT) | instid1(VALU_DEP_1)
	v_cndmask_b32_e64 v4, v4, v23, s0
	v_mul_f32_e32 v4, v4, v24
.LBB84_318:
	s_or_b32 exec_lo, exec_lo, s1
	v_add_nc_u32_e32 v35, 1, v0
	v_cmp_gt_u32_e64 s1, 3, v0
	ds_store_b32 v111, v5
	s_wait_dscnt 0x0
	s_barrier_signal -1
	s_barrier_wait -1
	s_and_saveexec_b32 s2, s1
	s_cbranch_execz .LBB84_326
; %bb.319:
	v_cmp_ne_u32_e32 vcc_lo, 1, v34
	s_cbranch_vccnz .LBB84_321
; %bb.320:
	v_cmp_eq_u32_e32 vcc_lo, 1, v0
	ds_load_b32 v24, v111
	v_cndmask_b32_e32 v23, v2, v3, vcc_lo
	v_cmp_eq_u32_e32 vcc_lo, 2, v0
	s_delay_alu instid0(VALU_DEP_2) | instskip(SKIP_1) | instid1(VALU_DEP_2)
	v_cndmask_b32_e32 v23, v23, v4, vcc_lo
	v_cmp_eq_u32_e32 vcc_lo, 3, v0
	v_cndmask_b32_e32 v23, v23, v5, vcc_lo
	v_cmp_eq_u32_e32 vcc_lo, 4, v0
	s_delay_alu instid0(VALU_DEP_2) | instskip(SKIP_1) | instid1(VALU_DEP_2)
	v_cndmask_b32_e32 v23, v23, v6, vcc_lo
	v_cmp_eq_u32_e32 vcc_lo, 5, v0
	;; [unrolled: 5-line block ×9, first 2 shown]
	v_cndmask_b32_e32 v23, v23, v21, vcc_lo
	v_cmp_eq_u32_e32 vcc_lo, 20, v0
	s_delay_alu instid0(VALU_DEP_2) | instskip(SKIP_1) | instid1(VALU_DEP_1)
	v_cndmask_b32_e32 v23, v23, v22, vcc_lo
	s_wait_dscnt 0x0
	v_mul_f32_e32 v23, v23, v24
	s_cbranch_execz .LBB84_322
	s_branch .LBB84_323
.LBB84_321:
                                        ; implicit-def: $vgpr23
.LBB84_322:
	ds_load_b32 v23, v111
.LBB84_323:
	s_mov_b32 s3, exec_lo
	v_cmpx_ne_u32_e32 2, v0
	s_cbranch_execz .LBB84_325
; %bb.324:
	v_cmp_eq_u32_e32 vcc_lo, 1, v35
	v_dual_mov_b32 v25, 0 :: v_dual_cndmask_b32 v24, v2, v3
	v_cmp_eq_u32_e32 vcc_lo, 2, v35
	ds_load_b32 v25, v25 offset:104
	v_cndmask_b32_e32 v24, v24, v4, vcc_lo
	v_cmp_eq_u32_e32 vcc_lo, 3, v35
	s_delay_alu instid0(VALU_DEP_2) | instskip(SKIP_4) | instid1(VALU_DEP_2)
	v_cndmask_b32_e32 v5, v24, v5, vcc_lo
	v_cmp_eq_u32_e32 vcc_lo, 4, v35
	ds_load_b32 v24, v111 offset:4
	v_cndmask_b32_e32 v5, v5, v6, vcc_lo
	v_cmp_eq_u32_e32 vcc_lo, 5, v35
	v_cndmask_b32_e32 v5, v5, v7, vcc_lo
	v_cmp_eq_u32_e32 vcc_lo, 6, v35
	s_delay_alu instid0(VALU_DEP_2) | instskip(SKIP_1) | instid1(VALU_DEP_2)
	v_cndmask_b32_e32 v5, v5, v8, vcc_lo
	v_cmp_eq_u32_e32 vcc_lo, 7, v35
	v_cndmask_b32_e32 v5, v5, v9, vcc_lo
	v_cmp_eq_u32_e32 vcc_lo, 8, v35
	s_delay_alu instid0(VALU_DEP_2) | instskip(SKIP_1) | instid1(VALU_DEP_2)
	;; [unrolled: 5-line block ×7, first 2 shown]
	v_cndmask_b32_e32 v5, v5, v20, vcc_lo
	v_cmp_eq_u32_e32 vcc_lo, 19, v35
	v_cndmask_b32_e32 v5, v5, v21, vcc_lo
	v_cmp_eq_u32_e32 vcc_lo, 20, v35
	s_delay_alu instid0(VALU_DEP_2) | instskip(SKIP_1) | instid1(VALU_DEP_1)
	v_cndmask_b32_e32 v5, v5, v22, vcc_lo
	s_wait_dscnt 0x0
	v_fmac_f32_e32 v23, v5, v24
	s_delay_alu instid0(VALU_DEP_1) | instskip(NEXT) | instid1(VALU_DEP_1)
	v_fma_f32 v5, v4, v25, v23
	v_cndmask_b32_e64 v23, v23, v5, s0
.LBB84_325:
	s_or_b32 exec_lo, exec_lo, s3
	v_mov_b32_e32 v5, 0
	ds_load_b32 v5, v5 offset:12
	s_wait_dscnt 0x0
	v_mul_f32_e32 v5, v23, v5
.LBB84_326:
	s_or_b32 exec_lo, exec_lo, s2
	s_delay_alu instid0(SALU_CYCLE_1)
	s_mov_b32 s2, exec_lo
	ds_store_b32 v111, v6
	s_wait_dscnt 0x0
	s_barrier_signal -1
	s_barrier_wait -1
	v_cmpx_gt_u32_e32 4, v0
	s_cbranch_execz .LBB84_336
; %bb.327:
	v_cmp_ne_u32_e32 vcc_lo, 1, v34
	s_cbranch_vccnz .LBB84_329
; %bb.328:
	v_cmp_eq_u32_e32 vcc_lo, 1, v0
	ds_load_b32 v24, v111
	v_cndmask_b32_e32 v23, v2, v3, vcc_lo
	v_cmp_eq_u32_e32 vcc_lo, 2, v0
	s_delay_alu instid0(VALU_DEP_2) | instskip(SKIP_1) | instid1(VALU_DEP_2)
	v_cndmask_b32_e32 v23, v23, v4, vcc_lo
	v_cmp_eq_u32_e32 vcc_lo, 3, v0
	v_cndmask_b32_e32 v23, v23, v5, vcc_lo
	v_cmp_eq_u32_e32 vcc_lo, 4, v0
	s_delay_alu instid0(VALU_DEP_2) | instskip(SKIP_1) | instid1(VALU_DEP_2)
	v_cndmask_b32_e32 v23, v23, v6, vcc_lo
	v_cmp_eq_u32_e32 vcc_lo, 5, v0
	;; [unrolled: 5-line block ×9, first 2 shown]
	v_cndmask_b32_e32 v23, v23, v21, vcc_lo
	v_cmp_eq_u32_e32 vcc_lo, 20, v0
	s_delay_alu instid0(VALU_DEP_2) | instskip(SKIP_1) | instid1(VALU_DEP_1)
	v_cndmask_b32_e32 v23, v23, v22, vcc_lo
	s_wait_dscnt 0x0
	v_mul_f32_e32 v23, v23, v24
	s_cbranch_execz .LBB84_330
	s_branch .LBB84_331
.LBB84_329:
                                        ; implicit-def: $vgpr23
.LBB84_330:
	ds_load_b32 v23, v111
.LBB84_331:
	s_mov_b32 s3, exec_lo
	v_cmpx_ne_u32_e32 3, v0
	s_cbranch_execz .LBB84_335
; %bb.332:
	v_mov_b64_e32 v[24:25], v[0:1]
	v_lshl_add_u32 v26, v0, 2, 0x64
	s_mov_b32 s4, 0
.LBB84_333:                             ; =>This Inner Loop Header: Depth=1
	s_delay_alu instid0(VALU_DEP_2)
	v_add_nc_u64_e32 v[24:25], 1, v[24:25]
	ds_load_b32 v28, v26
	v_add_nc_u32_e32 v26, 4, v26
	v_cmp_eq_u32_e32 vcc_lo, 1, v24
	v_cndmask_b32_e32 v27, v2, v3, vcc_lo
	v_cmp_eq_u32_e32 vcc_lo, 2, v24
	s_delay_alu instid0(VALU_DEP_2) | instskip(SKIP_1) | instid1(VALU_DEP_2)
	v_cndmask_b32_e32 v27, v27, v4, vcc_lo
	v_cmp_eq_u32_e32 vcc_lo, 3, v24
	v_cndmask_b32_e32 v27, v27, v5, vcc_lo
	v_cmp_eq_u32_e32 vcc_lo, 4, v24
	s_delay_alu instid0(VALU_DEP_2) | instskip(SKIP_1) | instid1(VALU_DEP_2)
	v_cndmask_b32_e32 v27, v27, v6, vcc_lo
	;; [unrolled: 5-line block ×9, first 2 shown]
	v_cmp_eq_u32_e32 vcc_lo, 19, v24
	v_cndmask_b32_e32 v27, v27, v21, vcc_lo
	v_cmp_eq_u32_e32 vcc_lo, 20, v24
	s_delay_alu instid0(VALU_DEP_2) | instskip(SKIP_2) | instid1(VALU_DEP_2)
	v_cndmask_b32_e32 v27, v27, v22, vcc_lo
	v_cmp_lt_u32_e32 vcc_lo, 2, v24
	s_wait_dscnt 0x0
	v_fmac_f32_e32 v23, v27, v28
	s_or_b32 s4, vcc_lo, s4
	s_delay_alu instid0(SALU_CYCLE_1)
	s_and_not1_b32 exec_lo, exec_lo, s4
	s_cbranch_execnz .LBB84_333
; %bb.334:
	s_or_b32 exec_lo, exec_lo, s4
.LBB84_335:
	s_delay_alu instid0(SALU_CYCLE_1)
	s_or_b32 exec_lo, exec_lo, s3
	v_mov_b32_e32 v6, 0
	ds_load_b32 v6, v6 offset:16
	s_wait_dscnt 0x0
	v_mul_f32_e32 v6, v23, v6
.LBB84_336:
	s_or_b32 exec_lo, exec_lo, s2
	v_cmp_gt_u32_e64 s2, 5, v0
	ds_store_b32 v111, v7
	s_wait_dscnt 0x0
	s_barrier_signal -1
	s_barrier_wait -1
	s_and_saveexec_b32 s3, s2
	s_cbranch_execz .LBB84_346
; %bb.337:
	v_cmp_ne_u32_e32 vcc_lo, 1, v34
	s_cbranch_vccnz .LBB84_339
; %bb.338:
	v_cmp_eq_u32_e32 vcc_lo, 1, v0
	ds_load_b32 v24, v111
	v_cndmask_b32_e32 v23, v2, v3, vcc_lo
	v_cmp_eq_u32_e32 vcc_lo, 2, v0
	s_delay_alu instid0(VALU_DEP_2) | instskip(SKIP_1) | instid1(VALU_DEP_2)
	v_cndmask_b32_e32 v23, v23, v4, vcc_lo
	v_cmp_eq_u32_e32 vcc_lo, 3, v0
	v_cndmask_b32_e32 v23, v23, v5, vcc_lo
	v_cmp_eq_u32_e32 vcc_lo, 4, v0
	s_delay_alu instid0(VALU_DEP_2) | instskip(SKIP_1) | instid1(VALU_DEP_2)
	v_cndmask_b32_e32 v23, v23, v6, vcc_lo
	v_cmp_eq_u32_e32 vcc_lo, 5, v0
	;; [unrolled: 5-line block ×9, first 2 shown]
	v_cndmask_b32_e32 v23, v23, v21, vcc_lo
	v_cmp_eq_u32_e32 vcc_lo, 20, v0
	s_delay_alu instid0(VALU_DEP_2) | instskip(SKIP_1) | instid1(VALU_DEP_1)
	v_cndmask_b32_e32 v23, v23, v22, vcc_lo
	s_wait_dscnt 0x0
	v_mul_f32_e32 v23, v23, v24
	s_cbranch_execz .LBB84_340
	s_branch .LBB84_341
.LBB84_339:
                                        ; implicit-def: $vgpr23
.LBB84_340:
	ds_load_b32 v23, v111
.LBB84_341:
	s_mov_b32 s4, exec_lo
	v_cmpx_ne_u32_e32 4, v0
	s_cbranch_execz .LBB84_345
; %bb.342:
	v_mov_b64_e32 v[24:25], v[0:1]
	v_lshl_add_u32 v26, v0, 2, 0x64
	s_mov_b32 s5, 0
.LBB84_343:                             ; =>This Inner Loop Header: Depth=1
	s_delay_alu instid0(VALU_DEP_2)
	v_add_nc_u64_e32 v[24:25], 1, v[24:25]
	ds_load_b32 v28, v26
	v_add_nc_u32_e32 v26, 4, v26
	v_cmp_eq_u32_e32 vcc_lo, 1, v24
	v_cndmask_b32_e32 v27, v2, v3, vcc_lo
	v_cmp_eq_u32_e32 vcc_lo, 2, v24
	s_delay_alu instid0(VALU_DEP_2) | instskip(SKIP_1) | instid1(VALU_DEP_2)
	v_cndmask_b32_e32 v27, v27, v4, vcc_lo
	v_cmp_eq_u32_e32 vcc_lo, 3, v24
	v_cndmask_b32_e32 v27, v27, v5, vcc_lo
	v_cmp_eq_u32_e32 vcc_lo, 4, v24
	s_delay_alu instid0(VALU_DEP_2) | instskip(SKIP_1) | instid1(VALU_DEP_2)
	v_cndmask_b32_e32 v27, v27, v6, vcc_lo
	;; [unrolled: 5-line block ×9, first 2 shown]
	v_cmp_eq_u32_e32 vcc_lo, 19, v24
	v_cndmask_b32_e32 v27, v27, v21, vcc_lo
	v_cmp_eq_u32_e32 vcc_lo, 20, v24
	s_delay_alu instid0(VALU_DEP_2) | instskip(SKIP_2) | instid1(VALU_DEP_2)
	v_cndmask_b32_e32 v27, v27, v22, vcc_lo
	v_cmp_lt_u32_e32 vcc_lo, 3, v24
	s_wait_dscnt 0x0
	v_fmac_f32_e32 v23, v27, v28
	s_or_b32 s5, vcc_lo, s5
	s_delay_alu instid0(SALU_CYCLE_1)
	s_and_not1_b32 exec_lo, exec_lo, s5
	s_cbranch_execnz .LBB84_343
; %bb.344:
	s_or_b32 exec_lo, exec_lo, s5
.LBB84_345:
	s_delay_alu instid0(SALU_CYCLE_1)
	s_or_b32 exec_lo, exec_lo, s4
	v_mov_b32_e32 v7, 0
	ds_load_b32 v7, v7 offset:20
	s_wait_dscnt 0x0
	v_mul_f32_e32 v7, v23, v7
.LBB84_346:
	s_or_b32 exec_lo, exec_lo, s3
	s_delay_alu instid0(SALU_CYCLE_1)
	s_mov_b32 s3, exec_lo
	ds_store_b32 v111, v8
	s_wait_dscnt 0x0
	s_barrier_signal -1
	s_barrier_wait -1
	v_cmpx_gt_u32_e32 6, v0
	s_cbranch_execz .LBB84_356
; %bb.347:
	v_cmp_ne_u32_e32 vcc_lo, 1, v34
	s_cbranch_vccnz .LBB84_349
; %bb.348:
	v_cmp_eq_u32_e32 vcc_lo, 1, v0
	ds_load_b32 v24, v111
	v_cndmask_b32_e32 v23, v2, v3, vcc_lo
	v_cmp_eq_u32_e32 vcc_lo, 2, v0
	s_delay_alu instid0(VALU_DEP_2) | instskip(SKIP_1) | instid1(VALU_DEP_2)
	v_cndmask_b32_e32 v23, v23, v4, vcc_lo
	v_cmp_eq_u32_e32 vcc_lo, 3, v0
	v_cndmask_b32_e32 v23, v23, v5, vcc_lo
	v_cmp_eq_u32_e32 vcc_lo, 4, v0
	s_delay_alu instid0(VALU_DEP_2) | instskip(SKIP_1) | instid1(VALU_DEP_2)
	v_cndmask_b32_e32 v23, v23, v6, vcc_lo
	v_cmp_eq_u32_e32 vcc_lo, 5, v0
	;; [unrolled: 5-line block ×9, first 2 shown]
	v_cndmask_b32_e32 v23, v23, v21, vcc_lo
	v_cmp_eq_u32_e32 vcc_lo, 20, v0
	s_delay_alu instid0(VALU_DEP_2) | instskip(SKIP_1) | instid1(VALU_DEP_1)
	v_cndmask_b32_e32 v23, v23, v22, vcc_lo
	s_wait_dscnt 0x0
	v_mul_f32_e32 v23, v23, v24
	s_cbranch_execz .LBB84_350
	s_branch .LBB84_351
.LBB84_349:
                                        ; implicit-def: $vgpr23
.LBB84_350:
	ds_load_b32 v23, v111
.LBB84_351:
	s_mov_b32 s4, exec_lo
	v_cmpx_ne_u32_e32 5, v0
	s_cbranch_execz .LBB84_355
; %bb.352:
	v_mov_b64_e32 v[24:25], v[0:1]
	v_lshl_add_u32 v26, v0, 2, 0x64
	s_mov_b32 s5, 0
.LBB84_353:                             ; =>This Inner Loop Header: Depth=1
	s_delay_alu instid0(VALU_DEP_2)
	v_add_nc_u64_e32 v[24:25], 1, v[24:25]
	ds_load_b32 v28, v26
	v_add_nc_u32_e32 v26, 4, v26
	v_cmp_eq_u32_e32 vcc_lo, 1, v24
	v_cndmask_b32_e32 v27, v2, v3, vcc_lo
	v_cmp_eq_u32_e32 vcc_lo, 2, v24
	s_delay_alu instid0(VALU_DEP_2) | instskip(SKIP_1) | instid1(VALU_DEP_2)
	v_cndmask_b32_e32 v27, v27, v4, vcc_lo
	v_cmp_eq_u32_e32 vcc_lo, 3, v24
	v_cndmask_b32_e32 v27, v27, v5, vcc_lo
	v_cmp_eq_u32_e32 vcc_lo, 4, v24
	s_delay_alu instid0(VALU_DEP_2) | instskip(SKIP_1) | instid1(VALU_DEP_2)
	v_cndmask_b32_e32 v27, v27, v6, vcc_lo
	;; [unrolled: 5-line block ×9, first 2 shown]
	v_cmp_eq_u32_e32 vcc_lo, 19, v24
	v_cndmask_b32_e32 v27, v27, v21, vcc_lo
	v_cmp_eq_u32_e32 vcc_lo, 20, v24
	s_delay_alu instid0(VALU_DEP_2) | instskip(SKIP_2) | instid1(VALU_DEP_2)
	v_cndmask_b32_e32 v27, v27, v22, vcc_lo
	v_cmp_lt_u32_e32 vcc_lo, 4, v24
	s_wait_dscnt 0x0
	v_fmac_f32_e32 v23, v27, v28
	s_or_b32 s5, vcc_lo, s5
	s_delay_alu instid0(SALU_CYCLE_1)
	s_and_not1_b32 exec_lo, exec_lo, s5
	s_cbranch_execnz .LBB84_353
; %bb.354:
	s_or_b32 exec_lo, exec_lo, s5
.LBB84_355:
	s_delay_alu instid0(SALU_CYCLE_1)
	s_or_b32 exec_lo, exec_lo, s4
	v_mov_b32_e32 v8, 0
	ds_load_b32 v8, v8 offset:24
	s_wait_dscnt 0x0
	v_mul_f32_e32 v8, v23, v8
.LBB84_356:
	s_or_b32 exec_lo, exec_lo, s3
	v_cmp_gt_u32_e64 s3, 7, v0
	ds_store_b32 v111, v9
	s_wait_dscnt 0x0
	s_barrier_signal -1
	s_barrier_wait -1
	s_and_saveexec_b32 s4, s3
	s_cbranch_execz .LBB84_366
; %bb.357:
	v_cmp_ne_u32_e32 vcc_lo, 1, v34
	s_cbranch_vccnz .LBB84_359
; %bb.358:
	v_cmp_eq_u32_e32 vcc_lo, 1, v0
	ds_load_b32 v24, v111
	v_cndmask_b32_e32 v23, v2, v3, vcc_lo
	v_cmp_eq_u32_e32 vcc_lo, 2, v0
	s_delay_alu instid0(VALU_DEP_2) | instskip(SKIP_1) | instid1(VALU_DEP_2)
	v_cndmask_b32_e32 v23, v23, v4, vcc_lo
	v_cmp_eq_u32_e32 vcc_lo, 3, v0
	v_cndmask_b32_e32 v23, v23, v5, vcc_lo
	v_cmp_eq_u32_e32 vcc_lo, 4, v0
	s_delay_alu instid0(VALU_DEP_2) | instskip(SKIP_1) | instid1(VALU_DEP_2)
	v_cndmask_b32_e32 v23, v23, v6, vcc_lo
	v_cmp_eq_u32_e32 vcc_lo, 5, v0
	;; [unrolled: 5-line block ×9, first 2 shown]
	v_cndmask_b32_e32 v23, v23, v21, vcc_lo
	v_cmp_eq_u32_e32 vcc_lo, 20, v0
	s_delay_alu instid0(VALU_DEP_2) | instskip(SKIP_1) | instid1(VALU_DEP_1)
	v_cndmask_b32_e32 v23, v23, v22, vcc_lo
	s_wait_dscnt 0x0
	v_mul_f32_e32 v23, v23, v24
	s_cbranch_execz .LBB84_360
	s_branch .LBB84_361
.LBB84_359:
                                        ; implicit-def: $vgpr23
.LBB84_360:
	ds_load_b32 v23, v111
.LBB84_361:
	s_mov_b32 s5, exec_lo
	v_cmpx_ne_u32_e32 6, v0
	s_cbranch_execz .LBB84_365
; %bb.362:
	v_mov_b64_e32 v[24:25], v[0:1]
	v_lshl_add_u32 v26, v0, 2, 0x64
	s_mov_b32 s6, 0
.LBB84_363:                             ; =>This Inner Loop Header: Depth=1
	s_delay_alu instid0(VALU_DEP_2)
	v_add_nc_u64_e32 v[24:25], 1, v[24:25]
	ds_load_b32 v28, v26
	v_add_nc_u32_e32 v26, 4, v26
	v_cmp_eq_u32_e32 vcc_lo, 1, v24
	v_cndmask_b32_e32 v27, v2, v3, vcc_lo
	v_cmp_eq_u32_e32 vcc_lo, 2, v24
	s_delay_alu instid0(VALU_DEP_2) | instskip(SKIP_1) | instid1(VALU_DEP_2)
	v_cndmask_b32_e32 v27, v27, v4, vcc_lo
	v_cmp_eq_u32_e32 vcc_lo, 3, v24
	v_cndmask_b32_e32 v27, v27, v5, vcc_lo
	v_cmp_eq_u32_e32 vcc_lo, 4, v24
	s_delay_alu instid0(VALU_DEP_2) | instskip(SKIP_1) | instid1(VALU_DEP_2)
	v_cndmask_b32_e32 v27, v27, v6, vcc_lo
	v_cmp_eq_u32_e32 vcc_lo, 5, v24
	v_cndmask_b32_e32 v27, v27, v7, vcc_lo
	v_cmp_eq_u32_e32 vcc_lo, 6, v24
	s_delay_alu instid0(VALU_DEP_2) | instskip(SKIP_1) | instid1(VALU_DEP_2)
	v_cndmask_b32_e32 v27, v27, v8, vcc_lo
	v_cmp_eq_u32_e32 vcc_lo, 7, v24
	v_cndmask_b32_e32 v27, v27, v9, vcc_lo
	v_cmp_eq_u32_e32 vcc_lo, 8, v24
	s_delay_alu instid0(VALU_DEP_2) | instskip(SKIP_1) | instid1(VALU_DEP_2)
	v_cndmask_b32_e32 v27, v27, v10, vcc_lo
	v_cmp_eq_u32_e32 vcc_lo, 9, v24
	v_cndmask_b32_e32 v27, v27, v11, vcc_lo
	v_cmp_eq_u32_e32 vcc_lo, 10, v24
	s_delay_alu instid0(VALU_DEP_2) | instskip(SKIP_1) | instid1(VALU_DEP_2)
	v_cndmask_b32_e32 v27, v27, v12, vcc_lo
	v_cmp_eq_u32_e32 vcc_lo, 11, v24
	v_cndmask_b32_e32 v27, v27, v13, vcc_lo
	v_cmp_eq_u32_e32 vcc_lo, 12, v24
	s_delay_alu instid0(VALU_DEP_2) | instskip(SKIP_1) | instid1(VALU_DEP_2)
	v_cndmask_b32_e32 v27, v27, v14, vcc_lo
	v_cmp_eq_u32_e32 vcc_lo, 13, v24
	v_cndmask_b32_e32 v27, v27, v15, vcc_lo
	v_cmp_eq_u32_e32 vcc_lo, 14, v24
	s_delay_alu instid0(VALU_DEP_2) | instskip(SKIP_1) | instid1(VALU_DEP_2)
	v_cndmask_b32_e32 v27, v27, v16, vcc_lo
	v_cmp_eq_u32_e32 vcc_lo, 15, v24
	v_cndmask_b32_e32 v27, v27, v17, vcc_lo
	v_cmp_eq_u32_e32 vcc_lo, 16, v24
	s_delay_alu instid0(VALU_DEP_2) | instskip(SKIP_1) | instid1(VALU_DEP_2)
	v_cndmask_b32_e32 v27, v27, v18, vcc_lo
	v_cmp_eq_u32_e32 vcc_lo, 17, v24
	v_cndmask_b32_e32 v27, v27, v19, vcc_lo
	v_cmp_eq_u32_e32 vcc_lo, 18, v24
	s_delay_alu instid0(VALU_DEP_2) | instskip(SKIP_1) | instid1(VALU_DEP_2)
	v_cndmask_b32_e32 v27, v27, v20, vcc_lo
	v_cmp_eq_u32_e32 vcc_lo, 19, v24
	v_cndmask_b32_e32 v27, v27, v21, vcc_lo
	v_cmp_eq_u32_e32 vcc_lo, 20, v24
	s_delay_alu instid0(VALU_DEP_2) | instskip(SKIP_2) | instid1(VALU_DEP_2)
	v_cndmask_b32_e32 v27, v27, v22, vcc_lo
	v_cmp_lt_u32_e32 vcc_lo, 5, v24
	s_wait_dscnt 0x0
	v_fmac_f32_e32 v23, v27, v28
	s_or_b32 s6, vcc_lo, s6
	s_delay_alu instid0(SALU_CYCLE_1)
	s_and_not1_b32 exec_lo, exec_lo, s6
	s_cbranch_execnz .LBB84_363
; %bb.364:
	s_or_b32 exec_lo, exec_lo, s6
.LBB84_365:
	s_delay_alu instid0(SALU_CYCLE_1)
	s_or_b32 exec_lo, exec_lo, s5
	v_mov_b32_e32 v9, 0
	ds_load_b32 v9, v9 offset:28
	s_wait_dscnt 0x0
	v_mul_f32_e32 v9, v23, v9
.LBB84_366:
	s_or_b32 exec_lo, exec_lo, s4
	s_delay_alu instid0(SALU_CYCLE_1)
	s_mov_b32 s4, exec_lo
	ds_store_b32 v111, v10
	s_wait_dscnt 0x0
	s_barrier_signal -1
	s_barrier_wait -1
	v_cmpx_gt_u32_e32 8, v0
	s_cbranch_execz .LBB84_376
; %bb.367:
	v_cmp_ne_u32_e32 vcc_lo, 1, v34
	s_cbranch_vccnz .LBB84_369
; %bb.368:
	v_cmp_eq_u32_e32 vcc_lo, 1, v0
	ds_load_b32 v24, v111
	v_cndmask_b32_e32 v23, v2, v3, vcc_lo
	v_cmp_eq_u32_e32 vcc_lo, 2, v0
	s_delay_alu instid0(VALU_DEP_2) | instskip(SKIP_1) | instid1(VALU_DEP_2)
	v_cndmask_b32_e32 v23, v23, v4, vcc_lo
	v_cmp_eq_u32_e32 vcc_lo, 3, v0
	v_cndmask_b32_e32 v23, v23, v5, vcc_lo
	v_cmp_eq_u32_e32 vcc_lo, 4, v0
	s_delay_alu instid0(VALU_DEP_2) | instskip(SKIP_1) | instid1(VALU_DEP_2)
	v_cndmask_b32_e32 v23, v23, v6, vcc_lo
	v_cmp_eq_u32_e32 vcc_lo, 5, v0
	;; [unrolled: 5-line block ×9, first 2 shown]
	v_cndmask_b32_e32 v23, v23, v21, vcc_lo
	v_cmp_eq_u32_e32 vcc_lo, 20, v0
	s_delay_alu instid0(VALU_DEP_2) | instskip(SKIP_1) | instid1(VALU_DEP_1)
	v_cndmask_b32_e32 v23, v23, v22, vcc_lo
	s_wait_dscnt 0x0
	v_mul_f32_e32 v23, v23, v24
	s_cbranch_execz .LBB84_370
	s_branch .LBB84_371
.LBB84_369:
                                        ; implicit-def: $vgpr23
.LBB84_370:
	ds_load_b32 v23, v111
.LBB84_371:
	s_mov_b32 s5, exec_lo
	v_cmpx_ne_u32_e32 7, v0
	s_cbranch_execz .LBB84_375
; %bb.372:
	v_mov_b64_e32 v[24:25], v[0:1]
	v_lshl_add_u32 v26, v0, 2, 0x64
	s_mov_b32 s6, 0
.LBB84_373:                             ; =>This Inner Loop Header: Depth=1
	s_delay_alu instid0(VALU_DEP_2)
	v_add_nc_u64_e32 v[24:25], 1, v[24:25]
	ds_load_b32 v28, v26
	v_add_nc_u32_e32 v26, 4, v26
	v_cmp_eq_u32_e32 vcc_lo, 1, v24
	v_cndmask_b32_e32 v27, v2, v3, vcc_lo
	v_cmp_eq_u32_e32 vcc_lo, 2, v24
	s_delay_alu instid0(VALU_DEP_2) | instskip(SKIP_1) | instid1(VALU_DEP_2)
	v_cndmask_b32_e32 v27, v27, v4, vcc_lo
	v_cmp_eq_u32_e32 vcc_lo, 3, v24
	v_cndmask_b32_e32 v27, v27, v5, vcc_lo
	v_cmp_eq_u32_e32 vcc_lo, 4, v24
	s_delay_alu instid0(VALU_DEP_2) | instskip(SKIP_1) | instid1(VALU_DEP_2)
	v_cndmask_b32_e32 v27, v27, v6, vcc_lo
	;; [unrolled: 5-line block ×9, first 2 shown]
	v_cmp_eq_u32_e32 vcc_lo, 19, v24
	v_cndmask_b32_e32 v27, v27, v21, vcc_lo
	v_cmp_eq_u32_e32 vcc_lo, 20, v24
	s_delay_alu instid0(VALU_DEP_2) | instskip(SKIP_2) | instid1(VALU_DEP_2)
	v_cndmask_b32_e32 v27, v27, v22, vcc_lo
	v_cmp_lt_u32_e32 vcc_lo, 6, v24
	s_wait_dscnt 0x0
	v_fmac_f32_e32 v23, v27, v28
	s_or_b32 s6, vcc_lo, s6
	s_delay_alu instid0(SALU_CYCLE_1)
	s_and_not1_b32 exec_lo, exec_lo, s6
	s_cbranch_execnz .LBB84_373
; %bb.374:
	s_or_b32 exec_lo, exec_lo, s6
.LBB84_375:
	s_delay_alu instid0(SALU_CYCLE_1)
	s_or_b32 exec_lo, exec_lo, s5
	v_mov_b32_e32 v10, 0
	ds_load_b32 v10, v10 offset:32
	s_wait_dscnt 0x0
	v_mul_f32_e32 v10, v23, v10
.LBB84_376:
	s_or_b32 exec_lo, exec_lo, s4
	s_delay_alu instid0(SALU_CYCLE_1)
	s_mov_b32 s4, exec_lo
	ds_store_b32 v111, v11
	s_wait_dscnt 0x0
	s_barrier_signal -1
	s_barrier_wait -1
	v_cmpx_gt_u32_e32 9, v0
	s_cbranch_execz .LBB84_398
; %bb.377:
	v_cmp_ne_u32_e32 vcc_lo, 1, v34
	s_cbranch_vccnz .LBB84_379
; %bb.378:
	v_cmp_eq_u32_e32 vcc_lo, 1, v0
	ds_load_b32 v24, v111
	v_cndmask_b32_e32 v23, v2, v3, vcc_lo
	v_cmp_eq_u32_e32 vcc_lo, 2, v0
	s_delay_alu instid0(VALU_DEP_2) | instskip(SKIP_1) | instid1(VALU_DEP_2)
	v_cndmask_b32_e32 v23, v23, v4, vcc_lo
	v_cmp_eq_u32_e32 vcc_lo, 3, v0
	v_cndmask_b32_e32 v23, v23, v5, vcc_lo
	v_cmp_eq_u32_e32 vcc_lo, 4, v0
	s_delay_alu instid0(VALU_DEP_2) | instskip(SKIP_1) | instid1(VALU_DEP_2)
	v_cndmask_b32_e32 v23, v23, v6, vcc_lo
	v_cmp_eq_u32_e32 vcc_lo, 5, v0
	;; [unrolled: 5-line block ×9, first 2 shown]
	v_cndmask_b32_e32 v23, v23, v21, vcc_lo
	v_cmp_eq_u32_e32 vcc_lo, 20, v0
	s_delay_alu instid0(VALU_DEP_2) | instskip(SKIP_1) | instid1(VALU_DEP_1)
	v_cndmask_b32_e32 v23, v23, v22, vcc_lo
	s_wait_dscnt 0x0
	v_mul_f32_e32 v23, v23, v24
	s_cbranch_execz .LBB84_380
	s_branch .LBB84_381
.LBB84_379:
                                        ; implicit-def: $vgpr23
.LBB84_380:
	ds_load_b32 v23, v111
.LBB84_381:
	s_mov_b32 s5, exec_lo
	v_cmpx_ne_u32_e32 8, v0
	s_cbranch_execz .LBB84_397
; %bb.382:
	v_cmp_eq_u32_e32 vcc_lo, 1, v35
	ds_load_b32 v25, v111 offset:4
	v_cndmask_b32_e32 v24, v2, v3, vcc_lo
	v_cmp_eq_u32_e32 vcc_lo, 2, v35
	s_delay_alu instid0(VALU_DEP_2) | instskip(SKIP_1) | instid1(VALU_DEP_2)
	v_cndmask_b32_e32 v24, v24, v4, vcc_lo
	v_cmp_eq_u32_e32 vcc_lo, 3, v35
	v_cndmask_b32_e32 v24, v24, v5, vcc_lo
	v_cmp_eq_u32_e32 vcc_lo, 4, v35
	s_delay_alu instid0(VALU_DEP_2) | instskip(SKIP_1) | instid1(VALU_DEP_2)
	v_cndmask_b32_e32 v24, v24, v6, vcc_lo
	v_cmp_eq_u32_e32 vcc_lo, 5, v35
	v_cndmask_b32_e32 v24, v24, v7, vcc_lo
	v_cmp_eq_u32_e32 vcc_lo, 6, v35
	s_delay_alu instid0(VALU_DEP_2) | instskip(SKIP_1) | instid1(VALU_DEP_2)
	v_cndmask_b32_e32 v24, v24, v8, vcc_lo
	v_cmp_eq_u32_e32 vcc_lo, 7, v35
	v_cndmask_b32_e32 v24, v24, v9, vcc_lo
	v_cmp_eq_u32_e32 vcc_lo, 8, v35
	s_delay_alu instid0(VALU_DEP_2) | instskip(SKIP_1) | instid1(VALU_DEP_2)
	v_cndmask_b32_e32 v24, v24, v10, vcc_lo
	v_cmp_eq_u32_e32 vcc_lo, 9, v35
	v_cndmask_b32_e32 v24, v24, v11, vcc_lo
	v_cmp_eq_u32_e32 vcc_lo, 10, v35
	s_delay_alu instid0(VALU_DEP_2) | instskip(SKIP_1) | instid1(VALU_DEP_2)
	v_cndmask_b32_e32 v24, v24, v12, vcc_lo
	v_cmp_eq_u32_e32 vcc_lo, 11, v35
	v_cndmask_b32_e32 v24, v24, v13, vcc_lo
	v_cmp_eq_u32_e32 vcc_lo, 12, v35
	s_delay_alu instid0(VALU_DEP_2) | instskip(SKIP_1) | instid1(VALU_DEP_2)
	v_cndmask_b32_e32 v24, v24, v14, vcc_lo
	v_cmp_eq_u32_e32 vcc_lo, 13, v35
	v_cndmask_b32_e32 v24, v24, v15, vcc_lo
	v_cmp_eq_u32_e32 vcc_lo, 14, v35
	s_delay_alu instid0(VALU_DEP_2) | instskip(SKIP_1) | instid1(VALU_DEP_2)
	v_cndmask_b32_e32 v24, v24, v16, vcc_lo
	v_cmp_eq_u32_e32 vcc_lo, 15, v35
	v_cndmask_b32_e32 v24, v24, v17, vcc_lo
	v_cmp_eq_u32_e32 vcc_lo, 16, v35
	s_delay_alu instid0(VALU_DEP_2) | instskip(SKIP_1) | instid1(VALU_DEP_2)
	v_cndmask_b32_e32 v24, v24, v18, vcc_lo
	v_cmp_eq_u32_e32 vcc_lo, 17, v35
	v_cndmask_b32_e32 v24, v24, v19, vcc_lo
	v_cmp_eq_u32_e32 vcc_lo, 18, v35
	s_delay_alu instid0(VALU_DEP_2) | instskip(SKIP_1) | instid1(VALU_DEP_2)
	v_cndmask_b32_e32 v24, v24, v20, vcc_lo
	v_cmp_eq_u32_e32 vcc_lo, 19, v35
	v_cndmask_b32_e32 v24, v24, v21, vcc_lo
	v_cmp_eq_u32_e32 vcc_lo, 20, v35
	s_delay_alu instid0(VALU_DEP_2) | instskip(SKIP_1) | instid1(VALU_DEP_1)
	v_cndmask_b32_e32 v24, v24, v22, vcc_lo
	s_wait_dscnt 0x0
	v_fmac_f32_e32 v23, v24, v25
	s_and_saveexec_b32 s6, s3
	s_cbranch_execz .LBB84_396
; %bb.383:
	v_add_nc_u32_e32 v24, 2, v0
	ds_load_b32 v26, v111 offset:8
	s_mov_b32 s3, exec_lo
	v_cmp_eq_u32_e32 vcc_lo, 1, v24
	v_cndmask_b32_e32 v25, v2, v3, vcc_lo
	v_cmp_eq_u32_e32 vcc_lo, 2, v24
	s_delay_alu instid0(VALU_DEP_2) | instskip(SKIP_1) | instid1(VALU_DEP_2)
	v_cndmask_b32_e32 v25, v25, v4, vcc_lo
	v_cmp_eq_u32_e32 vcc_lo, 3, v24
	v_cndmask_b32_e32 v25, v25, v5, vcc_lo
	v_cmp_eq_u32_e32 vcc_lo, 4, v24
	s_delay_alu instid0(VALU_DEP_2) | instskip(SKIP_1) | instid1(VALU_DEP_2)
	v_cndmask_b32_e32 v25, v25, v6, vcc_lo
	;; [unrolled: 5-line block ×9, first 2 shown]
	v_cmp_eq_u32_e32 vcc_lo, 19, v24
	v_cndmask_b32_e32 v25, v25, v21, vcc_lo
	v_cmp_eq_u32_e32 vcc_lo, 20, v24
	s_delay_alu instid0(VALU_DEP_2) | instskip(SKIP_1) | instid1(VALU_DEP_1)
	v_cndmask_b32_e32 v24, v25, v22, vcc_lo
	s_wait_dscnt 0x0
	v_fmac_f32_e32 v23, v24, v26
	v_cmpx_ne_u32_e32 6, v0
	s_cbranch_execz .LBB84_395
; %bb.384:
	v_add_nc_u32_e32 v24, 3, v0
	ds_load_b32 v26, v111 offset:12
	v_cmp_eq_u32_e32 vcc_lo, 1, v24
	v_cndmask_b32_e32 v25, v2, v3, vcc_lo
	v_cmp_eq_u32_e32 vcc_lo, 2, v24
	s_delay_alu instid0(VALU_DEP_2) | instskip(SKIP_1) | instid1(VALU_DEP_2)
	v_cndmask_b32_e32 v25, v25, v4, vcc_lo
	v_cmp_eq_u32_e32 vcc_lo, 3, v24
	v_cndmask_b32_e32 v25, v25, v5, vcc_lo
	v_cmp_eq_u32_e32 vcc_lo, 4, v24
	s_delay_alu instid0(VALU_DEP_2) | instskip(SKIP_1) | instid1(VALU_DEP_2)
	v_cndmask_b32_e32 v25, v25, v6, vcc_lo
	;; [unrolled: 5-line block ×9, first 2 shown]
	v_cmp_eq_u32_e32 vcc_lo, 19, v24
	v_cndmask_b32_e32 v25, v25, v21, vcc_lo
	v_cmp_eq_u32_e32 vcc_lo, 20, v24
	s_delay_alu instid0(VALU_DEP_2) | instskip(SKIP_1) | instid1(VALU_DEP_1)
	v_cndmask_b32_e32 v24, v25, v22, vcc_lo
	s_wait_dscnt 0x0
	v_fmac_f32_e32 v23, v24, v26
	s_and_saveexec_b32 s7, s2
	s_cbranch_execz .LBB84_394
; %bb.385:
	v_add_nc_u32_e32 v24, 4, v0
	ds_load_b32 v26, v111 offset:16
	s_mov_b32 s2, exec_lo
	v_cmp_eq_u32_e32 vcc_lo, 1, v24
	v_cndmask_b32_e32 v25, v2, v3, vcc_lo
	v_cmp_eq_u32_e32 vcc_lo, 2, v24
	s_delay_alu instid0(VALU_DEP_2) | instskip(SKIP_1) | instid1(VALU_DEP_2)
	v_cndmask_b32_e32 v25, v25, v4, vcc_lo
	v_cmp_eq_u32_e32 vcc_lo, 3, v24
	v_cndmask_b32_e32 v25, v25, v5, vcc_lo
	v_cmp_eq_u32_e32 vcc_lo, 4, v24
	s_delay_alu instid0(VALU_DEP_2) | instskip(SKIP_1) | instid1(VALU_DEP_2)
	v_cndmask_b32_e32 v25, v25, v6, vcc_lo
	;; [unrolled: 5-line block ×9, first 2 shown]
	v_cmp_eq_u32_e32 vcc_lo, 19, v24
	v_cndmask_b32_e32 v25, v25, v21, vcc_lo
	v_cmp_eq_u32_e32 vcc_lo, 20, v24
	s_delay_alu instid0(VALU_DEP_2) | instskip(SKIP_1) | instid1(VALU_DEP_1)
	v_cndmask_b32_e32 v24, v25, v22, vcc_lo
	s_wait_dscnt 0x0
	v_fmac_f32_e32 v23, v24, v26
	v_cmpx_ne_u32_e32 4, v0
	s_cbranch_execz .LBB84_393
; %bb.386:
	v_add_nc_u32_e32 v24, 5, v0
	ds_load_b32 v26, v111 offset:20
	v_cmp_eq_u32_e32 vcc_lo, 1, v24
	v_cndmask_b32_e32 v25, v2, v3, vcc_lo
	v_cmp_eq_u32_e32 vcc_lo, 2, v24
	s_delay_alu instid0(VALU_DEP_2) | instskip(SKIP_1) | instid1(VALU_DEP_2)
	v_cndmask_b32_e32 v25, v25, v4, vcc_lo
	v_cmp_eq_u32_e32 vcc_lo, 3, v24
	v_cndmask_b32_e32 v25, v25, v5, vcc_lo
	v_cmp_eq_u32_e32 vcc_lo, 4, v24
	s_delay_alu instid0(VALU_DEP_2) | instskip(SKIP_1) | instid1(VALU_DEP_2)
	v_cndmask_b32_e32 v25, v25, v6, vcc_lo
	;; [unrolled: 5-line block ×9, first 2 shown]
	v_cmp_eq_u32_e32 vcc_lo, 19, v24
	v_cndmask_b32_e32 v25, v25, v21, vcc_lo
	v_cmp_eq_u32_e32 vcc_lo, 20, v24
	s_delay_alu instid0(VALU_DEP_2) | instskip(SKIP_1) | instid1(VALU_DEP_1)
	v_cndmask_b32_e32 v24, v25, v22, vcc_lo
	s_wait_dscnt 0x0
	v_fmac_f32_e32 v23, v24, v26
	s_and_saveexec_b32 s8, s1
	s_cbranch_execz .LBB84_392
; %bb.387:
	v_add_nc_u32_e32 v24, 6, v0
	ds_load_b32 v26, v111 offset:24
	s_mov_b32 s1, exec_lo
	v_cmp_eq_u32_e32 vcc_lo, 1, v24
	v_cndmask_b32_e32 v25, v2, v3, vcc_lo
	v_cmp_eq_u32_e32 vcc_lo, 2, v24
	s_delay_alu instid0(VALU_DEP_2) | instskip(SKIP_1) | instid1(VALU_DEP_2)
	v_cndmask_b32_e32 v25, v25, v4, vcc_lo
	v_cmp_eq_u32_e32 vcc_lo, 3, v24
	v_cndmask_b32_e32 v25, v25, v5, vcc_lo
	v_cmp_eq_u32_e32 vcc_lo, 4, v24
	s_delay_alu instid0(VALU_DEP_2) | instskip(SKIP_1) | instid1(VALU_DEP_2)
	v_cndmask_b32_e32 v25, v25, v6, vcc_lo
	;; [unrolled: 5-line block ×9, first 2 shown]
	v_cmp_eq_u32_e32 vcc_lo, 19, v24
	v_cndmask_b32_e32 v25, v25, v21, vcc_lo
	v_cmp_eq_u32_e32 vcc_lo, 20, v24
	s_delay_alu instid0(VALU_DEP_2) | instskip(SKIP_1) | instid1(VALU_DEP_1)
	v_cndmask_b32_e32 v24, v25, v22, vcc_lo
	s_wait_dscnt 0x0
	v_fmac_f32_e32 v23, v24, v26
	v_cmpx_ne_u32_e32 2, v0
	s_cbranch_execz .LBB84_391
; %bb.388:
	v_add_nc_u32_e32 v24, 7, v0
	s_delay_alu instid0(VALU_DEP_1) | instskip(SKIP_2) | instid1(VALU_DEP_2)
	v_cmp_eq_u32_e32 vcc_lo, 1, v24
	v_cndmask_b32_e32 v25, v2, v3, vcc_lo
	v_cmp_eq_u32_e32 vcc_lo, 2, v24
	v_cndmask_b32_e32 v25, v25, v4, vcc_lo
	v_cmp_eq_u32_e32 vcc_lo, 3, v24
	s_delay_alu instid0(VALU_DEP_2) | instskip(SKIP_1) | instid1(VALU_DEP_2)
	v_cndmask_b32_e32 v25, v25, v5, vcc_lo
	v_cmp_eq_u32_e32 vcc_lo, 4, v24
	v_cndmask_b32_e32 v25, v25, v6, vcc_lo
	v_cmp_eq_u32_e32 vcc_lo, 5, v24
	s_delay_alu instid0(VALU_DEP_2) | instskip(SKIP_1) | instid1(VALU_DEP_2)
	;; [unrolled: 5-line block ×3, first 2 shown]
	v_cndmask_b32_e32 v25, v25, v9, vcc_lo
	v_cmp_eq_u32_e32 vcc_lo, 8, v24
	v_cndmask_b32_e32 v25, v25, v10, vcc_lo
	v_cmp_eq_u32_e32 vcc_lo, 9, v24
	s_delay_alu instid0(VALU_DEP_2) | instskip(SKIP_4) | instid1(VALU_DEP_2)
	v_cndmask_b32_e32 v11, v25, v11, vcc_lo
	v_cmp_eq_u32_e32 vcc_lo, 10, v24
	ds_load_b32 v25, v111 offset:28
	v_cndmask_b32_e32 v11, v11, v12, vcc_lo
	v_cmp_eq_u32_e32 vcc_lo, 11, v24
	v_cndmask_b32_e32 v11, v11, v13, vcc_lo
	v_cmp_eq_u32_e32 vcc_lo, 12, v24
	s_delay_alu instid0(VALU_DEP_2) | instskip(SKIP_1) | instid1(VALU_DEP_2)
	v_cndmask_b32_e32 v11, v11, v14, vcc_lo
	v_cmp_eq_u32_e32 vcc_lo, 13, v24
	v_cndmask_b32_e32 v11, v11, v15, vcc_lo
	v_cmp_eq_u32_e32 vcc_lo, 14, v24
	s_delay_alu instid0(VALU_DEP_2) | instskip(SKIP_1) | instid1(VALU_DEP_2)
	v_cndmask_b32_e32 v11, v11, v16, vcc_lo
	v_cmp_eq_u32_e32 vcc_lo, 15, v24
	v_cndmask_b32_e32 v11, v11, v17, vcc_lo
	v_cmp_eq_u32_e32 vcc_lo, 16, v24
	s_delay_alu instid0(VALU_DEP_2) | instskip(SKIP_1) | instid1(VALU_DEP_2)
	v_cndmask_b32_e32 v11, v11, v18, vcc_lo
	v_cmp_eq_u32_e32 vcc_lo, 17, v24
	v_cndmask_b32_e32 v11, v11, v19, vcc_lo
	v_cmp_eq_u32_e32 vcc_lo, 18, v24
	s_delay_alu instid0(VALU_DEP_2) | instskip(SKIP_1) | instid1(VALU_DEP_2)
	v_cndmask_b32_e32 v11, v11, v20, vcc_lo
	v_cmp_eq_u32_e32 vcc_lo, 19, v24
	v_cndmask_b32_e32 v11, v11, v21, vcc_lo
	v_cmp_eq_u32_e32 vcc_lo, 20, v24
	s_delay_alu instid0(VALU_DEP_2) | instskip(SKIP_1) | instid1(VALU_DEP_1)
	v_cndmask_b32_e32 v11, v11, v22, vcc_lo
	s_wait_dscnt 0x0
	v_fmac_f32_e32 v23, v11, v25
	s_and_saveexec_b32 s9, s0
	s_cbranch_execz .LBB84_390
; %bb.389:
	ds_load_b32 v11, v111 offset:32
	s_wait_dscnt 0x0
	v_fmac_f32_e32 v23, v10, v11
.LBB84_390:
	s_or_b32 exec_lo, exec_lo, s9
.LBB84_391:
	s_delay_alu instid0(SALU_CYCLE_1)
	s_or_b32 exec_lo, exec_lo, s1
.LBB84_392:
	s_delay_alu instid0(SALU_CYCLE_1)
	s_or_b32 exec_lo, exec_lo, s8
.LBB84_393:
	s_delay_alu instid0(SALU_CYCLE_1)
	s_or_b32 exec_lo, exec_lo, s2
.LBB84_394:
	s_delay_alu instid0(SALU_CYCLE_1)
	s_or_b32 exec_lo, exec_lo, s7
.LBB84_395:
	s_delay_alu instid0(SALU_CYCLE_1)
	s_or_b32 exec_lo, exec_lo, s3
.LBB84_396:
	s_delay_alu instid0(SALU_CYCLE_1)
	s_or_b32 exec_lo, exec_lo, s6
.LBB84_397:
	s_delay_alu instid0(SALU_CYCLE_1)
	s_or_b32 exec_lo, exec_lo, s5
	v_mov_b32_e32 v11, 0
	ds_load_b32 v11, v11 offset:36
	s_wait_dscnt 0x0
	v_mul_f32_e32 v11, v23, v11
.LBB84_398:
	s_or_b32 exec_lo, exec_lo, s4
	s_delay_alu instid0(SALU_CYCLE_1)
	s_mov_b32 s0, exec_lo
	ds_store_b32 v111, v12
	s_wait_dscnt 0x0
	s_barrier_signal -1
	s_barrier_wait -1
	v_cmpx_gt_u32_e32 10, v0
	s_cbranch_execz .LBB84_408
; %bb.399:
	v_cmp_ne_u32_e32 vcc_lo, 1, v34
	s_cbranch_vccnz .LBB84_401
; %bb.400:
	v_cmp_eq_u32_e32 vcc_lo, 1, v0
	ds_load_b32 v24, v111
	v_cndmask_b32_e32 v23, v2, v3, vcc_lo
	v_cmp_eq_u32_e32 vcc_lo, 2, v0
	s_delay_alu instid0(VALU_DEP_2) | instskip(SKIP_1) | instid1(VALU_DEP_2)
	v_cndmask_b32_e32 v23, v23, v4, vcc_lo
	v_cmp_eq_u32_e32 vcc_lo, 3, v0
	v_cndmask_b32_e32 v23, v23, v5, vcc_lo
	v_cmp_eq_u32_e32 vcc_lo, 4, v0
	s_delay_alu instid0(VALU_DEP_2) | instskip(SKIP_1) | instid1(VALU_DEP_2)
	v_cndmask_b32_e32 v23, v23, v6, vcc_lo
	v_cmp_eq_u32_e32 vcc_lo, 5, v0
	;; [unrolled: 5-line block ×9, first 2 shown]
	v_cndmask_b32_e32 v23, v23, v21, vcc_lo
	v_cmp_eq_u32_e32 vcc_lo, 20, v0
	s_delay_alu instid0(VALU_DEP_2) | instskip(SKIP_1) | instid1(VALU_DEP_1)
	v_cndmask_b32_e32 v23, v23, v22, vcc_lo
	s_wait_dscnt 0x0
	v_mul_f32_e32 v23, v23, v24
	s_cbranch_execz .LBB84_402
	s_branch .LBB84_403
.LBB84_401:
                                        ; implicit-def: $vgpr23
.LBB84_402:
	ds_load_b32 v23, v111
.LBB84_403:
	s_mov_b32 s1, exec_lo
	v_cmpx_ne_u32_e32 9, v0
	s_cbranch_execz .LBB84_407
; %bb.404:
	v_mov_b64_e32 v[24:25], v[0:1]
	v_lshl_add_u32 v26, v0, 2, 0x64
	s_mov_b32 s2, 0
.LBB84_405:                             ; =>This Inner Loop Header: Depth=1
	s_delay_alu instid0(VALU_DEP_2)
	v_add_nc_u64_e32 v[24:25], 1, v[24:25]
	ds_load_b32 v28, v26
	v_add_nc_u32_e32 v26, 4, v26
	v_cmp_eq_u32_e32 vcc_lo, 1, v24
	v_cndmask_b32_e32 v27, v2, v3, vcc_lo
	v_cmp_eq_u32_e32 vcc_lo, 2, v24
	s_delay_alu instid0(VALU_DEP_2) | instskip(SKIP_1) | instid1(VALU_DEP_2)
	v_cndmask_b32_e32 v27, v27, v4, vcc_lo
	v_cmp_eq_u32_e32 vcc_lo, 3, v24
	v_cndmask_b32_e32 v27, v27, v5, vcc_lo
	v_cmp_eq_u32_e32 vcc_lo, 4, v24
	s_delay_alu instid0(VALU_DEP_2) | instskip(SKIP_1) | instid1(VALU_DEP_2)
	v_cndmask_b32_e32 v27, v27, v6, vcc_lo
	;; [unrolled: 5-line block ×9, first 2 shown]
	v_cmp_eq_u32_e32 vcc_lo, 19, v24
	v_cndmask_b32_e32 v27, v27, v21, vcc_lo
	v_cmp_eq_u32_e32 vcc_lo, 20, v24
	s_delay_alu instid0(VALU_DEP_2) | instskip(SKIP_2) | instid1(VALU_DEP_2)
	v_cndmask_b32_e32 v27, v27, v22, vcc_lo
	v_cmp_lt_u32_e32 vcc_lo, 8, v24
	s_wait_dscnt 0x0
	v_fmac_f32_e32 v23, v27, v28
	s_or_b32 s2, vcc_lo, s2
	s_delay_alu instid0(SALU_CYCLE_1)
	s_and_not1_b32 exec_lo, exec_lo, s2
	s_cbranch_execnz .LBB84_405
; %bb.406:
	s_or_b32 exec_lo, exec_lo, s2
.LBB84_407:
	s_delay_alu instid0(SALU_CYCLE_1)
	s_or_b32 exec_lo, exec_lo, s1
	v_mov_b32_e32 v12, 0
	ds_load_b32 v12, v12 offset:40
	s_wait_dscnt 0x0
	v_mul_f32_e32 v12, v23, v12
.LBB84_408:
	s_or_b32 exec_lo, exec_lo, s0
	s_delay_alu instid0(SALU_CYCLE_1)
	s_mov_b32 s0, exec_lo
	ds_store_b32 v111, v13
	s_wait_dscnt 0x0
	s_barrier_signal -1
	s_barrier_wait -1
	v_cmpx_gt_u32_e32 11, v0
	s_cbranch_execz .LBB84_418
; %bb.409:
	v_cmp_ne_u32_e32 vcc_lo, 1, v34
	s_cbranch_vccnz .LBB84_411
; %bb.410:
	v_cmp_eq_u32_e32 vcc_lo, 1, v0
	ds_load_b32 v24, v111
	v_cndmask_b32_e32 v23, v2, v3, vcc_lo
	v_cmp_eq_u32_e32 vcc_lo, 2, v0
	s_delay_alu instid0(VALU_DEP_2) | instskip(SKIP_1) | instid1(VALU_DEP_2)
	v_cndmask_b32_e32 v23, v23, v4, vcc_lo
	v_cmp_eq_u32_e32 vcc_lo, 3, v0
	v_cndmask_b32_e32 v23, v23, v5, vcc_lo
	v_cmp_eq_u32_e32 vcc_lo, 4, v0
	s_delay_alu instid0(VALU_DEP_2) | instskip(SKIP_1) | instid1(VALU_DEP_2)
	v_cndmask_b32_e32 v23, v23, v6, vcc_lo
	v_cmp_eq_u32_e32 vcc_lo, 5, v0
	;; [unrolled: 5-line block ×9, first 2 shown]
	v_cndmask_b32_e32 v23, v23, v21, vcc_lo
	v_cmp_eq_u32_e32 vcc_lo, 20, v0
	s_delay_alu instid0(VALU_DEP_2) | instskip(SKIP_1) | instid1(VALU_DEP_1)
	v_cndmask_b32_e32 v23, v23, v22, vcc_lo
	s_wait_dscnt 0x0
	v_mul_f32_e32 v23, v23, v24
	s_cbranch_execz .LBB84_412
	s_branch .LBB84_413
.LBB84_411:
                                        ; implicit-def: $vgpr23
.LBB84_412:
	ds_load_b32 v23, v111
.LBB84_413:
	s_mov_b32 s1, exec_lo
	v_cmpx_ne_u32_e32 10, v0
	s_cbranch_execz .LBB84_417
; %bb.414:
	v_mov_b64_e32 v[24:25], v[0:1]
	v_lshl_add_u32 v26, v0, 2, 0x64
	s_mov_b32 s2, 0
.LBB84_415:                             ; =>This Inner Loop Header: Depth=1
	s_delay_alu instid0(VALU_DEP_2)
	v_add_nc_u64_e32 v[24:25], 1, v[24:25]
	ds_load_b32 v28, v26
	v_add_nc_u32_e32 v26, 4, v26
	v_cmp_eq_u32_e32 vcc_lo, 1, v24
	v_cndmask_b32_e32 v27, v2, v3, vcc_lo
	v_cmp_eq_u32_e32 vcc_lo, 2, v24
	s_delay_alu instid0(VALU_DEP_2) | instskip(SKIP_1) | instid1(VALU_DEP_2)
	v_cndmask_b32_e32 v27, v27, v4, vcc_lo
	v_cmp_eq_u32_e32 vcc_lo, 3, v24
	v_cndmask_b32_e32 v27, v27, v5, vcc_lo
	v_cmp_eq_u32_e32 vcc_lo, 4, v24
	s_delay_alu instid0(VALU_DEP_2) | instskip(SKIP_1) | instid1(VALU_DEP_2)
	v_cndmask_b32_e32 v27, v27, v6, vcc_lo
	;; [unrolled: 5-line block ×9, first 2 shown]
	v_cmp_eq_u32_e32 vcc_lo, 19, v24
	v_cndmask_b32_e32 v27, v27, v21, vcc_lo
	v_cmp_eq_u32_e32 vcc_lo, 20, v24
	s_delay_alu instid0(VALU_DEP_2) | instskip(SKIP_2) | instid1(VALU_DEP_2)
	v_cndmask_b32_e32 v27, v27, v22, vcc_lo
	v_cmp_lt_u32_e32 vcc_lo, 9, v24
	s_wait_dscnt 0x0
	v_fmac_f32_e32 v23, v27, v28
	s_or_b32 s2, vcc_lo, s2
	s_delay_alu instid0(SALU_CYCLE_1)
	s_and_not1_b32 exec_lo, exec_lo, s2
	s_cbranch_execnz .LBB84_415
; %bb.416:
	s_or_b32 exec_lo, exec_lo, s2
.LBB84_417:
	s_delay_alu instid0(SALU_CYCLE_1)
	s_or_b32 exec_lo, exec_lo, s1
	v_mov_b32_e32 v13, 0
	ds_load_b32 v13, v13 offset:44
	s_wait_dscnt 0x0
	v_mul_f32_e32 v13, v23, v13
.LBB84_418:
	s_or_b32 exec_lo, exec_lo, s0
	s_delay_alu instid0(SALU_CYCLE_1)
	s_mov_b32 s0, exec_lo
	ds_store_b32 v111, v14
	s_wait_dscnt 0x0
	s_barrier_signal -1
	s_barrier_wait -1
	v_cmpx_gt_u32_e32 12, v0
	s_cbranch_execz .LBB84_428
; %bb.419:
	v_cmp_ne_u32_e32 vcc_lo, 1, v34
	s_cbranch_vccnz .LBB84_421
; %bb.420:
	v_cmp_eq_u32_e32 vcc_lo, 1, v0
	ds_load_b32 v24, v111
	v_cndmask_b32_e32 v23, v2, v3, vcc_lo
	v_cmp_eq_u32_e32 vcc_lo, 2, v0
	s_delay_alu instid0(VALU_DEP_2) | instskip(SKIP_1) | instid1(VALU_DEP_2)
	v_cndmask_b32_e32 v23, v23, v4, vcc_lo
	v_cmp_eq_u32_e32 vcc_lo, 3, v0
	v_cndmask_b32_e32 v23, v23, v5, vcc_lo
	v_cmp_eq_u32_e32 vcc_lo, 4, v0
	s_delay_alu instid0(VALU_DEP_2) | instskip(SKIP_1) | instid1(VALU_DEP_2)
	v_cndmask_b32_e32 v23, v23, v6, vcc_lo
	v_cmp_eq_u32_e32 vcc_lo, 5, v0
	;; [unrolled: 5-line block ×9, first 2 shown]
	v_cndmask_b32_e32 v23, v23, v21, vcc_lo
	v_cmp_eq_u32_e32 vcc_lo, 20, v0
	s_delay_alu instid0(VALU_DEP_2) | instskip(SKIP_1) | instid1(VALU_DEP_1)
	v_cndmask_b32_e32 v23, v23, v22, vcc_lo
	s_wait_dscnt 0x0
	v_mul_f32_e32 v23, v23, v24
	s_cbranch_execz .LBB84_422
	s_branch .LBB84_423
.LBB84_421:
                                        ; implicit-def: $vgpr23
.LBB84_422:
	ds_load_b32 v23, v111
.LBB84_423:
	s_mov_b32 s1, exec_lo
	v_cmpx_ne_u32_e32 11, v0
	s_cbranch_execz .LBB84_427
; %bb.424:
	v_mov_b64_e32 v[24:25], v[0:1]
	v_lshl_add_u32 v26, v0, 2, 0x64
	s_mov_b32 s2, 0
.LBB84_425:                             ; =>This Inner Loop Header: Depth=1
	s_delay_alu instid0(VALU_DEP_2)
	v_add_nc_u64_e32 v[24:25], 1, v[24:25]
	ds_load_b32 v28, v26
	v_add_nc_u32_e32 v26, 4, v26
	v_cmp_eq_u32_e32 vcc_lo, 1, v24
	v_cndmask_b32_e32 v27, v2, v3, vcc_lo
	v_cmp_eq_u32_e32 vcc_lo, 2, v24
	s_delay_alu instid0(VALU_DEP_2) | instskip(SKIP_1) | instid1(VALU_DEP_2)
	v_cndmask_b32_e32 v27, v27, v4, vcc_lo
	v_cmp_eq_u32_e32 vcc_lo, 3, v24
	v_cndmask_b32_e32 v27, v27, v5, vcc_lo
	v_cmp_eq_u32_e32 vcc_lo, 4, v24
	s_delay_alu instid0(VALU_DEP_2) | instskip(SKIP_1) | instid1(VALU_DEP_2)
	v_cndmask_b32_e32 v27, v27, v6, vcc_lo
	;; [unrolled: 5-line block ×9, first 2 shown]
	v_cmp_eq_u32_e32 vcc_lo, 19, v24
	v_cndmask_b32_e32 v27, v27, v21, vcc_lo
	v_cmp_eq_u32_e32 vcc_lo, 20, v24
	s_delay_alu instid0(VALU_DEP_2) | instskip(SKIP_2) | instid1(VALU_DEP_2)
	v_cndmask_b32_e32 v27, v27, v22, vcc_lo
	v_cmp_lt_u32_e32 vcc_lo, 10, v24
	s_wait_dscnt 0x0
	v_fmac_f32_e32 v23, v27, v28
	s_or_b32 s2, vcc_lo, s2
	s_delay_alu instid0(SALU_CYCLE_1)
	s_and_not1_b32 exec_lo, exec_lo, s2
	s_cbranch_execnz .LBB84_425
; %bb.426:
	s_or_b32 exec_lo, exec_lo, s2
.LBB84_427:
	s_delay_alu instid0(SALU_CYCLE_1)
	s_or_b32 exec_lo, exec_lo, s1
	v_mov_b32_e32 v14, 0
	ds_load_b32 v14, v14 offset:48
	s_wait_dscnt 0x0
	v_mul_f32_e32 v14, v23, v14
.LBB84_428:
	s_or_b32 exec_lo, exec_lo, s0
	s_delay_alu instid0(SALU_CYCLE_1)
	s_mov_b32 s0, exec_lo
	ds_store_b32 v111, v15
	s_wait_dscnt 0x0
	s_barrier_signal -1
	s_barrier_wait -1
	v_cmpx_gt_u32_e32 13, v0
	s_cbranch_execz .LBB84_438
; %bb.429:
	v_cmp_ne_u32_e32 vcc_lo, 1, v34
	s_cbranch_vccnz .LBB84_431
; %bb.430:
	v_cmp_eq_u32_e32 vcc_lo, 1, v0
	ds_load_b32 v24, v111
	v_cndmask_b32_e32 v23, v2, v3, vcc_lo
	v_cmp_eq_u32_e32 vcc_lo, 2, v0
	s_delay_alu instid0(VALU_DEP_2) | instskip(SKIP_1) | instid1(VALU_DEP_2)
	v_cndmask_b32_e32 v23, v23, v4, vcc_lo
	v_cmp_eq_u32_e32 vcc_lo, 3, v0
	v_cndmask_b32_e32 v23, v23, v5, vcc_lo
	v_cmp_eq_u32_e32 vcc_lo, 4, v0
	s_delay_alu instid0(VALU_DEP_2) | instskip(SKIP_1) | instid1(VALU_DEP_2)
	v_cndmask_b32_e32 v23, v23, v6, vcc_lo
	v_cmp_eq_u32_e32 vcc_lo, 5, v0
	;; [unrolled: 5-line block ×9, first 2 shown]
	v_cndmask_b32_e32 v23, v23, v21, vcc_lo
	v_cmp_eq_u32_e32 vcc_lo, 20, v0
	s_delay_alu instid0(VALU_DEP_2) | instskip(SKIP_1) | instid1(VALU_DEP_1)
	v_cndmask_b32_e32 v23, v23, v22, vcc_lo
	s_wait_dscnt 0x0
	v_mul_f32_e32 v23, v23, v24
	s_cbranch_execz .LBB84_432
	s_branch .LBB84_433
.LBB84_431:
                                        ; implicit-def: $vgpr23
.LBB84_432:
	ds_load_b32 v23, v111
.LBB84_433:
	s_mov_b32 s1, exec_lo
	v_cmpx_ne_u32_e32 12, v0
	s_cbranch_execz .LBB84_437
; %bb.434:
	v_mov_b64_e32 v[24:25], v[0:1]
	v_lshl_add_u32 v26, v0, 2, 0x64
	s_mov_b32 s2, 0
.LBB84_435:                             ; =>This Inner Loop Header: Depth=1
	s_delay_alu instid0(VALU_DEP_2)
	v_add_nc_u64_e32 v[24:25], 1, v[24:25]
	ds_load_b32 v28, v26
	v_add_nc_u32_e32 v26, 4, v26
	v_cmp_eq_u32_e32 vcc_lo, 1, v24
	v_cndmask_b32_e32 v27, v2, v3, vcc_lo
	v_cmp_eq_u32_e32 vcc_lo, 2, v24
	s_delay_alu instid0(VALU_DEP_2) | instskip(SKIP_1) | instid1(VALU_DEP_2)
	v_cndmask_b32_e32 v27, v27, v4, vcc_lo
	v_cmp_eq_u32_e32 vcc_lo, 3, v24
	v_cndmask_b32_e32 v27, v27, v5, vcc_lo
	v_cmp_eq_u32_e32 vcc_lo, 4, v24
	s_delay_alu instid0(VALU_DEP_2) | instskip(SKIP_1) | instid1(VALU_DEP_2)
	v_cndmask_b32_e32 v27, v27, v6, vcc_lo
	;; [unrolled: 5-line block ×9, first 2 shown]
	v_cmp_eq_u32_e32 vcc_lo, 19, v24
	v_cndmask_b32_e32 v27, v27, v21, vcc_lo
	v_cmp_eq_u32_e32 vcc_lo, 20, v24
	s_delay_alu instid0(VALU_DEP_2) | instskip(SKIP_2) | instid1(VALU_DEP_2)
	v_cndmask_b32_e32 v27, v27, v22, vcc_lo
	v_cmp_lt_u32_e32 vcc_lo, 11, v24
	s_wait_dscnt 0x0
	v_fmac_f32_e32 v23, v27, v28
	s_or_b32 s2, vcc_lo, s2
	s_delay_alu instid0(SALU_CYCLE_1)
	s_and_not1_b32 exec_lo, exec_lo, s2
	s_cbranch_execnz .LBB84_435
; %bb.436:
	s_or_b32 exec_lo, exec_lo, s2
.LBB84_437:
	s_delay_alu instid0(SALU_CYCLE_1)
	s_or_b32 exec_lo, exec_lo, s1
	v_mov_b32_e32 v15, 0
	ds_load_b32 v15, v15 offset:52
	s_wait_dscnt 0x0
	v_mul_f32_e32 v15, v23, v15
.LBB84_438:
	s_or_b32 exec_lo, exec_lo, s0
	s_delay_alu instid0(SALU_CYCLE_1)
	s_mov_b32 s0, exec_lo
	ds_store_b32 v111, v16
	s_wait_dscnt 0x0
	s_barrier_signal -1
	s_barrier_wait -1
	v_cmpx_gt_u32_e32 14, v0
	s_cbranch_execz .LBB84_448
; %bb.439:
	v_cmp_ne_u32_e32 vcc_lo, 1, v34
	s_cbranch_vccnz .LBB84_441
; %bb.440:
	v_cmp_eq_u32_e32 vcc_lo, 1, v0
	ds_load_b32 v24, v111
	v_cndmask_b32_e32 v23, v2, v3, vcc_lo
	v_cmp_eq_u32_e32 vcc_lo, 2, v0
	s_delay_alu instid0(VALU_DEP_2) | instskip(SKIP_1) | instid1(VALU_DEP_2)
	v_cndmask_b32_e32 v23, v23, v4, vcc_lo
	v_cmp_eq_u32_e32 vcc_lo, 3, v0
	v_cndmask_b32_e32 v23, v23, v5, vcc_lo
	v_cmp_eq_u32_e32 vcc_lo, 4, v0
	s_delay_alu instid0(VALU_DEP_2) | instskip(SKIP_1) | instid1(VALU_DEP_2)
	v_cndmask_b32_e32 v23, v23, v6, vcc_lo
	v_cmp_eq_u32_e32 vcc_lo, 5, v0
	;; [unrolled: 5-line block ×9, first 2 shown]
	v_cndmask_b32_e32 v23, v23, v21, vcc_lo
	v_cmp_eq_u32_e32 vcc_lo, 20, v0
	s_delay_alu instid0(VALU_DEP_2) | instskip(SKIP_1) | instid1(VALU_DEP_1)
	v_cndmask_b32_e32 v23, v23, v22, vcc_lo
	s_wait_dscnt 0x0
	v_mul_f32_e32 v23, v23, v24
	s_cbranch_execz .LBB84_442
	s_branch .LBB84_443
.LBB84_441:
                                        ; implicit-def: $vgpr23
.LBB84_442:
	ds_load_b32 v23, v111
.LBB84_443:
	s_mov_b32 s1, exec_lo
	v_cmpx_ne_u32_e32 13, v0
	s_cbranch_execz .LBB84_447
; %bb.444:
	v_mov_b64_e32 v[24:25], v[0:1]
	v_lshl_add_u32 v26, v0, 2, 0x64
	s_mov_b32 s2, 0
.LBB84_445:                             ; =>This Inner Loop Header: Depth=1
	s_delay_alu instid0(VALU_DEP_2)
	v_add_nc_u64_e32 v[24:25], 1, v[24:25]
	ds_load_b32 v28, v26
	v_add_nc_u32_e32 v26, 4, v26
	v_cmp_eq_u32_e32 vcc_lo, 1, v24
	v_cndmask_b32_e32 v27, v2, v3, vcc_lo
	v_cmp_eq_u32_e32 vcc_lo, 2, v24
	s_delay_alu instid0(VALU_DEP_2) | instskip(SKIP_1) | instid1(VALU_DEP_2)
	v_cndmask_b32_e32 v27, v27, v4, vcc_lo
	v_cmp_eq_u32_e32 vcc_lo, 3, v24
	v_cndmask_b32_e32 v27, v27, v5, vcc_lo
	v_cmp_eq_u32_e32 vcc_lo, 4, v24
	s_delay_alu instid0(VALU_DEP_2) | instskip(SKIP_1) | instid1(VALU_DEP_2)
	v_cndmask_b32_e32 v27, v27, v6, vcc_lo
	;; [unrolled: 5-line block ×9, first 2 shown]
	v_cmp_eq_u32_e32 vcc_lo, 19, v24
	v_cndmask_b32_e32 v27, v27, v21, vcc_lo
	v_cmp_eq_u32_e32 vcc_lo, 20, v24
	s_delay_alu instid0(VALU_DEP_2) | instskip(SKIP_2) | instid1(VALU_DEP_2)
	v_cndmask_b32_e32 v27, v27, v22, vcc_lo
	v_cmp_lt_u32_e32 vcc_lo, 12, v24
	s_wait_dscnt 0x0
	v_fmac_f32_e32 v23, v27, v28
	s_or_b32 s2, vcc_lo, s2
	s_delay_alu instid0(SALU_CYCLE_1)
	s_and_not1_b32 exec_lo, exec_lo, s2
	s_cbranch_execnz .LBB84_445
; %bb.446:
	s_or_b32 exec_lo, exec_lo, s2
.LBB84_447:
	s_delay_alu instid0(SALU_CYCLE_1)
	s_or_b32 exec_lo, exec_lo, s1
	v_mov_b32_e32 v16, 0
	ds_load_b32 v16, v16 offset:56
	s_wait_dscnt 0x0
	v_mul_f32_e32 v16, v23, v16
.LBB84_448:
	s_or_b32 exec_lo, exec_lo, s0
	s_delay_alu instid0(SALU_CYCLE_1)
	s_mov_b32 s0, exec_lo
	ds_store_b32 v111, v17
	s_wait_dscnt 0x0
	s_barrier_signal -1
	s_barrier_wait -1
	v_cmpx_gt_u32_e32 15, v0
	s_cbranch_execz .LBB84_458
; %bb.449:
	v_cmp_ne_u32_e32 vcc_lo, 1, v34
	s_cbranch_vccnz .LBB84_451
; %bb.450:
	v_cmp_eq_u32_e32 vcc_lo, 1, v0
	ds_load_b32 v24, v111
	v_cndmask_b32_e32 v23, v2, v3, vcc_lo
	v_cmp_eq_u32_e32 vcc_lo, 2, v0
	s_delay_alu instid0(VALU_DEP_2) | instskip(SKIP_1) | instid1(VALU_DEP_2)
	v_cndmask_b32_e32 v23, v23, v4, vcc_lo
	v_cmp_eq_u32_e32 vcc_lo, 3, v0
	v_cndmask_b32_e32 v23, v23, v5, vcc_lo
	v_cmp_eq_u32_e32 vcc_lo, 4, v0
	s_delay_alu instid0(VALU_DEP_2) | instskip(SKIP_1) | instid1(VALU_DEP_2)
	v_cndmask_b32_e32 v23, v23, v6, vcc_lo
	v_cmp_eq_u32_e32 vcc_lo, 5, v0
	;; [unrolled: 5-line block ×9, first 2 shown]
	v_cndmask_b32_e32 v23, v23, v21, vcc_lo
	v_cmp_eq_u32_e32 vcc_lo, 20, v0
	s_delay_alu instid0(VALU_DEP_2) | instskip(SKIP_1) | instid1(VALU_DEP_1)
	v_cndmask_b32_e32 v23, v23, v22, vcc_lo
	s_wait_dscnt 0x0
	v_mul_f32_e32 v23, v23, v24
	s_cbranch_execz .LBB84_452
	s_branch .LBB84_453
.LBB84_451:
                                        ; implicit-def: $vgpr23
.LBB84_452:
	ds_load_b32 v23, v111
.LBB84_453:
	s_mov_b32 s1, exec_lo
	v_cmpx_ne_u32_e32 14, v0
	s_cbranch_execz .LBB84_457
; %bb.454:
	v_mov_b64_e32 v[24:25], v[0:1]
	v_lshl_add_u32 v26, v0, 2, 0x64
	s_mov_b32 s2, 0
.LBB84_455:                             ; =>This Inner Loop Header: Depth=1
	s_delay_alu instid0(VALU_DEP_2)
	v_add_nc_u64_e32 v[24:25], 1, v[24:25]
	ds_load_b32 v28, v26
	v_add_nc_u32_e32 v26, 4, v26
	v_cmp_eq_u32_e32 vcc_lo, 1, v24
	v_cndmask_b32_e32 v27, v2, v3, vcc_lo
	v_cmp_eq_u32_e32 vcc_lo, 2, v24
	s_delay_alu instid0(VALU_DEP_2) | instskip(SKIP_1) | instid1(VALU_DEP_2)
	v_cndmask_b32_e32 v27, v27, v4, vcc_lo
	v_cmp_eq_u32_e32 vcc_lo, 3, v24
	v_cndmask_b32_e32 v27, v27, v5, vcc_lo
	v_cmp_eq_u32_e32 vcc_lo, 4, v24
	s_delay_alu instid0(VALU_DEP_2) | instskip(SKIP_1) | instid1(VALU_DEP_2)
	v_cndmask_b32_e32 v27, v27, v6, vcc_lo
	;; [unrolled: 5-line block ×9, first 2 shown]
	v_cmp_eq_u32_e32 vcc_lo, 19, v24
	v_cndmask_b32_e32 v27, v27, v21, vcc_lo
	v_cmp_eq_u32_e32 vcc_lo, 20, v24
	s_delay_alu instid0(VALU_DEP_2) | instskip(SKIP_2) | instid1(VALU_DEP_2)
	v_cndmask_b32_e32 v27, v27, v22, vcc_lo
	v_cmp_lt_u32_e32 vcc_lo, 13, v24
	s_wait_dscnt 0x0
	v_fmac_f32_e32 v23, v27, v28
	s_or_b32 s2, vcc_lo, s2
	s_delay_alu instid0(SALU_CYCLE_1)
	s_and_not1_b32 exec_lo, exec_lo, s2
	s_cbranch_execnz .LBB84_455
; %bb.456:
	s_or_b32 exec_lo, exec_lo, s2
.LBB84_457:
	s_delay_alu instid0(SALU_CYCLE_1)
	s_or_b32 exec_lo, exec_lo, s1
	v_mov_b32_e32 v17, 0
	ds_load_b32 v17, v17 offset:60
	s_wait_dscnt 0x0
	v_mul_f32_e32 v17, v23, v17
.LBB84_458:
	s_or_b32 exec_lo, exec_lo, s0
	s_delay_alu instid0(SALU_CYCLE_1)
	s_mov_b32 s0, exec_lo
	ds_store_b32 v111, v18
	s_wait_dscnt 0x0
	s_barrier_signal -1
	s_barrier_wait -1
	v_cmpx_gt_u32_e32 16, v0
	s_cbranch_execz .LBB84_468
; %bb.459:
	v_cmp_ne_u32_e32 vcc_lo, 1, v34
	s_cbranch_vccnz .LBB84_461
; %bb.460:
	v_cmp_eq_u32_e32 vcc_lo, 1, v0
	ds_load_b32 v24, v111
	v_cndmask_b32_e32 v23, v2, v3, vcc_lo
	v_cmp_eq_u32_e32 vcc_lo, 2, v0
	s_delay_alu instid0(VALU_DEP_2) | instskip(SKIP_1) | instid1(VALU_DEP_2)
	v_cndmask_b32_e32 v23, v23, v4, vcc_lo
	v_cmp_eq_u32_e32 vcc_lo, 3, v0
	v_cndmask_b32_e32 v23, v23, v5, vcc_lo
	v_cmp_eq_u32_e32 vcc_lo, 4, v0
	s_delay_alu instid0(VALU_DEP_2) | instskip(SKIP_1) | instid1(VALU_DEP_2)
	v_cndmask_b32_e32 v23, v23, v6, vcc_lo
	v_cmp_eq_u32_e32 vcc_lo, 5, v0
	;; [unrolled: 5-line block ×9, first 2 shown]
	v_cndmask_b32_e32 v23, v23, v21, vcc_lo
	v_cmp_eq_u32_e32 vcc_lo, 20, v0
	s_delay_alu instid0(VALU_DEP_2) | instskip(SKIP_1) | instid1(VALU_DEP_1)
	v_cndmask_b32_e32 v23, v23, v22, vcc_lo
	s_wait_dscnt 0x0
	v_mul_f32_e32 v23, v23, v24
	s_cbranch_execz .LBB84_462
	s_branch .LBB84_463
.LBB84_461:
                                        ; implicit-def: $vgpr23
.LBB84_462:
	ds_load_b32 v23, v111
.LBB84_463:
	s_mov_b32 s1, exec_lo
	v_cmpx_ne_u32_e32 15, v0
	s_cbranch_execz .LBB84_467
; %bb.464:
	v_mov_b64_e32 v[24:25], v[0:1]
	v_lshl_add_u32 v26, v0, 2, 0x64
	s_mov_b32 s2, 0
.LBB84_465:                             ; =>This Inner Loop Header: Depth=1
	s_delay_alu instid0(VALU_DEP_2)
	v_add_nc_u64_e32 v[24:25], 1, v[24:25]
	ds_load_b32 v28, v26
	v_add_nc_u32_e32 v26, 4, v26
	v_cmp_eq_u32_e32 vcc_lo, 1, v24
	v_cndmask_b32_e32 v27, v2, v3, vcc_lo
	v_cmp_eq_u32_e32 vcc_lo, 2, v24
	s_delay_alu instid0(VALU_DEP_2) | instskip(SKIP_1) | instid1(VALU_DEP_2)
	v_cndmask_b32_e32 v27, v27, v4, vcc_lo
	v_cmp_eq_u32_e32 vcc_lo, 3, v24
	v_cndmask_b32_e32 v27, v27, v5, vcc_lo
	v_cmp_eq_u32_e32 vcc_lo, 4, v24
	s_delay_alu instid0(VALU_DEP_2) | instskip(SKIP_1) | instid1(VALU_DEP_2)
	v_cndmask_b32_e32 v27, v27, v6, vcc_lo
	;; [unrolled: 5-line block ×9, first 2 shown]
	v_cmp_eq_u32_e32 vcc_lo, 19, v24
	v_cndmask_b32_e32 v27, v27, v21, vcc_lo
	v_cmp_eq_u32_e32 vcc_lo, 20, v24
	s_delay_alu instid0(VALU_DEP_2) | instskip(SKIP_2) | instid1(VALU_DEP_2)
	v_cndmask_b32_e32 v27, v27, v22, vcc_lo
	v_cmp_lt_u32_e32 vcc_lo, 14, v24
	s_wait_dscnt 0x0
	v_fmac_f32_e32 v23, v27, v28
	s_or_b32 s2, vcc_lo, s2
	s_delay_alu instid0(SALU_CYCLE_1)
	s_and_not1_b32 exec_lo, exec_lo, s2
	s_cbranch_execnz .LBB84_465
; %bb.466:
	s_or_b32 exec_lo, exec_lo, s2
.LBB84_467:
	s_delay_alu instid0(SALU_CYCLE_1)
	s_or_b32 exec_lo, exec_lo, s1
	v_mov_b32_e32 v18, 0
	ds_load_b32 v18, v18 offset:64
	s_wait_dscnt 0x0
	v_mul_f32_e32 v18, v23, v18
.LBB84_468:
	s_or_b32 exec_lo, exec_lo, s0
	s_delay_alu instid0(SALU_CYCLE_1)
	s_mov_b32 s0, exec_lo
	ds_store_b32 v111, v19
	s_wait_dscnt 0x0
	s_barrier_signal -1
	s_barrier_wait -1
	v_cmpx_gt_u32_e32 17, v0
	s_cbranch_execz .LBB84_478
; %bb.469:
	v_cmp_ne_u32_e32 vcc_lo, 1, v34
	s_cbranch_vccnz .LBB84_471
; %bb.470:
	v_cmp_eq_u32_e32 vcc_lo, 1, v0
	ds_load_b32 v24, v111
	v_cndmask_b32_e32 v23, v2, v3, vcc_lo
	v_cmp_eq_u32_e32 vcc_lo, 2, v0
	s_delay_alu instid0(VALU_DEP_2) | instskip(SKIP_1) | instid1(VALU_DEP_2)
	v_cndmask_b32_e32 v23, v23, v4, vcc_lo
	v_cmp_eq_u32_e32 vcc_lo, 3, v0
	v_cndmask_b32_e32 v23, v23, v5, vcc_lo
	v_cmp_eq_u32_e32 vcc_lo, 4, v0
	s_delay_alu instid0(VALU_DEP_2) | instskip(SKIP_1) | instid1(VALU_DEP_2)
	v_cndmask_b32_e32 v23, v23, v6, vcc_lo
	v_cmp_eq_u32_e32 vcc_lo, 5, v0
	;; [unrolled: 5-line block ×9, first 2 shown]
	v_cndmask_b32_e32 v23, v23, v21, vcc_lo
	v_cmp_eq_u32_e32 vcc_lo, 20, v0
	s_delay_alu instid0(VALU_DEP_2) | instskip(SKIP_1) | instid1(VALU_DEP_1)
	v_cndmask_b32_e32 v23, v23, v22, vcc_lo
	s_wait_dscnt 0x0
	v_mul_f32_e32 v23, v23, v24
	s_cbranch_execz .LBB84_472
	s_branch .LBB84_473
.LBB84_471:
                                        ; implicit-def: $vgpr23
.LBB84_472:
	ds_load_b32 v23, v111
.LBB84_473:
	s_mov_b32 s1, exec_lo
	v_cmpx_ne_u32_e32 16, v0
	s_cbranch_execz .LBB84_477
; %bb.474:
	v_mov_b64_e32 v[24:25], v[0:1]
	v_lshl_add_u32 v26, v0, 2, 0x64
	s_mov_b32 s2, 0
.LBB84_475:                             ; =>This Inner Loop Header: Depth=1
	s_delay_alu instid0(VALU_DEP_2)
	v_add_nc_u64_e32 v[24:25], 1, v[24:25]
	ds_load_b32 v28, v26
	v_add_nc_u32_e32 v26, 4, v26
	v_cmp_eq_u32_e32 vcc_lo, 1, v24
	v_cndmask_b32_e32 v27, v2, v3, vcc_lo
	v_cmp_eq_u32_e32 vcc_lo, 2, v24
	s_delay_alu instid0(VALU_DEP_2) | instskip(SKIP_1) | instid1(VALU_DEP_2)
	v_cndmask_b32_e32 v27, v27, v4, vcc_lo
	v_cmp_eq_u32_e32 vcc_lo, 3, v24
	v_cndmask_b32_e32 v27, v27, v5, vcc_lo
	v_cmp_eq_u32_e32 vcc_lo, 4, v24
	s_delay_alu instid0(VALU_DEP_2) | instskip(SKIP_1) | instid1(VALU_DEP_2)
	v_cndmask_b32_e32 v27, v27, v6, vcc_lo
	;; [unrolled: 5-line block ×9, first 2 shown]
	v_cmp_eq_u32_e32 vcc_lo, 19, v24
	v_cndmask_b32_e32 v27, v27, v21, vcc_lo
	v_cmp_eq_u32_e32 vcc_lo, 20, v24
	s_delay_alu instid0(VALU_DEP_2) | instskip(SKIP_2) | instid1(VALU_DEP_2)
	v_cndmask_b32_e32 v27, v27, v22, vcc_lo
	v_cmp_lt_u32_e32 vcc_lo, 15, v24
	s_wait_dscnt 0x0
	v_fmac_f32_e32 v23, v27, v28
	s_or_b32 s2, vcc_lo, s2
	s_delay_alu instid0(SALU_CYCLE_1)
	s_and_not1_b32 exec_lo, exec_lo, s2
	s_cbranch_execnz .LBB84_475
; %bb.476:
	s_or_b32 exec_lo, exec_lo, s2
.LBB84_477:
	s_delay_alu instid0(SALU_CYCLE_1)
	s_or_b32 exec_lo, exec_lo, s1
	v_mov_b32_e32 v19, 0
	ds_load_b32 v19, v19 offset:68
	s_wait_dscnt 0x0
	v_mul_f32_e32 v19, v23, v19
.LBB84_478:
	s_or_b32 exec_lo, exec_lo, s0
	s_delay_alu instid0(SALU_CYCLE_1)
	s_mov_b32 s0, exec_lo
	ds_store_b32 v111, v20
	s_wait_dscnt 0x0
	s_barrier_signal -1
	s_barrier_wait -1
	v_cmpx_gt_u32_e32 18, v0
	s_cbranch_execz .LBB84_488
; %bb.479:
	v_cmp_ne_u32_e32 vcc_lo, 1, v34
	s_cbranch_vccnz .LBB84_481
; %bb.480:
	v_cmp_eq_u32_e32 vcc_lo, 1, v0
	ds_load_b32 v24, v111
	v_cndmask_b32_e32 v23, v2, v3, vcc_lo
	v_cmp_eq_u32_e32 vcc_lo, 2, v0
	s_delay_alu instid0(VALU_DEP_2) | instskip(SKIP_1) | instid1(VALU_DEP_2)
	v_cndmask_b32_e32 v23, v23, v4, vcc_lo
	v_cmp_eq_u32_e32 vcc_lo, 3, v0
	v_cndmask_b32_e32 v23, v23, v5, vcc_lo
	v_cmp_eq_u32_e32 vcc_lo, 4, v0
	s_delay_alu instid0(VALU_DEP_2) | instskip(SKIP_1) | instid1(VALU_DEP_2)
	v_cndmask_b32_e32 v23, v23, v6, vcc_lo
	v_cmp_eq_u32_e32 vcc_lo, 5, v0
	;; [unrolled: 5-line block ×9, first 2 shown]
	v_cndmask_b32_e32 v23, v23, v21, vcc_lo
	v_cmp_eq_u32_e32 vcc_lo, 20, v0
	s_delay_alu instid0(VALU_DEP_2) | instskip(SKIP_1) | instid1(VALU_DEP_1)
	v_cndmask_b32_e32 v23, v23, v22, vcc_lo
	s_wait_dscnt 0x0
	v_mul_f32_e32 v23, v23, v24
	s_cbranch_execz .LBB84_482
	s_branch .LBB84_483
.LBB84_481:
                                        ; implicit-def: $vgpr23
.LBB84_482:
	ds_load_b32 v23, v111
.LBB84_483:
	s_mov_b32 s1, exec_lo
	v_cmpx_ne_u32_e32 17, v0
	s_cbranch_execz .LBB84_487
; %bb.484:
	v_mov_b64_e32 v[24:25], v[0:1]
	v_lshl_add_u32 v26, v0, 2, 0x64
	s_mov_b32 s2, 0
.LBB84_485:                             ; =>This Inner Loop Header: Depth=1
	s_delay_alu instid0(VALU_DEP_2)
	v_add_nc_u64_e32 v[24:25], 1, v[24:25]
	ds_load_b32 v28, v26
	v_add_nc_u32_e32 v26, 4, v26
	v_cmp_eq_u32_e32 vcc_lo, 1, v24
	v_cndmask_b32_e32 v27, v2, v3, vcc_lo
	v_cmp_eq_u32_e32 vcc_lo, 2, v24
	s_delay_alu instid0(VALU_DEP_2) | instskip(SKIP_1) | instid1(VALU_DEP_2)
	v_cndmask_b32_e32 v27, v27, v4, vcc_lo
	v_cmp_eq_u32_e32 vcc_lo, 3, v24
	v_cndmask_b32_e32 v27, v27, v5, vcc_lo
	v_cmp_eq_u32_e32 vcc_lo, 4, v24
	s_delay_alu instid0(VALU_DEP_2) | instskip(SKIP_1) | instid1(VALU_DEP_2)
	v_cndmask_b32_e32 v27, v27, v6, vcc_lo
	;; [unrolled: 5-line block ×9, first 2 shown]
	v_cmp_eq_u32_e32 vcc_lo, 19, v24
	v_cndmask_b32_e32 v27, v27, v21, vcc_lo
	v_cmp_eq_u32_e32 vcc_lo, 20, v24
	s_delay_alu instid0(VALU_DEP_2) | instskip(SKIP_2) | instid1(VALU_DEP_2)
	v_cndmask_b32_e32 v27, v27, v22, vcc_lo
	v_cmp_lt_u32_e32 vcc_lo, 16, v24
	s_wait_dscnt 0x0
	v_fmac_f32_e32 v23, v27, v28
	s_or_b32 s2, vcc_lo, s2
	s_delay_alu instid0(SALU_CYCLE_1)
	s_and_not1_b32 exec_lo, exec_lo, s2
	s_cbranch_execnz .LBB84_485
; %bb.486:
	s_or_b32 exec_lo, exec_lo, s2
.LBB84_487:
	s_delay_alu instid0(SALU_CYCLE_1)
	s_or_b32 exec_lo, exec_lo, s1
	v_mov_b32_e32 v20, 0
	ds_load_b32 v20, v20 offset:72
	s_wait_dscnt 0x0
	v_mul_f32_e32 v20, v23, v20
.LBB84_488:
	s_or_b32 exec_lo, exec_lo, s0
	v_cmp_gt_u32_e64 s0, 19, v0
	ds_store_b32 v111, v21
	s_wait_dscnt 0x0
	s_barrier_signal -1
	s_barrier_wait -1
	s_and_saveexec_b32 s1, s0
	s_cbranch_execz .LBB84_498
; %bb.489:
	v_cmp_ne_u32_e32 vcc_lo, 1, v34
	s_cbranch_vccnz .LBB84_491
; %bb.490:
	v_cmp_eq_u32_e32 vcc_lo, 1, v0
	ds_load_b32 v24, v111
	v_cndmask_b32_e32 v23, v2, v3, vcc_lo
	v_cmp_eq_u32_e32 vcc_lo, 2, v0
	s_delay_alu instid0(VALU_DEP_2) | instskip(SKIP_1) | instid1(VALU_DEP_2)
	v_cndmask_b32_e32 v23, v23, v4, vcc_lo
	v_cmp_eq_u32_e32 vcc_lo, 3, v0
	v_cndmask_b32_e32 v23, v23, v5, vcc_lo
	v_cmp_eq_u32_e32 vcc_lo, 4, v0
	s_delay_alu instid0(VALU_DEP_2) | instskip(SKIP_1) | instid1(VALU_DEP_2)
	v_cndmask_b32_e32 v23, v23, v6, vcc_lo
	v_cmp_eq_u32_e32 vcc_lo, 5, v0
	;; [unrolled: 5-line block ×9, first 2 shown]
	v_cndmask_b32_e32 v23, v23, v21, vcc_lo
	v_cmp_eq_u32_e32 vcc_lo, 20, v0
	s_delay_alu instid0(VALU_DEP_2) | instskip(SKIP_1) | instid1(VALU_DEP_1)
	v_cndmask_b32_e32 v23, v23, v22, vcc_lo
	s_wait_dscnt 0x0
	v_mul_f32_e32 v23, v23, v24
	s_cbranch_execz .LBB84_492
	s_branch .LBB84_493
.LBB84_491:
                                        ; implicit-def: $vgpr23
.LBB84_492:
	ds_load_b32 v23, v111
.LBB84_493:
	s_mov_b32 s2, exec_lo
	v_cmpx_ne_u32_e32 18, v0
	s_cbranch_execz .LBB84_497
; %bb.494:
	v_mov_b64_e32 v[24:25], v[0:1]
	v_lshl_add_u32 v26, v0, 2, 0x64
	s_mov_b32 s3, 0
.LBB84_495:                             ; =>This Inner Loop Header: Depth=1
	s_delay_alu instid0(VALU_DEP_2)
	v_add_nc_u64_e32 v[24:25], 1, v[24:25]
	ds_load_b32 v28, v26
	v_add_nc_u32_e32 v26, 4, v26
	v_cmp_eq_u32_e32 vcc_lo, 1, v24
	v_cndmask_b32_e32 v27, v2, v3, vcc_lo
	v_cmp_eq_u32_e32 vcc_lo, 2, v24
	s_delay_alu instid0(VALU_DEP_2) | instskip(SKIP_1) | instid1(VALU_DEP_2)
	v_cndmask_b32_e32 v27, v27, v4, vcc_lo
	v_cmp_eq_u32_e32 vcc_lo, 3, v24
	v_cndmask_b32_e32 v27, v27, v5, vcc_lo
	v_cmp_eq_u32_e32 vcc_lo, 4, v24
	s_delay_alu instid0(VALU_DEP_2) | instskip(SKIP_1) | instid1(VALU_DEP_2)
	v_cndmask_b32_e32 v27, v27, v6, vcc_lo
	;; [unrolled: 5-line block ×9, first 2 shown]
	v_cmp_eq_u32_e32 vcc_lo, 19, v24
	v_cndmask_b32_e32 v27, v27, v21, vcc_lo
	v_cmp_eq_u32_e32 vcc_lo, 20, v24
	s_delay_alu instid0(VALU_DEP_2) | instskip(SKIP_2) | instid1(VALU_DEP_2)
	v_cndmask_b32_e32 v27, v27, v22, vcc_lo
	v_cmp_lt_u32_e32 vcc_lo, 17, v24
	s_wait_dscnt 0x0
	v_fmac_f32_e32 v23, v27, v28
	s_or_b32 s3, vcc_lo, s3
	s_delay_alu instid0(SALU_CYCLE_1)
	s_and_not1_b32 exec_lo, exec_lo, s3
	s_cbranch_execnz .LBB84_495
; %bb.496:
	s_or_b32 exec_lo, exec_lo, s3
.LBB84_497:
	s_delay_alu instid0(SALU_CYCLE_1)
	s_or_b32 exec_lo, exec_lo, s2
	v_mov_b32_e32 v21, 0
	ds_load_b32 v21, v21 offset:76
	s_wait_dscnt 0x0
	v_mul_f32_e32 v21, v23, v21
.LBB84_498:
	s_or_b32 exec_lo, exec_lo, s1
	s_delay_alu instid0(SALU_CYCLE_1)
	s_mov_b32 s1, exec_lo
	ds_store_b32 v111, v22
	s_wait_dscnt 0x0
	s_barrier_signal -1
	s_barrier_wait -1
	v_cmpx_ne_u32_e32 20, v0
	s_cbranch_execz .LBB84_508
; %bb.499:
	v_cmp_ne_u32_e32 vcc_lo, 1, v34
	s_cbranch_vccnz .LBB84_501
; %bb.500:
	v_cmp_eq_u32_e32 vcc_lo, 1, v0
	ds_load_b32 v24, v111
	v_cndmask_b32_e32 v23, v2, v3, vcc_lo
	v_cmp_eq_u32_e32 vcc_lo, 2, v0
	s_delay_alu instid0(VALU_DEP_2) | instskip(SKIP_1) | instid1(VALU_DEP_2)
	v_cndmask_b32_e32 v23, v23, v4, vcc_lo
	v_cmp_eq_u32_e32 vcc_lo, 3, v0
	v_cndmask_b32_e32 v23, v23, v5, vcc_lo
	v_cmp_eq_u32_e32 vcc_lo, 4, v0
	s_delay_alu instid0(VALU_DEP_2) | instskip(SKIP_1) | instid1(VALU_DEP_2)
	v_cndmask_b32_e32 v23, v23, v6, vcc_lo
	v_cmp_eq_u32_e32 vcc_lo, 5, v0
	;; [unrolled: 5-line block ×9, first 2 shown]
	v_cndmask_b32_e32 v23, v23, v21, vcc_lo
	v_cmp_eq_u32_e32 vcc_lo, 20, v0
	s_delay_alu instid0(VALU_DEP_2) | instskip(SKIP_1) | instid1(VALU_DEP_1)
	v_cndmask_b32_e32 v23, v23, v22, vcc_lo
	s_wait_dscnt 0x0
	v_mul_f32_e32 v23, v23, v24
	s_cbranch_execz .LBB84_502
	s_branch .LBB84_503
.LBB84_501:
                                        ; implicit-def: $vgpr23
.LBB84_502:
	ds_load_b32 v23, v111
.LBB84_503:
	s_and_saveexec_b32 s2, s0
	s_cbranch_execz .LBB84_507
; %bb.504:
	v_lshl_add_u32 v24, v0, 2, 0x64
	s_mov_b32 s0, 0
.LBB84_505:                             ; =>This Inner Loop Header: Depth=1
	v_add_nc_u64_e32 v[0:1], 1, v[0:1]
	ds_load_b32 v26, v24
	v_add_nc_u32_e32 v24, 4, v24
	v_cmp_eq_u32_e32 vcc_lo, 1, v0
	v_cndmask_b32_e32 v25, v2, v3, vcc_lo
	v_cmp_eq_u32_e32 vcc_lo, 2, v0
	s_delay_alu instid0(VALU_DEP_2) | instskip(SKIP_1) | instid1(VALU_DEP_2)
	v_cndmask_b32_e32 v25, v25, v4, vcc_lo
	v_cmp_eq_u32_e32 vcc_lo, 3, v0
	v_cndmask_b32_e32 v25, v25, v5, vcc_lo
	v_cmp_eq_u32_e32 vcc_lo, 4, v0
	s_delay_alu instid0(VALU_DEP_2) | instskip(SKIP_1) | instid1(VALU_DEP_2)
	v_cndmask_b32_e32 v25, v25, v6, vcc_lo
	;; [unrolled: 5-line block ×9, first 2 shown]
	v_cmp_eq_u32_e32 vcc_lo, 19, v0
	v_cndmask_b32_e32 v25, v25, v21, vcc_lo
	v_cmp_eq_u32_e32 vcc_lo, 20, v0
	s_delay_alu instid0(VALU_DEP_2) | instskip(SKIP_2) | instid1(VALU_DEP_2)
	v_cndmask_b32_e32 v25, v25, v22, vcc_lo
	v_cmp_lt_u32_e32 vcc_lo, 18, v0
	s_wait_dscnt 0x0
	v_fmac_f32_e32 v23, v25, v26
	s_or_b32 s0, vcc_lo, s0
	s_delay_alu instid0(SALU_CYCLE_1)
	s_and_not1_b32 exec_lo, exec_lo, s0
	s_cbranch_execnz .LBB84_505
; %bb.506:
	s_or_b32 exec_lo, exec_lo, s0
.LBB84_507:
	s_delay_alu instid0(SALU_CYCLE_1)
	s_or_b32 exec_lo, exec_lo, s2
	v_mov_b32_e32 v0, 0
	ds_load_b32 v0, v0 offset:80
	s_wait_dscnt 0x0
	v_mul_f32_e32 v22, v23, v0
.LBB84_508:
	s_or_b32 exec_lo, exec_lo, s1
	v_mov_b64_e32 v[64:65], v[32:33]
	s_delay_alu instid0(VALU_DEP_2)
	v_mov_b64_e32 v[54:55], v[22:23]
	v_mov_b64_e32 v[52:53], v[20:21]
	;; [unrolled: 1-line block ×15, first 2 shown]
.LBB84_509:
	s_wait_xcnt 0x4
	v_lshl_add_u64 v[0:1], v[66:67], 2, s[22:23]
	s_wait_loadcnt_dscnt 0x405
	v_lshl_add_u64 v[2:3], v[68:69], 2, s[22:23]
	v_lshl_add_u64 v[4:5], v[70:71], 2, s[22:23]
	v_lshl_add_u64 v[6:7], v[72:73], 2, s[22:23]
	v_lshl_add_u64 v[8:9], v[74:75], 2, s[22:23]
	v_lshl_add_u64 v[10:11], v[76:77], 2, s[22:23]
	v_lshl_add_u64 v[12:13], v[78:79], 2, s[22:23]
	v_lshl_add_u64 v[14:15], v[80:81], 2, s[22:23]
	v_lshl_add_u64 v[16:17], v[82:83], 2, s[22:23]
	s_wait_loadcnt_dscnt 0x304
	v_lshl_add_u64 v[18:19], v[84:85], 2, s[22:23]
	s_wait_loadcnt_dscnt 0x102
	v_lshl_add_u64 v[20:21], v[86:87], 2, s[22:23]
	;; [unrolled: 2-line block ×3, first 2 shown]
	v_lshl_add_u64 v[24:25], v[92:93], 2, s[22:23]
	v_lshl_add_u64 v[26:27], v[96:97], 2, s[22:23]
	;; [unrolled: 1-line block ×7, first 2 shown]
	s_clause 0x14
	flat_store_b32 v[90:91], v34
	flat_store_b32 v[94:95], v35
	;; [unrolled: 1-line block ×21, first 2 shown]
.LBB84_510:
	s_sendmsg sendmsg(MSG_DEALLOC_VGPRS)
	s_endpgm
	.section	.rodata,"a",@progbits
	.p2align	6, 0x0
	.amdhsa_kernel _ZN9rocsolver6v33100L18trti2_kernel_smallILi21EfPKPfEEv13rocblas_fill_17rocblas_diagonal_T1_iil
		.amdhsa_group_segment_fixed_size 180
		.amdhsa_private_segment_fixed_size 0
		.amdhsa_kernarg_size 32
		.amdhsa_user_sgpr_count 2
		.amdhsa_user_sgpr_dispatch_ptr 0
		.amdhsa_user_sgpr_queue_ptr 0
		.amdhsa_user_sgpr_kernarg_segment_ptr 1
		.amdhsa_user_sgpr_dispatch_id 0
		.amdhsa_user_sgpr_kernarg_preload_length 0
		.amdhsa_user_sgpr_kernarg_preload_offset 0
		.amdhsa_user_sgpr_private_segment_size 0
		.amdhsa_wavefront_size32 1
		.amdhsa_uses_dynamic_stack 0
		.amdhsa_enable_private_segment 0
		.amdhsa_system_sgpr_workgroup_id_x 1
		.amdhsa_system_sgpr_workgroup_id_y 0
		.amdhsa_system_sgpr_workgroup_id_z 0
		.amdhsa_system_sgpr_workgroup_info 0
		.amdhsa_system_vgpr_workitem_id 0
		.amdhsa_next_free_vgpr 123
		.amdhsa_next_free_sgpr 28
		.amdhsa_named_barrier_count 0
		.amdhsa_reserve_vcc 1
		.amdhsa_float_round_mode_32 0
		.amdhsa_float_round_mode_16_64 0
		.amdhsa_float_denorm_mode_32 3
		.amdhsa_float_denorm_mode_16_64 3
		.amdhsa_fp16_overflow 0
		.amdhsa_memory_ordered 1
		.amdhsa_forward_progress 1
		.amdhsa_inst_pref_size 243
		.amdhsa_round_robin_scheduling 0
		.amdhsa_exception_fp_ieee_invalid_op 0
		.amdhsa_exception_fp_denorm_src 0
		.amdhsa_exception_fp_ieee_div_zero 0
		.amdhsa_exception_fp_ieee_overflow 0
		.amdhsa_exception_fp_ieee_underflow 0
		.amdhsa_exception_fp_ieee_inexact 0
		.amdhsa_exception_int_div_zero 0
	.end_amdhsa_kernel
	.section	.text._ZN9rocsolver6v33100L18trti2_kernel_smallILi21EfPKPfEEv13rocblas_fill_17rocblas_diagonal_T1_iil,"axG",@progbits,_ZN9rocsolver6v33100L18trti2_kernel_smallILi21EfPKPfEEv13rocblas_fill_17rocblas_diagonal_T1_iil,comdat
.Lfunc_end84:
	.size	_ZN9rocsolver6v33100L18trti2_kernel_smallILi21EfPKPfEEv13rocblas_fill_17rocblas_diagonal_T1_iil, .Lfunc_end84-_ZN9rocsolver6v33100L18trti2_kernel_smallILi21EfPKPfEEv13rocblas_fill_17rocblas_diagonal_T1_iil
                                        ; -- End function
	.set _ZN9rocsolver6v33100L18trti2_kernel_smallILi21EfPKPfEEv13rocblas_fill_17rocblas_diagonal_T1_iil.num_vgpr, 123
	.set _ZN9rocsolver6v33100L18trti2_kernel_smallILi21EfPKPfEEv13rocblas_fill_17rocblas_diagonal_T1_iil.num_agpr, 0
	.set _ZN9rocsolver6v33100L18trti2_kernel_smallILi21EfPKPfEEv13rocblas_fill_17rocblas_diagonal_T1_iil.numbered_sgpr, 28
	.set _ZN9rocsolver6v33100L18trti2_kernel_smallILi21EfPKPfEEv13rocblas_fill_17rocblas_diagonal_T1_iil.num_named_barrier, 0
	.set _ZN9rocsolver6v33100L18trti2_kernel_smallILi21EfPKPfEEv13rocblas_fill_17rocblas_diagonal_T1_iil.private_seg_size, 0
	.set _ZN9rocsolver6v33100L18trti2_kernel_smallILi21EfPKPfEEv13rocblas_fill_17rocblas_diagonal_T1_iil.uses_vcc, 1
	.set _ZN9rocsolver6v33100L18trti2_kernel_smallILi21EfPKPfEEv13rocblas_fill_17rocblas_diagonal_T1_iil.uses_flat_scratch, 1
	.set _ZN9rocsolver6v33100L18trti2_kernel_smallILi21EfPKPfEEv13rocblas_fill_17rocblas_diagonal_T1_iil.has_dyn_sized_stack, 0
	.set _ZN9rocsolver6v33100L18trti2_kernel_smallILi21EfPKPfEEv13rocblas_fill_17rocblas_diagonal_T1_iil.has_recursion, 0
	.set _ZN9rocsolver6v33100L18trti2_kernel_smallILi21EfPKPfEEv13rocblas_fill_17rocblas_diagonal_T1_iil.has_indirect_call, 0
	.section	.AMDGPU.csdata,"",@progbits
; Kernel info:
; codeLenInByte = 31004
; TotalNumSgprs: 30
; NumVgprs: 123
; ScratchSize: 0
; MemoryBound: 0
; FloatMode: 240
; IeeeMode: 1
; LDSByteSize: 180 bytes/workgroup (compile time only)
; SGPRBlocks: 0
; VGPRBlocks: 7
; NumSGPRsForWavesPerEU: 30
; NumVGPRsForWavesPerEU: 123
; NamedBarCnt: 0
; Occupancy: 8
; WaveLimiterHint : 1
; COMPUTE_PGM_RSRC2:SCRATCH_EN: 0
; COMPUTE_PGM_RSRC2:USER_SGPR: 2
; COMPUTE_PGM_RSRC2:TRAP_HANDLER: 0
; COMPUTE_PGM_RSRC2:TGID_X_EN: 1
; COMPUTE_PGM_RSRC2:TGID_Y_EN: 0
; COMPUTE_PGM_RSRC2:TGID_Z_EN: 0
; COMPUTE_PGM_RSRC2:TIDIG_COMP_CNT: 0
	.section	.text._ZN9rocsolver6v33100L18trti2_kernel_smallILi22EfPKPfEEv13rocblas_fill_17rocblas_diagonal_T1_iil,"axG",@progbits,_ZN9rocsolver6v33100L18trti2_kernel_smallILi22EfPKPfEEv13rocblas_fill_17rocblas_diagonal_T1_iil,comdat
	.globl	_ZN9rocsolver6v33100L18trti2_kernel_smallILi22EfPKPfEEv13rocblas_fill_17rocblas_diagonal_T1_iil ; -- Begin function _ZN9rocsolver6v33100L18trti2_kernel_smallILi22EfPKPfEEv13rocblas_fill_17rocblas_diagonal_T1_iil
	.p2align	8
	.type	_ZN9rocsolver6v33100L18trti2_kernel_smallILi22EfPKPfEEv13rocblas_fill_17rocblas_diagonal_T1_iil,@function
_ZN9rocsolver6v33100L18trti2_kernel_smallILi22EfPKPfEEv13rocblas_fill_17rocblas_diagonal_T1_iil: ; @_ZN9rocsolver6v33100L18trti2_kernel_smallILi22EfPKPfEEv13rocblas_fill_17rocblas_diagonal_T1_iil
; %bb.0:
	s_mov_b32 s2, exec_lo
	v_cmpx_gt_u32_e32 22, v0
	s_cbranch_execz .LBB85_536
; %bb.1:
	s_clause 0x1
	s_load_b64 s[2:3], s[0:1], 0x10
	s_load_b128 s[24:27], s[0:1], 0x0
	s_wait_xcnt 0x0
	s_bfe_u32 s0, ttmp6, 0x4000c
	s_and_b32 s1, ttmp6, 15
	s_add_co_i32 s0, s0, 1
	s_getreg_b32 s4, hwreg(HW_REG_IB_STS2, 6, 4)
	s_mul_i32 s0, ttmp9, s0
	s_delay_alu instid0(SALU_CYCLE_1)
	s_add_co_i32 s0, s1, s0
	s_wait_kmcnt 0x0
	v_add3_u32 v66, s3, s3, v0
	s_ashr_i32 s1, s2, 31
	s_cmp_eq_u32 s4, 0
	s_cselect_b32 s4, ttmp9, s0
	s_delay_alu instid0(VALU_DEP_1)
	v_add_nc_u32_e32 v68, s3, v66
	s_ashr_i32 s5, s4, 31
	s_mov_b32 s0, s2
	s_lshl_b64 s[4:5], s[4:5], 3
	s_lshl_b64 s[0:1], s[0:1], 2
	v_add_nc_u32_e32 v70, s3, v68
	s_add_nc_u64 s[4:5], s[26:27], s[4:5]
	s_load_b64 s[4:5], s[4:5], 0x0
	s_delay_alu instid0(VALU_DEP_1) | instskip(NEXT) | instid1(VALU_DEP_1)
	v_add_nc_u32_e32 v72, s3, v70
	v_add_nc_u32_e32 v74, s3, v72
	s_delay_alu instid0(VALU_DEP_1) | instskip(NEXT) | instid1(VALU_DEP_1)
	v_add_nc_u32_e32 v76, s3, v74
	v_add_nc_u32_e32 v78, s3, v76
	s_wait_kmcnt 0x0
	s_add_nc_u64 s[22:23], s[4:5], s[0:1]
	s_mov_b32 s0, s3
	s_delay_alu instid0(VALU_DEP_1) | instskip(SKIP_3) | instid1(VALU_DEP_1)
	v_add_nc_u32_e32 v80, s3, v78
	s_ashr_i32 s1, s3, 31
	s_cmp_lg_u32 s25, 0x84
	s_cselect_b32 s26, -1, 0
	v_add_nc_u32_e32 v82, s3, v80
	s_cmp_eq_u32 s25, 0x84
	s_delay_alu instid0(VALU_DEP_1) | instskip(NEXT) | instid1(VALU_DEP_1)
	v_add_nc_u32_e32 v84, s3, v82
	v_add_nc_u32_e32 v86, s3, v84
	s_delay_alu instid0(VALU_DEP_1) | instskip(NEXT) | instid1(VALU_DEP_1)
	v_add_nc_u32_e32 v88, s3, v86
	v_dual_mov_b32 v1, 0 :: v_dual_add_nc_u32 v90, s3, v88
	s_delay_alu instid0(VALU_DEP_1) | instskip(NEXT) | instid1(VALU_DEP_1)
	v_dual_add_nc_u32 v94, s3, v90 :: v_dual_lshlrev_b32 v34, 2, v0
	v_dual_mov_b32 v35, v1 :: v_dual_add_nc_u32 v98, s3, v94
	s_delay_alu instid0(VALU_DEP_1) | instskip(NEXT) | instid1(VALU_DEP_2)
	v_add_nc_u64_e32 v[92:93], s[22:23], v[34:35]
	v_dual_mov_b32 v35, -1.0 :: v_dual_add_nc_u32 v100, s3, v98
	s_delay_alu instid0(VALU_DEP_2) | instskip(NEXT) | instid1(VALU_DEP_2)
	v_lshl_add_u64 v[96:97], s[0:1], 2, v[92:93]
	v_add_nc_u32_e32 v102, s3, v100
	s_clause 0x7
	flat_load_b32 v3, v[96:97]
	flat_load_b32 v4, v66, s[22:23] scale_offset
	flat_load_b32 v5, v68, s[22:23] scale_offset
	;; [unrolled: 1-line block ×7, first 2 shown]
	v_add_nc_u32_e32 v104, s3, v102
	s_clause 0x7
	flat_load_b32 v11, v80, s[22:23] scale_offset
	flat_load_b32 v12, v82, s[22:23] scale_offset
	;; [unrolled: 1-line block ×8, first 2 shown]
	v_cmp_eq_u32_e64 s0, 0, v0
	v_add_nc_u32_e32 v106, s3, v104
	s_delay_alu instid0(VALU_DEP_1)
	v_add_nc_u32_e32 v108, s3, v106
	s_clause 0x5
	flat_load_b32 v2, v0, s[22:23] scale_offset
	flat_load_b32 v19, v100, s[22:23] scale_offset
	;; [unrolled: 1-line block ×6, first 2 shown]
	s_cbranch_scc1 .LBB85_3
; %bb.2:
	v_cmp_eq_u32_e64 s1, 1, v0
	v_cmp_eq_u32_e64 s2, 2, v0
	;; [unrolled: 1-line block ×5, first 2 shown]
	s_wait_loadcnt_dscnt 0x505
	v_cndmask_b32_e64 v24, v2, v3, s1
	v_cmp_eq_u32_e64 s6, 6, v0
	v_cmp_eq_u32_e64 s7, 7, v0
	v_cmp_eq_u32_e64 s8, 8, v0
	v_cmp_eq_u32_e64 s9, 9, v0
	v_cndmask_b32_e64 v24, v24, v4, s2
	v_cmp_eq_u32_e64 s10, 10, v0
	v_cmp_eq_u32_e64 s11, 11, v0
	v_cmp_eq_u32_e64 s12, 12, v0
	v_cmp_eq_u32_e64 s13, 13, v0
	;; [unrolled: 5-line block ×4, first 2 shown]
	v_cndmask_b32_e64 v24, v24, v7, s5
	s_delay_alu instid0(VALU_DEP_1) | instskip(NEXT) | instid1(VALU_DEP_1)
	v_cndmask_b32_e64 v24, v24, v8, s6
	v_cndmask_b32_e64 v24, v24, v9, s7
	s_delay_alu instid0(VALU_DEP_1) | instskip(NEXT) | instid1(VALU_DEP_1)
	v_cndmask_b32_e64 v24, v24, v10, s8
	;; [unrolled: 3-line block ×5, first 2 shown]
	v_cndmask_b32_e64 v24, v24, v17, s15
	s_delay_alu instid0(VALU_DEP_1) | instskip(SKIP_1) | instid1(VALU_DEP_1)
	v_cndmask_b32_e64 v24, v24, v18, s16
	s_wait_loadcnt_dscnt 0x404
	v_cndmask_b32_e64 v24, v24, v19, s17
	s_wait_loadcnt_dscnt 0x303
	s_delay_alu instid0(VALU_DEP_1) | instskip(SKIP_1) | instid1(VALU_DEP_1)
	v_cndmask_b32_e64 v24, v24, v20, s18
	s_wait_loadcnt_dscnt 0x202
	v_cndmask_b32_e64 v24, v24, v21, s19
	s_wait_loadcnt_dscnt 0x101
	s_delay_alu instid0(VALU_DEP_1) | instskip(SKIP_1) | instid1(VALU_DEP_1)
	v_cndmask_b32_e64 v24, v24, v22, s20
	s_wait_loadcnt_dscnt 0x0
	v_cndmask_b32_e64 v24, v24, v23, s21
	s_delay_alu instid0(VALU_DEP_1) | instskip(SKIP_1) | instid1(VALU_DEP_2)
	v_div_scale_f32 v25, null, v24, v24, 1.0
	v_div_scale_f32 v28, vcc_lo, 1.0, v24, 1.0
	v_rcp_f32_e32 v26, v25
	v_nop
	s_delay_alu instid0(TRANS32_DEP_1) | instskip(NEXT) | instid1(VALU_DEP_1)
	v_fma_f32 v27, -v25, v26, 1.0
	v_fmac_f32_e32 v26, v27, v26
	s_delay_alu instid0(VALU_DEP_1) | instskip(NEXT) | instid1(VALU_DEP_1)
	v_mul_f32_e32 v27, v28, v26
	v_fma_f32 v29, -v25, v27, v28
	s_delay_alu instid0(VALU_DEP_1) | instskip(NEXT) | instid1(VALU_DEP_1)
	v_fmac_f32_e32 v27, v29, v26
	v_fma_f32 v25, -v25, v27, v28
	s_delay_alu instid0(VALU_DEP_1) | instskip(NEXT) | instid1(VALU_DEP_1)
	v_div_fmas_f32 v25, v25, v26, v27
	v_div_fixup_f32 v24, v25, v24, 1.0
	s_delay_alu instid0(VALU_DEP_1)
	v_dual_cndmask_b32 v23, v23, v24, s21 :: v_dual_cndmask_b32 v22, v22, v24, s20
	v_dual_cndmask_b32 v21, v21, v24, s19 :: v_dual_cndmask_b32 v20, v20, v24, s18
	;; [unrolled: 1-line block ×11, first 2 shown]
	v_xor_b32_e32 v35, 0x80000000, v24
.LBB85_3:
	v_dual_ashrrev_i32 v67, 31, v66 :: v_dual_ashrrev_i32 v69, 31, v68
	v_dual_ashrrev_i32 v71, 31, v70 :: v_dual_ashrrev_i32 v73, 31, v72
	v_dual_ashrrev_i32 v75, 31, v74 :: v_dual_ashrrev_i32 v77, 31, v76
	v_dual_ashrrev_i32 v79, 31, v78 :: v_dual_ashrrev_i32 v81, 31, v80
	v_dual_ashrrev_i32 v83, 31, v82 :: v_dual_ashrrev_i32 v85, 31, v84
	v_dual_ashrrev_i32 v87, 31, v86 :: v_dual_ashrrev_i32 v89, 31, v88
	v_dual_ashrrev_i32 v91, 31, v90 :: v_dual_ashrrev_i32 v101, 31, v100
	v_dual_ashrrev_i32 v95, 31, v94 :: v_dual_ashrrev_i32 v105, 31, v104
	v_dual_ashrrev_i32 v99, 31, v98 :: v_dual_ashrrev_i32 v109, 31, v108
	v_ashrrev_i32_e32 v103, 31, v102
	v_ashrrev_i32_e32 v107, 31, v106
	v_add_nc_u32_e32 v113, 0x60, v34
	s_cmp_eq_u32 s24, 0x79
	ds_store_b32 v34, v35
	s_cbranch_scc1 .LBB85_7
; %bb.4:
	s_wait_loadcnt_dscnt 0x1
	v_mov_b64_e32 v[64:65], v[32:33]
	v_mov_b64_e32 v[62:63], v[30:31]
	v_mov_b64_e32 v[60:61], v[28:29]
	v_mov_b64_e32 v[58:59], v[26:27]
	v_mov_b64_e32 v[56:57], v[24:25]
	v_mov_b64_e32 v[54:55], v[22:23]
	v_mov_b64_e32 v[52:53], v[20:21]
	v_mov_b64_e32 v[50:51], v[18:19]
	v_mov_b64_e32 v[48:49], v[16:17]
	v_mov_b64_e32 v[46:47], v[14:15]
	v_mov_b64_e32 v[44:45], v[12:13]
	v_mov_b64_e32 v[42:43], v[10:11]
	v_mov_b64_e32 v[40:41], v[8:9]
	v_mov_b64_e32 v[38:39], v[6:7]
	v_mov_b64_e32 v[36:37], v[4:5]
	v_mov_b64_e32 v[34:35], v[2:3]
	v_cmp_eq_u32_e64 s0, 21, v0
	ds_store_b32 v113, v22
	s_wait_dscnt 0x0
	s_barrier_signal -1
	s_barrier_wait -1
	s_and_saveexec_b32 s1, s0
	s_cbranch_execz .LBB85_11
; %bb.5:
	s_and_b32 vcc_lo, exec_lo, s26
	s_cbranch_vccz .LBB85_8
; %bb.6:
	v_cmp_eq_u32_e32 vcc_lo, 1, v0
	ds_load_b32 v35, v113
	v_cndmask_b32_e32 v34, v2, v3, vcc_lo
	v_cmp_eq_u32_e32 vcc_lo, 2, v0
	s_delay_alu instid0(VALU_DEP_2) | instskip(SKIP_1) | instid1(VALU_DEP_2)
	v_cndmask_b32_e32 v34, v34, v4, vcc_lo
	v_cmp_eq_u32_e32 vcc_lo, 3, v0
	v_cndmask_b32_e32 v34, v34, v5, vcc_lo
	v_cmp_eq_u32_e32 vcc_lo, 4, v0
	s_delay_alu instid0(VALU_DEP_2) | instskip(SKIP_1) | instid1(VALU_DEP_2)
	v_cndmask_b32_e32 v34, v34, v6, vcc_lo
	v_cmp_eq_u32_e32 vcc_lo, 5, v0
	;; [unrolled: 5-line block ×10, first 2 shown]
	v_cndmask_b32_e32 v34, v34, v23, vcc_lo
	s_wait_dscnt 0x0
	s_delay_alu instid0(VALU_DEP_1)
	v_mul_f32_e32 v54, v34, v35
	s_cbranch_execz .LBB85_9
	s_branch .LBB85_10
.LBB85_7:
                                        ; implicit-def: $vgpr34_vgpr35_vgpr36_vgpr37_vgpr38_vgpr39_vgpr40_vgpr41_vgpr42_vgpr43_vgpr44_vgpr45_vgpr46_vgpr47_vgpr48_vgpr49_vgpr50_vgpr51_vgpr52_vgpr53_vgpr54_vgpr55_vgpr56_vgpr57_vgpr58_vgpr59_vgpr60_vgpr61_vgpr62_vgpr63_vgpr64_vgpr65
	s_cbranch_execnz .LBB85_322
	s_branch .LBB85_535
.LBB85_8:
                                        ; implicit-def: $vgpr54
.LBB85_9:
	ds_load_b32 v54, v113
.LBB85_10:
	v_dual_mov_b32 v35, 0 :: v_dual_mov_b32 v34, v2
	v_dual_mov_b32 v37, v5 :: v_dual_mov_b32 v38, v6
	;; [unrolled: 1-line block ×3, first 2 shown]
	ds_load_b32 v55, v35 offset:80
	v_dual_mov_b32 v35, v3 :: v_dual_mov_b32 v36, v4
	v_dual_mov_b32 v41, v9 :: v_dual_mov_b32 v42, v10
	;; [unrolled: 1-line block ×7, first 2 shown]
	s_wait_dscnt 0x0
	v_dual_mov_b32 v53, v21 :: v_dual_mul_f32 v54, v54, v55
	v_mov_b32_e32 v55, v23
.LBB85_11:
	s_or_b32 exec_lo, exec_lo, s1
	v_cmp_lt_u32_e64 s1, 19, v0
	ds_store_b32 v113, v53
	s_wait_dscnt 0x0
	s_barrier_signal -1
	s_barrier_wait -1
	s_and_saveexec_b32 s2, s1
	s_cbranch_execz .LBB85_17
; %bb.12:
	s_and_not1_b32 vcc_lo, exec_lo, s26
	s_cbranch_vccnz .LBB85_14
; %bb.13:
	v_cmp_eq_u32_e32 vcc_lo, 1, v0
	ds_load_b32 v57, v113
	v_cndmask_b32_e32 v56, v34, v35, vcc_lo
	v_cmp_eq_u32_e32 vcc_lo, 2, v0
	s_delay_alu instid0(VALU_DEP_2) | instskip(SKIP_1) | instid1(VALU_DEP_2)
	v_cndmask_b32_e32 v56, v56, v36, vcc_lo
	v_cmp_eq_u32_e32 vcc_lo, 3, v0
	v_cndmask_b32_e32 v56, v56, v37, vcc_lo
	v_cmp_eq_u32_e32 vcc_lo, 4, v0
	s_delay_alu instid0(VALU_DEP_2) | instskip(SKIP_1) | instid1(VALU_DEP_2)
	v_cndmask_b32_e32 v56, v56, v38, vcc_lo
	v_cmp_eq_u32_e32 vcc_lo, 5, v0
	;; [unrolled: 5-line block ×10, first 2 shown]
	v_cndmask_b32_e32 v53, v53, v55, vcc_lo
	s_wait_dscnt 0x0
	s_delay_alu instid0(VALU_DEP_1)
	v_mul_f32_e32 v53, v53, v57
	s_cbranch_execz .LBB85_15
	s_branch .LBB85_16
.LBB85_14:
                                        ; implicit-def: $vgpr53
.LBB85_15:
	ds_load_b32 v53, v113
.LBB85_16:
	v_mov_b32_e32 v56, 0
	ds_load_2addr_b32 v[56:57], v56 offset0:19 offset1:44
	s_wait_dscnt 0x0
	v_fma_f32 v57, v54, v57, v53
	s_delay_alu instid0(VALU_DEP_1) | instskip(NEXT) | instid1(VALU_DEP_1)
	v_cndmask_b32_e64 v53, v53, v57, s0
	v_mul_f32_e32 v53, v53, v56
.LBB85_17:
	s_or_b32 exec_lo, exec_lo, s2
	v_cmp_lt_u32_e64 s0, 18, v0
	ds_store_b32 v113, v52
	s_wait_dscnt 0x0
	s_barrier_signal -1
	s_barrier_wait -1
	s_and_saveexec_b32 s4, s0
	s_cbranch_execz .LBB85_33
; %bb.18:
	s_and_not1_b32 vcc_lo, exec_lo, s26
	s_cbranch_vccnz .LBB85_20
; %bb.19:
	v_cmp_eq_u32_e32 vcc_lo, 1, v0
	v_cmp_eq_u32_e64 s2, 2, v0
	ds_load_b32 v111, v113
	v_cndmask_b32_e32 v110, v34, v35, vcc_lo
	v_cmp_eq_u32_e32 vcc_lo, 3, v0
	s_delay_alu instid0(VALU_DEP_2) | instskip(SKIP_1) | instid1(VALU_DEP_2)
	v_cndmask_b32_e64 v110, v110, v36, s2
	v_cmp_eq_u32_e64 s2, 4, v0
	v_cndmask_b32_e32 v110, v110, v37, vcc_lo
	v_cmp_eq_u32_e32 vcc_lo, 5, v0
	s_delay_alu instid0(VALU_DEP_2) | instskip(SKIP_1) | instid1(VALU_DEP_2)
	v_cndmask_b32_e64 v110, v110, v38, s2
	v_cmp_eq_u32_e64 s2, 6, v0
	;; [unrolled: 5-line block ×9, first 2 shown]
	v_cndmask_b32_e32 v110, v110, v53, vcc_lo
	v_cmp_eq_u32_e32 vcc_lo, 21, v0
	s_delay_alu instid0(VALU_DEP_2) | instskip(NEXT) | instid1(VALU_DEP_1)
	v_cndmask_b32_e64 v110, v110, v54, s2
	v_cndmask_b32_e32 v110, v110, v55, vcc_lo
	s_wait_dscnt 0x0
	s_delay_alu instid0(VALU_DEP_1)
	v_mul_f32_e32 v114, v110, v111
	s_cbranch_execz .LBB85_21
	s_branch .LBB85_22
.LBB85_20:
                                        ; implicit-def: $vgpr114
.LBB85_21:
	ds_load_b32 v114, v113
.LBB85_22:
	s_and_saveexec_b32 s5, s1
	s_cbranch_execz .LBB85_32
; %bb.23:
	v_subrev_nc_u32_e32 v112, 20, v0
	v_mov_b32_e32 v110, 19
	v_subrev_nc_u32_e32 v111, 19, v0
	s_mov_b32 s1, exec_lo
	s_delay_alu instid0(VALU_DEP_3)
	v_cmpx_lt_u32_e32 6, v112
	s_cbranch_execz .LBB85_27
; %bb.24:
	s_delay_alu instid0(VALU_DEP_2) | instskip(SKIP_3) | instid1(VALU_DEP_1)
	v_and_b32_e32 v110, -8, v111
	s_mov_b32 s6, 0
	s_mov_b64 s[2:3], 26
	s_movk_i32 s7, 0xac
	v_sub_nc_u32_e32 v112, 0, v110
.LBB85_25:                              ; =>This Inner Loop Header: Depth=1
	s_add_co_i32 m0, s2, -7
	v_movrels_b32_e32 v115, v34
	v_mov_b32_e32 v110, s7
	s_add_co_i32 m0, s2, -6
	s_add_co_i32 s7, s7, 32
	v_movrels_b32_e32 v124, v34
	ds_load_2addr_b32 v[116:117], v110 offset1:1
	ds_load_2addr_b32 v[118:119], v110 offset0:2 offset1:3
	s_add_co_i32 m0, s2, -5
	s_wait_dscnt 0x1
	v_fmac_f32_e32 v114, v115, v116
	ds_load_2addr_b32 v[120:121], v110 offset0:4 offset1:5
	ds_load_2addr_b32 v[122:123], v110 offset0:6 offset1:7
	v_movrels_b32_e32 v110, v34
	s_add_co_i32 m0, s2, -4
	v_fmac_f32_e32 v114, v124, v117
	v_movrels_b32_e32 v115, v34
	s_add_co_i32 m0, s2, -3
	s_wait_dscnt 0x2
	s_delay_alu instid0(VALU_DEP_2) | instskip(SKIP_2) | instid1(VALU_DEP_2)
	v_fmac_f32_e32 v114, v110, v118
	v_movrels_b32_e32 v110, v34
	s_add_co_i32 m0, s2, -2
	v_fmac_f32_e32 v114, v115, v119
	v_movrels_b32_e32 v115, v34
	s_add_co_i32 m0, s2, -1
	s_wait_dscnt 0x1
	s_delay_alu instid0(VALU_DEP_2)
	v_fmac_f32_e32 v114, v110, v120
	v_movrels_b32_e32 v110, v34
	s_mov_b32 m0, s2
	s_add_nc_u64 s[2:3], s[2:3], 8
	v_movrels_b32_e32 v116, v34
	v_dual_fmac_f32 v114, v115, v121 :: v_dual_add_nc_u32 v115, s2, v112
	s_add_co_i32 s8, s2, -7
	s_wait_dscnt 0x0
	s_delay_alu instid0(VALU_DEP_1) | instskip(NEXT) | instid1(VALU_DEP_2)
	v_fmac_f32_e32 v114, v110, v122
	v_cmp_eq_u32_e32 vcc_lo, 26, v115
	s_delay_alu instid0(VALU_DEP_2) | instskip(SKIP_1) | instid1(SALU_CYCLE_1)
	v_dual_mov_b32 v110, s8 :: v_dual_fmac_f32 v114, v116, v123
	s_or_b32 s6, vcc_lo, s6
	s_and_not1_b32 exec_lo, exec_lo, s6
	s_cbranch_execnz .LBB85_25
; %bb.26:
	s_or_b32 exec_lo, exec_lo, s6
.LBB85_27:
	s_delay_alu instid0(SALU_CYCLE_1) | instskip(SKIP_3) | instid1(VALU_DEP_1)
	s_or_b32 exec_lo, exec_lo, s1
	v_and_b32_e32 v56, 7, v111
	s_mov_b32 s2, 0
	s_mov_b32 s1, exec_lo
	v_cmpx_ne_u32_e32 0, v56
	s_cbranch_execz .LBB85_31
; %bb.28:
	v_lshl_add_u32 v57, v110, 2, 0x60
	v_mov_b32_e32 v111, 0
.LBB85_29:                              ; =>This Inner Loop Header: Depth=1
	v_cmp_eq_u32_e32 vcc_lo, 1, v110
	ds_load_b32 v59, v57
	v_dual_add_nc_u32 v56, -1, v56 :: v_dual_add_nc_u32 v57, 4, v57
	v_cndmask_b32_e32 v58, v34, v35, vcc_lo
	v_cmp_eq_u32_e32 vcc_lo, 2, v110
	s_delay_alu instid0(VALU_DEP_2) | instskip(SKIP_1) | instid1(VALU_DEP_2)
	v_cndmask_b32_e32 v58, v58, v36, vcc_lo
	v_cmp_eq_u32_e32 vcc_lo, 3, v110
	v_cndmask_b32_e32 v58, v58, v37, vcc_lo
	v_cmp_eq_u32_e32 vcc_lo, 4, v110
	s_delay_alu instid0(VALU_DEP_2) | instskip(SKIP_1) | instid1(VALU_DEP_2)
	v_cndmask_b32_e32 v58, v58, v38, vcc_lo
	v_cmp_eq_u32_e32 vcc_lo, 5, v110
	v_cndmask_b32_e32 v58, v58, v39, vcc_lo
	v_cmp_eq_u32_e32 vcc_lo, 6, v110
	s_delay_alu instid0(VALU_DEP_2) | instskip(SKIP_1) | instid1(VALU_DEP_2)
	v_cndmask_b32_e32 v58, v58, v40, vcc_lo
	v_cmp_eq_u32_e32 vcc_lo, 7, v110
	v_cndmask_b32_e32 v58, v58, v41, vcc_lo
	v_cmp_eq_u32_e32 vcc_lo, 8, v110
	s_delay_alu instid0(VALU_DEP_2) | instskip(SKIP_1) | instid1(VALU_DEP_2)
	v_cndmask_b32_e32 v58, v58, v42, vcc_lo
	v_cmp_eq_u32_e32 vcc_lo, 9, v110
	v_cndmask_b32_e32 v58, v58, v43, vcc_lo
	v_cmp_eq_u32_e32 vcc_lo, 10, v110
	s_delay_alu instid0(VALU_DEP_2) | instskip(SKIP_1) | instid1(VALU_DEP_2)
	v_cndmask_b32_e32 v58, v58, v44, vcc_lo
	v_cmp_eq_u32_e32 vcc_lo, 11, v110
	v_cndmask_b32_e32 v58, v58, v45, vcc_lo
	v_cmp_eq_u32_e32 vcc_lo, 12, v110
	s_delay_alu instid0(VALU_DEP_2) | instskip(SKIP_1) | instid1(VALU_DEP_2)
	v_cndmask_b32_e32 v58, v58, v46, vcc_lo
	v_cmp_eq_u32_e32 vcc_lo, 13, v110
	v_cndmask_b32_e32 v58, v58, v47, vcc_lo
	v_cmp_eq_u32_e32 vcc_lo, 14, v110
	s_delay_alu instid0(VALU_DEP_2) | instskip(SKIP_1) | instid1(VALU_DEP_2)
	v_cndmask_b32_e32 v58, v58, v48, vcc_lo
	v_cmp_eq_u32_e32 vcc_lo, 15, v110
	v_cndmask_b32_e32 v58, v58, v49, vcc_lo
	v_cmp_eq_u32_e32 vcc_lo, 16, v110
	s_delay_alu instid0(VALU_DEP_2) | instskip(SKIP_1) | instid1(VALU_DEP_2)
	v_cndmask_b32_e32 v58, v58, v50, vcc_lo
	v_cmp_eq_u32_e32 vcc_lo, 17, v110
	v_cndmask_b32_e32 v58, v58, v51, vcc_lo
	v_cmp_eq_u32_e32 vcc_lo, 18, v110
	s_delay_alu instid0(VALU_DEP_2) | instskip(SKIP_1) | instid1(VALU_DEP_2)
	v_cndmask_b32_e32 v58, v58, v52, vcc_lo
	v_cmp_eq_u32_e32 vcc_lo, 19, v110
	v_cndmask_b32_e32 v58, v58, v53, vcc_lo
	v_cmp_eq_u32_e32 vcc_lo, 20, v110
	s_delay_alu instid0(VALU_DEP_2) | instskip(SKIP_2) | instid1(VALU_DEP_3)
	v_cndmask_b32_e32 v58, v58, v54, vcc_lo
	v_cmp_eq_u32_e32 vcc_lo, 21, v110
	v_add_nc_u64_e32 v[110:111], 1, v[110:111]
	v_cndmask_b32_e32 v58, v58, v55, vcc_lo
	v_cmp_eq_u32_e32 vcc_lo, 0, v56
	s_wait_dscnt 0x0
	s_delay_alu instid0(VALU_DEP_2) | instskip(SKIP_1) | instid1(SALU_CYCLE_1)
	v_fmac_f32_e32 v114, v58, v59
	s_or_b32 s2, vcc_lo, s2
	s_and_not1_b32 exec_lo, exec_lo, s2
	s_cbranch_execnz .LBB85_29
; %bb.30:
	s_or_b32 exec_lo, exec_lo, s2
.LBB85_31:
	s_delay_alu instid0(SALU_CYCLE_1)
	s_or_b32 exec_lo, exec_lo, s1
.LBB85_32:
	s_delay_alu instid0(SALU_CYCLE_1)
	s_or_b32 exec_lo, exec_lo, s5
	v_mov_b32_e32 v52, 0
	ds_load_b32 v52, v52 offset:72
	s_wait_dscnt 0x0
	v_mul_f32_e32 v52, v114, v52
.LBB85_33:
	s_or_b32 exec_lo, exec_lo, s4
	v_cmp_lt_u32_e64 s1, 17, v0
	ds_store_b32 v113, v51
	s_wait_dscnt 0x0
	s_barrier_signal -1
	s_barrier_wait -1
	s_and_saveexec_b32 s4, s1
	s_cbranch_execz .LBB85_49
; %bb.34:
	s_and_not1_b32 vcc_lo, exec_lo, s26
	s_cbranch_vccnz .LBB85_36
; %bb.35:
	v_cmp_eq_u32_e32 vcc_lo, 1, v0
	ds_load_b32 v111, v113
	v_cndmask_b32_e32 v110, v34, v35, vcc_lo
	v_cmp_eq_u32_e32 vcc_lo, 2, v0
	s_delay_alu instid0(VALU_DEP_2) | instskip(SKIP_1) | instid1(VALU_DEP_2)
	v_cndmask_b32_e32 v110, v110, v36, vcc_lo
	v_cmp_eq_u32_e32 vcc_lo, 3, v0
	v_cndmask_b32_e32 v110, v110, v37, vcc_lo
	v_cmp_eq_u32_e32 vcc_lo, 4, v0
	s_delay_alu instid0(VALU_DEP_2) | instskip(SKIP_1) | instid1(VALU_DEP_2)
	v_cndmask_b32_e32 v110, v110, v38, vcc_lo
	v_cmp_eq_u32_e32 vcc_lo, 5, v0
	;; [unrolled: 5-line block ×10, first 2 shown]
	v_cndmask_b32_e32 v110, v110, v55, vcc_lo
	s_wait_dscnt 0x0
	s_delay_alu instid0(VALU_DEP_1)
	v_mul_f32_e32 v114, v110, v111
	s_cbranch_execz .LBB85_37
	s_branch .LBB85_38
.LBB85_36:
                                        ; implicit-def: $vgpr114
.LBB85_37:
	ds_load_b32 v114, v113
.LBB85_38:
	s_and_saveexec_b32 s5, s0
	s_cbranch_execz .LBB85_48
; %bb.39:
	v_subrev_nc_u32_e32 v112, 19, v0
	v_mov_b32_e32 v110, 18
	v_subrev_nc_u32_e32 v111, 18, v0
	s_mov_b32 s0, exec_lo
	s_delay_alu instid0(VALU_DEP_3)
	v_cmpx_lt_u32_e32 6, v112
	s_cbranch_execz .LBB85_43
; %bb.40:
	s_delay_alu instid0(VALU_DEP_2) | instskip(SKIP_3) | instid1(VALU_DEP_1)
	v_and_b32_e32 v110, -8, v111
	s_mov_b32 s6, 0
	s_mov_b64 s[2:3], 25
	s_movk_i32 s7, 0xa8
	v_sub_nc_u32_e32 v112, 0, v110
.LBB85_41:                              ; =>This Inner Loop Header: Depth=1
	s_add_co_i32 m0, s2, -7
	v_movrels_b32_e32 v115, v34
	v_mov_b32_e32 v110, s7
	s_add_co_i32 m0, s2, -6
	s_add_co_i32 s7, s7, 32
	v_movrels_b32_e32 v124, v34
	s_add_co_i32 m0, s2, -5
	ds_load_2addr_b64 v[116:119], v110 offset1:1
	ds_load_2addr_b64 v[120:123], v110 offset0:2 offset1:3
	v_movrels_b32_e32 v110, v34
	s_add_co_i32 m0, s2, -4
	s_wait_dscnt 0x1
	v_fmac_f32_e32 v114, v115, v116
	v_movrels_b32_e32 v115, v34
	s_add_co_i32 m0, s2, -3
	s_delay_alu instid0(VALU_DEP_2) | instskip(NEXT) | instid1(VALU_DEP_1)
	v_fmac_f32_e32 v114, v124, v117
	v_fmac_f32_e32 v114, v110, v118
	v_movrels_b32_e32 v110, v34
	s_add_co_i32 m0, s2, -2
	s_delay_alu instid0(VALU_DEP_2) | instskip(SKIP_3) | instid1(VALU_DEP_2)
	v_fmac_f32_e32 v114, v115, v119
	v_movrels_b32_e32 v115, v34
	s_add_co_i32 m0, s2, -1
	s_wait_dscnt 0x0
	v_fmac_f32_e32 v114, v110, v120
	v_movrels_b32_e32 v110, v34
	s_mov_b32 m0, s2
	s_add_nc_u64 s[2:3], s[2:3], 8
	v_movrels_b32_e32 v116, v34
	v_dual_fmac_f32 v114, v115, v121 :: v_dual_add_nc_u32 v115, s2, v112
	s_add_co_i32 s8, s2, -7
	s_delay_alu instid0(VALU_DEP_1) | instskip(NEXT) | instid1(VALU_DEP_2)
	v_fmac_f32_e32 v114, v110, v122
	v_cmp_eq_u32_e32 vcc_lo, 25, v115
	s_delay_alu instid0(VALU_DEP_2) | instskip(SKIP_1) | instid1(SALU_CYCLE_1)
	v_dual_mov_b32 v110, s8 :: v_dual_fmac_f32 v114, v116, v123
	s_or_b32 s6, vcc_lo, s6
	s_and_not1_b32 exec_lo, exec_lo, s6
	s_cbranch_execnz .LBB85_41
; %bb.42:
	s_or_b32 exec_lo, exec_lo, s6
.LBB85_43:
	s_delay_alu instid0(SALU_CYCLE_1) | instskip(SKIP_3) | instid1(VALU_DEP_1)
	s_or_b32 exec_lo, exec_lo, s0
	v_and_b32_e32 v56, 7, v111
	s_mov_b32 s2, 0
	s_mov_b32 s0, exec_lo
	v_cmpx_ne_u32_e32 0, v56
	s_cbranch_execz .LBB85_47
; %bb.44:
	v_lshl_add_u32 v57, v110, 2, 0x60
	v_mov_b32_e32 v111, 0
.LBB85_45:                              ; =>This Inner Loop Header: Depth=1
	v_cmp_eq_u32_e32 vcc_lo, 1, v110
	ds_load_b32 v59, v57
	v_dual_add_nc_u32 v56, -1, v56 :: v_dual_add_nc_u32 v57, 4, v57
	v_cndmask_b32_e32 v58, v34, v35, vcc_lo
	v_cmp_eq_u32_e32 vcc_lo, 2, v110
	s_delay_alu instid0(VALU_DEP_2) | instskip(SKIP_1) | instid1(VALU_DEP_2)
	v_cndmask_b32_e32 v58, v58, v36, vcc_lo
	v_cmp_eq_u32_e32 vcc_lo, 3, v110
	v_cndmask_b32_e32 v58, v58, v37, vcc_lo
	v_cmp_eq_u32_e32 vcc_lo, 4, v110
	s_delay_alu instid0(VALU_DEP_2) | instskip(SKIP_1) | instid1(VALU_DEP_2)
	v_cndmask_b32_e32 v58, v58, v38, vcc_lo
	v_cmp_eq_u32_e32 vcc_lo, 5, v110
	;; [unrolled: 5-line block ×9, first 2 shown]
	v_cndmask_b32_e32 v58, v58, v53, vcc_lo
	v_cmp_eq_u32_e32 vcc_lo, 20, v110
	s_delay_alu instid0(VALU_DEP_2) | instskip(SKIP_2) | instid1(VALU_DEP_3)
	v_cndmask_b32_e32 v58, v58, v54, vcc_lo
	v_cmp_eq_u32_e32 vcc_lo, 21, v110
	v_add_nc_u64_e32 v[110:111], 1, v[110:111]
	v_cndmask_b32_e32 v58, v58, v55, vcc_lo
	v_cmp_eq_u32_e32 vcc_lo, 0, v56
	s_wait_dscnt 0x0
	s_delay_alu instid0(VALU_DEP_2) | instskip(SKIP_1) | instid1(SALU_CYCLE_1)
	v_fmac_f32_e32 v114, v58, v59
	s_or_b32 s2, vcc_lo, s2
	s_and_not1_b32 exec_lo, exec_lo, s2
	s_cbranch_execnz .LBB85_45
; %bb.46:
	s_or_b32 exec_lo, exec_lo, s2
.LBB85_47:
	s_delay_alu instid0(SALU_CYCLE_1)
	s_or_b32 exec_lo, exec_lo, s0
.LBB85_48:
	s_delay_alu instid0(SALU_CYCLE_1)
	s_or_b32 exec_lo, exec_lo, s5
	v_mov_b32_e32 v51, 0
	ds_load_b32 v51, v51 offset:68
	s_wait_dscnt 0x0
	v_mul_f32_e32 v51, v114, v51
.LBB85_49:
	s_or_b32 exec_lo, exec_lo, s4
	v_cmp_lt_u32_e64 s0, 16, v0
	ds_store_b32 v113, v50
	s_wait_dscnt 0x0
	s_barrier_signal -1
	s_barrier_wait -1
	s_and_saveexec_b32 s4, s0
	s_cbranch_execz .LBB85_65
; %bb.50:
	s_and_not1_b32 vcc_lo, exec_lo, s26
	s_cbranch_vccnz .LBB85_52
; %bb.51:
	v_cmp_eq_u32_e32 vcc_lo, 1, v0
	ds_load_b32 v111, v113
	v_cndmask_b32_e32 v110, v34, v35, vcc_lo
	v_cmp_eq_u32_e32 vcc_lo, 2, v0
	s_delay_alu instid0(VALU_DEP_2) | instskip(SKIP_1) | instid1(VALU_DEP_2)
	v_cndmask_b32_e32 v110, v110, v36, vcc_lo
	v_cmp_eq_u32_e32 vcc_lo, 3, v0
	v_cndmask_b32_e32 v110, v110, v37, vcc_lo
	v_cmp_eq_u32_e32 vcc_lo, 4, v0
	s_delay_alu instid0(VALU_DEP_2) | instskip(SKIP_1) | instid1(VALU_DEP_2)
	v_cndmask_b32_e32 v110, v110, v38, vcc_lo
	v_cmp_eq_u32_e32 vcc_lo, 5, v0
	;; [unrolled: 5-line block ×10, first 2 shown]
	v_cndmask_b32_e32 v110, v110, v55, vcc_lo
	s_wait_dscnt 0x0
	s_delay_alu instid0(VALU_DEP_1)
	v_mul_f32_e32 v114, v110, v111
	s_cbranch_execz .LBB85_53
	s_branch .LBB85_54
.LBB85_52:
                                        ; implicit-def: $vgpr114
.LBB85_53:
	ds_load_b32 v114, v113
.LBB85_54:
	s_and_saveexec_b32 s5, s1
	s_cbranch_execz .LBB85_64
; %bb.55:
	v_subrev_nc_u32_e32 v112, 18, v0
	v_mov_b32_e32 v110, 17
	v_subrev_nc_u32_e32 v111, 17, v0
	s_mov_b32 s1, exec_lo
	s_delay_alu instid0(VALU_DEP_3)
	v_cmpx_lt_u32_e32 6, v112
	s_cbranch_execz .LBB85_59
; %bb.56:
	s_delay_alu instid0(VALU_DEP_2) | instskip(SKIP_3) | instid1(VALU_DEP_1)
	v_and_b32_e32 v110, -8, v111
	s_mov_b32 s6, 0
	s_mov_b64 s[2:3], 24
	s_movk_i32 s7, 0xa4
	v_sub_nc_u32_e32 v112, 0, v110
.LBB85_57:                              ; =>This Inner Loop Header: Depth=1
	s_add_co_i32 m0, s2, -7
	v_movrels_b32_e32 v115, v34
	v_mov_b32_e32 v110, s7
	s_add_co_i32 m0, s2, -6
	s_add_co_i32 s7, s7, 32
	v_movrels_b32_e32 v124, v34
	ds_load_2addr_b32 v[116:117], v110 offset1:1
	ds_load_2addr_b32 v[118:119], v110 offset0:2 offset1:3
	s_add_co_i32 m0, s2, -5
	s_wait_dscnt 0x1
	v_fmac_f32_e32 v114, v115, v116
	ds_load_2addr_b32 v[120:121], v110 offset0:4 offset1:5
	ds_load_2addr_b32 v[122:123], v110 offset0:6 offset1:7
	v_movrels_b32_e32 v110, v34
	s_add_co_i32 m0, s2, -4
	v_fmac_f32_e32 v114, v124, v117
	v_movrels_b32_e32 v115, v34
	s_add_co_i32 m0, s2, -3
	s_wait_dscnt 0x2
	s_delay_alu instid0(VALU_DEP_2) | instskip(SKIP_2) | instid1(VALU_DEP_2)
	v_fmac_f32_e32 v114, v110, v118
	v_movrels_b32_e32 v110, v34
	s_add_co_i32 m0, s2, -2
	v_fmac_f32_e32 v114, v115, v119
	v_movrels_b32_e32 v115, v34
	s_add_co_i32 m0, s2, -1
	s_wait_dscnt 0x1
	s_delay_alu instid0(VALU_DEP_2)
	v_fmac_f32_e32 v114, v110, v120
	v_movrels_b32_e32 v110, v34
	s_mov_b32 m0, s2
	s_add_nc_u64 s[2:3], s[2:3], 8
	v_movrels_b32_e32 v116, v34
	v_dual_fmac_f32 v114, v115, v121 :: v_dual_add_nc_u32 v115, s2, v112
	s_add_co_i32 s8, s2, -7
	s_wait_dscnt 0x0
	s_delay_alu instid0(VALU_DEP_1) | instskip(NEXT) | instid1(VALU_DEP_2)
	v_fmac_f32_e32 v114, v110, v122
	v_cmp_eq_u32_e32 vcc_lo, 24, v115
	s_delay_alu instid0(VALU_DEP_2) | instskip(SKIP_1) | instid1(SALU_CYCLE_1)
	v_dual_mov_b32 v110, s8 :: v_dual_fmac_f32 v114, v116, v123
	s_or_b32 s6, vcc_lo, s6
	s_and_not1_b32 exec_lo, exec_lo, s6
	s_cbranch_execnz .LBB85_57
; %bb.58:
	s_or_b32 exec_lo, exec_lo, s6
.LBB85_59:
	s_delay_alu instid0(SALU_CYCLE_1) | instskip(SKIP_3) | instid1(VALU_DEP_1)
	s_or_b32 exec_lo, exec_lo, s1
	v_and_b32_e32 v56, 7, v111
	s_mov_b32 s2, 0
	s_mov_b32 s1, exec_lo
	v_cmpx_ne_u32_e32 0, v56
	s_cbranch_execz .LBB85_63
; %bb.60:
	v_lshl_add_u32 v57, v110, 2, 0x60
	v_mov_b32_e32 v111, 0
.LBB85_61:                              ; =>This Inner Loop Header: Depth=1
	v_cmp_eq_u32_e32 vcc_lo, 1, v110
	ds_load_b32 v59, v57
	v_dual_add_nc_u32 v56, -1, v56 :: v_dual_add_nc_u32 v57, 4, v57
	v_cndmask_b32_e32 v58, v34, v35, vcc_lo
	v_cmp_eq_u32_e32 vcc_lo, 2, v110
	s_delay_alu instid0(VALU_DEP_2) | instskip(SKIP_1) | instid1(VALU_DEP_2)
	v_cndmask_b32_e32 v58, v58, v36, vcc_lo
	v_cmp_eq_u32_e32 vcc_lo, 3, v110
	v_cndmask_b32_e32 v58, v58, v37, vcc_lo
	v_cmp_eq_u32_e32 vcc_lo, 4, v110
	s_delay_alu instid0(VALU_DEP_2) | instskip(SKIP_1) | instid1(VALU_DEP_2)
	v_cndmask_b32_e32 v58, v58, v38, vcc_lo
	v_cmp_eq_u32_e32 vcc_lo, 5, v110
	;; [unrolled: 5-line block ×9, first 2 shown]
	v_cndmask_b32_e32 v58, v58, v53, vcc_lo
	v_cmp_eq_u32_e32 vcc_lo, 20, v110
	s_delay_alu instid0(VALU_DEP_2) | instskip(SKIP_2) | instid1(VALU_DEP_3)
	v_cndmask_b32_e32 v58, v58, v54, vcc_lo
	v_cmp_eq_u32_e32 vcc_lo, 21, v110
	v_add_nc_u64_e32 v[110:111], 1, v[110:111]
	v_cndmask_b32_e32 v58, v58, v55, vcc_lo
	v_cmp_eq_u32_e32 vcc_lo, 0, v56
	s_wait_dscnt 0x0
	s_delay_alu instid0(VALU_DEP_2) | instskip(SKIP_1) | instid1(SALU_CYCLE_1)
	v_fmac_f32_e32 v114, v58, v59
	s_or_b32 s2, vcc_lo, s2
	s_and_not1_b32 exec_lo, exec_lo, s2
	s_cbranch_execnz .LBB85_61
; %bb.62:
	s_or_b32 exec_lo, exec_lo, s2
.LBB85_63:
	s_delay_alu instid0(SALU_CYCLE_1)
	s_or_b32 exec_lo, exec_lo, s1
.LBB85_64:
	s_delay_alu instid0(SALU_CYCLE_1)
	s_or_b32 exec_lo, exec_lo, s5
	v_mov_b32_e32 v50, 0
	ds_load_b32 v50, v50 offset:64
	s_wait_dscnt 0x0
	v_mul_f32_e32 v50, v114, v50
.LBB85_65:
	s_or_b32 exec_lo, exec_lo, s4
	v_cmp_lt_u32_e64 s1, 15, v0
	ds_store_b32 v113, v49
	s_wait_dscnt 0x0
	s_barrier_signal -1
	s_barrier_wait -1
	s_and_saveexec_b32 s4, s1
	s_cbranch_execz .LBB85_81
; %bb.66:
	s_and_not1_b32 vcc_lo, exec_lo, s26
	s_cbranch_vccnz .LBB85_68
; %bb.67:
	v_cmp_eq_u32_e32 vcc_lo, 1, v0
	ds_load_b32 v111, v113
	v_cndmask_b32_e32 v110, v34, v35, vcc_lo
	v_cmp_eq_u32_e32 vcc_lo, 2, v0
	s_delay_alu instid0(VALU_DEP_2) | instskip(SKIP_1) | instid1(VALU_DEP_2)
	v_cndmask_b32_e32 v110, v110, v36, vcc_lo
	v_cmp_eq_u32_e32 vcc_lo, 3, v0
	v_cndmask_b32_e32 v110, v110, v37, vcc_lo
	v_cmp_eq_u32_e32 vcc_lo, 4, v0
	s_delay_alu instid0(VALU_DEP_2) | instskip(SKIP_1) | instid1(VALU_DEP_2)
	v_cndmask_b32_e32 v110, v110, v38, vcc_lo
	v_cmp_eq_u32_e32 vcc_lo, 5, v0
	;; [unrolled: 5-line block ×10, first 2 shown]
	v_cndmask_b32_e32 v110, v110, v55, vcc_lo
	s_wait_dscnt 0x0
	s_delay_alu instid0(VALU_DEP_1)
	v_mul_f32_e32 v114, v110, v111
	s_cbranch_execz .LBB85_69
	s_branch .LBB85_70
.LBB85_68:
                                        ; implicit-def: $vgpr114
.LBB85_69:
	ds_load_b32 v114, v113
.LBB85_70:
	s_and_saveexec_b32 s5, s0
	s_cbranch_execz .LBB85_80
; %bb.71:
	v_subrev_nc_u32_e32 v110, 17, v0
	s_delay_alu instid0(VALU_DEP_1)
	v_cmp_lt_u32_e32 vcc_lo, 6, v110
	v_mov_b32_e32 v110, 16
	s_and_saveexec_b32 s0, vcc_lo
	s_cbranch_execz .LBB85_75
; %bb.72:
	v_and_b32_e32 v110, 24, v0
	s_mov_b32 s6, 0
	s_mov_b64 s[2:3], 23
	s_movk_i32 s7, 0xa0
	s_delay_alu instid0(VALU_DEP_1)
	v_sub_nc_u32_e32 v112, 0, v110
.LBB85_73:                              ; =>This Inner Loop Header: Depth=1
	s_add_co_i32 m0, s2, -7
	v_movrels_b32_e32 v111, v34
	v_mov_b32_e32 v110, s7
	s_add_co_i32 m0, s2, -6
	s_add_co_i32 s7, s7, 32
	v_movrels_b32_e32 v115, v34
	s_add_co_i32 m0, s2, -5
	ds_load_b128 v[116:119], v110
	ds_load_b128 v[120:123], v110 offset:16
	v_movrels_b32_e32 v110, v34
	s_add_co_i32 m0, s2, -4
	s_wait_dscnt 0x1
	v_fmac_f32_e32 v114, v111, v116
	v_movrels_b32_e32 v111, v34
	s_add_co_i32 m0, s2, -3
	s_delay_alu instid0(VALU_DEP_2) | instskip(NEXT) | instid1(VALU_DEP_1)
	v_fmac_f32_e32 v114, v115, v117
	v_fmac_f32_e32 v114, v110, v118
	v_movrels_b32_e32 v110, v34
	s_add_co_i32 m0, s2, -2
	s_delay_alu instid0(VALU_DEP_2) | instskip(SKIP_3) | instid1(VALU_DEP_2)
	v_fmac_f32_e32 v114, v111, v119
	v_movrels_b32_e32 v111, v34
	s_add_co_i32 m0, s2, -1
	s_wait_dscnt 0x0
	v_fmac_f32_e32 v114, v110, v120
	v_movrels_b32_e32 v110, v34
	s_mov_b32 m0, s2
	s_add_nc_u64 s[2:3], s[2:3], 8
	v_movrels_b32_e32 v115, v34
	v_dual_fmac_f32 v114, v111, v121 :: v_dual_add_nc_u32 v111, s2, v112
	s_add_co_i32 s8, s2, -7
	s_delay_alu instid0(VALU_DEP_1) | instskip(NEXT) | instid1(VALU_DEP_2)
	v_fmac_f32_e32 v114, v110, v122
	v_cmp_eq_u32_e32 vcc_lo, 7, v111
	s_delay_alu instid0(VALU_DEP_2) | instskip(SKIP_1) | instid1(SALU_CYCLE_1)
	v_dual_mov_b32 v110, s8 :: v_dual_fmac_f32 v114, v115, v123
	s_or_b32 s6, vcc_lo, s6
	s_and_not1_b32 exec_lo, exec_lo, s6
	s_cbranch_execnz .LBB85_73
; %bb.74:
	s_or_b32 exec_lo, exec_lo, s6
.LBB85_75:
	s_delay_alu instid0(SALU_CYCLE_1) | instskip(SKIP_3) | instid1(VALU_DEP_1)
	s_or_b32 exec_lo, exec_lo, s0
	v_and_b32_e32 v56, 7, v0
	s_mov_b32 s2, 0
	s_mov_b32 s0, exec_lo
	v_cmpx_ne_u32_e32 0, v56
	s_cbranch_execz .LBB85_79
; %bb.76:
	v_lshl_add_u32 v57, v110, 2, 0x60
	v_mov_b32_e32 v111, 0
.LBB85_77:                              ; =>This Inner Loop Header: Depth=1
	v_cmp_eq_u32_e32 vcc_lo, 1, v110
	ds_load_b32 v59, v57
	v_dual_add_nc_u32 v56, -1, v56 :: v_dual_add_nc_u32 v57, 4, v57
	v_cndmask_b32_e32 v58, v34, v35, vcc_lo
	v_cmp_eq_u32_e32 vcc_lo, 2, v110
	s_delay_alu instid0(VALU_DEP_2) | instskip(SKIP_1) | instid1(VALU_DEP_2)
	v_cndmask_b32_e32 v58, v58, v36, vcc_lo
	v_cmp_eq_u32_e32 vcc_lo, 3, v110
	v_cndmask_b32_e32 v58, v58, v37, vcc_lo
	v_cmp_eq_u32_e32 vcc_lo, 4, v110
	s_delay_alu instid0(VALU_DEP_2) | instskip(SKIP_1) | instid1(VALU_DEP_2)
	v_cndmask_b32_e32 v58, v58, v38, vcc_lo
	v_cmp_eq_u32_e32 vcc_lo, 5, v110
	;; [unrolled: 5-line block ×9, first 2 shown]
	v_cndmask_b32_e32 v58, v58, v53, vcc_lo
	v_cmp_eq_u32_e32 vcc_lo, 20, v110
	s_delay_alu instid0(VALU_DEP_2) | instskip(SKIP_2) | instid1(VALU_DEP_3)
	v_cndmask_b32_e32 v58, v58, v54, vcc_lo
	v_cmp_eq_u32_e32 vcc_lo, 21, v110
	v_add_nc_u64_e32 v[110:111], 1, v[110:111]
	v_cndmask_b32_e32 v58, v58, v55, vcc_lo
	v_cmp_eq_u32_e32 vcc_lo, 0, v56
	s_wait_dscnt 0x0
	s_delay_alu instid0(VALU_DEP_2) | instskip(SKIP_1) | instid1(SALU_CYCLE_1)
	v_fmac_f32_e32 v114, v58, v59
	s_or_b32 s2, vcc_lo, s2
	s_and_not1_b32 exec_lo, exec_lo, s2
	s_cbranch_execnz .LBB85_77
; %bb.78:
	s_or_b32 exec_lo, exec_lo, s2
.LBB85_79:
	s_delay_alu instid0(SALU_CYCLE_1)
	s_or_b32 exec_lo, exec_lo, s0
.LBB85_80:
	s_delay_alu instid0(SALU_CYCLE_1)
	s_or_b32 exec_lo, exec_lo, s5
	v_mov_b32_e32 v49, 0
	ds_load_b32 v49, v49 offset:60
	s_wait_dscnt 0x0
	v_mul_f32_e32 v49, v114, v49
.LBB85_81:
	s_or_b32 exec_lo, exec_lo, s4
	v_cmp_lt_u32_e64 s0, 14, v0
	ds_store_b32 v113, v48
	s_wait_dscnt 0x0
	s_barrier_signal -1
	s_barrier_wait -1
	s_and_saveexec_b32 s4, s0
	s_cbranch_execz .LBB85_97
; %bb.82:
	s_and_not1_b32 vcc_lo, exec_lo, s26
	s_cbranch_vccnz .LBB85_84
; %bb.83:
	v_cmp_eq_u32_e32 vcc_lo, 1, v0
	ds_load_b32 v111, v113
	v_cndmask_b32_e32 v110, v34, v35, vcc_lo
	v_cmp_eq_u32_e32 vcc_lo, 2, v0
	s_delay_alu instid0(VALU_DEP_2) | instskip(SKIP_1) | instid1(VALU_DEP_2)
	v_cndmask_b32_e32 v110, v110, v36, vcc_lo
	v_cmp_eq_u32_e32 vcc_lo, 3, v0
	v_cndmask_b32_e32 v110, v110, v37, vcc_lo
	v_cmp_eq_u32_e32 vcc_lo, 4, v0
	s_delay_alu instid0(VALU_DEP_2) | instskip(SKIP_1) | instid1(VALU_DEP_2)
	v_cndmask_b32_e32 v110, v110, v38, vcc_lo
	v_cmp_eq_u32_e32 vcc_lo, 5, v0
	;; [unrolled: 5-line block ×10, first 2 shown]
	v_cndmask_b32_e32 v110, v110, v55, vcc_lo
	s_wait_dscnt 0x0
	s_delay_alu instid0(VALU_DEP_1)
	v_mul_f32_e32 v114, v110, v111
	s_cbranch_execz .LBB85_85
	s_branch .LBB85_86
.LBB85_84:
                                        ; implicit-def: $vgpr114
.LBB85_85:
	ds_load_b32 v114, v113
.LBB85_86:
	s_and_saveexec_b32 s5, s1
	s_cbranch_execz .LBB85_96
; %bb.87:
	v_dual_add_nc_u32 v110, -16, v0 :: v_dual_add_nc_u32 v111, -15, v0
	s_delay_alu instid0(VALU_DEP_1)
	v_cmp_lt_u32_e32 vcc_lo, 6, v110
	v_mov_b32_e32 v110, 15
	s_and_saveexec_b32 s1, vcc_lo
	s_cbranch_execz .LBB85_91
; %bb.88:
	v_and_b32_e32 v110, -8, v111
	s_mov_b32 s6, 0
	s_mov_b64 s[2:3], 22
	s_movk_i32 s7, 0x9c
	s_delay_alu instid0(VALU_DEP_1)
	v_sub_nc_u32_e32 v112, 0, v110
.LBB85_89:                              ; =>This Inner Loop Header: Depth=1
	s_add_co_i32 m0, s2, -7
	v_movrels_b32_e32 v115, v34
	v_mov_b32_e32 v110, s7
	s_add_co_i32 m0, s2, -6
	s_add_co_i32 s7, s7, 32
	v_movrels_b32_e32 v124, v34
	ds_load_2addr_b32 v[116:117], v110 offset1:1
	ds_load_2addr_b32 v[118:119], v110 offset0:2 offset1:3
	s_add_co_i32 m0, s2, -5
	s_wait_dscnt 0x1
	v_fmac_f32_e32 v114, v115, v116
	ds_load_2addr_b32 v[120:121], v110 offset0:4 offset1:5
	ds_load_2addr_b32 v[122:123], v110 offset0:6 offset1:7
	v_movrels_b32_e32 v110, v34
	s_add_co_i32 m0, s2, -4
	v_fmac_f32_e32 v114, v124, v117
	v_movrels_b32_e32 v115, v34
	s_add_co_i32 m0, s2, -3
	s_wait_dscnt 0x2
	s_delay_alu instid0(VALU_DEP_2) | instskip(SKIP_2) | instid1(VALU_DEP_2)
	v_fmac_f32_e32 v114, v110, v118
	v_movrels_b32_e32 v110, v34
	s_add_co_i32 m0, s2, -2
	v_fmac_f32_e32 v114, v115, v119
	v_movrels_b32_e32 v115, v34
	s_add_co_i32 m0, s2, -1
	s_wait_dscnt 0x1
	s_delay_alu instid0(VALU_DEP_2)
	v_fmac_f32_e32 v114, v110, v120
	v_movrels_b32_e32 v110, v34
	s_mov_b32 m0, s2
	s_add_nc_u64 s[2:3], s[2:3], 8
	v_movrels_b32_e32 v116, v34
	v_dual_fmac_f32 v114, v115, v121 :: v_dual_add_nc_u32 v115, s2, v112
	s_add_co_i32 s8, s2, -7
	s_wait_dscnt 0x0
	s_delay_alu instid0(VALU_DEP_1) | instskip(NEXT) | instid1(VALU_DEP_2)
	v_fmac_f32_e32 v114, v110, v122
	v_cmp_eq_u32_e32 vcc_lo, 22, v115
	s_delay_alu instid0(VALU_DEP_2) | instskip(SKIP_1) | instid1(SALU_CYCLE_1)
	v_dual_mov_b32 v110, s8 :: v_dual_fmac_f32 v114, v116, v123
	s_or_b32 s6, vcc_lo, s6
	s_and_not1_b32 exec_lo, exec_lo, s6
	s_cbranch_execnz .LBB85_89
; %bb.90:
	s_or_b32 exec_lo, exec_lo, s6
.LBB85_91:
	s_delay_alu instid0(SALU_CYCLE_1) | instskip(SKIP_3) | instid1(VALU_DEP_1)
	s_or_b32 exec_lo, exec_lo, s1
	v_and_b32_e32 v56, 7, v111
	s_mov_b32 s2, 0
	s_mov_b32 s1, exec_lo
	v_cmpx_ne_u32_e32 0, v56
	s_cbranch_execz .LBB85_95
; %bb.92:
	v_lshl_add_u32 v57, v110, 2, 0x60
	v_mov_b32_e32 v111, 0
.LBB85_93:                              ; =>This Inner Loop Header: Depth=1
	v_cmp_eq_u32_e32 vcc_lo, 1, v110
	ds_load_b32 v59, v57
	v_dual_add_nc_u32 v56, -1, v56 :: v_dual_add_nc_u32 v57, 4, v57
	v_cndmask_b32_e32 v58, v34, v35, vcc_lo
	v_cmp_eq_u32_e32 vcc_lo, 2, v110
	s_delay_alu instid0(VALU_DEP_2) | instskip(SKIP_1) | instid1(VALU_DEP_2)
	v_cndmask_b32_e32 v58, v58, v36, vcc_lo
	v_cmp_eq_u32_e32 vcc_lo, 3, v110
	v_cndmask_b32_e32 v58, v58, v37, vcc_lo
	v_cmp_eq_u32_e32 vcc_lo, 4, v110
	s_delay_alu instid0(VALU_DEP_2) | instskip(SKIP_1) | instid1(VALU_DEP_2)
	v_cndmask_b32_e32 v58, v58, v38, vcc_lo
	v_cmp_eq_u32_e32 vcc_lo, 5, v110
	;; [unrolled: 5-line block ×9, first 2 shown]
	v_cndmask_b32_e32 v58, v58, v53, vcc_lo
	v_cmp_eq_u32_e32 vcc_lo, 20, v110
	s_delay_alu instid0(VALU_DEP_2) | instskip(SKIP_2) | instid1(VALU_DEP_3)
	v_cndmask_b32_e32 v58, v58, v54, vcc_lo
	v_cmp_eq_u32_e32 vcc_lo, 21, v110
	v_add_nc_u64_e32 v[110:111], 1, v[110:111]
	v_cndmask_b32_e32 v58, v58, v55, vcc_lo
	v_cmp_eq_u32_e32 vcc_lo, 0, v56
	s_wait_dscnt 0x0
	s_delay_alu instid0(VALU_DEP_2) | instskip(SKIP_1) | instid1(SALU_CYCLE_1)
	v_fmac_f32_e32 v114, v58, v59
	s_or_b32 s2, vcc_lo, s2
	s_and_not1_b32 exec_lo, exec_lo, s2
	s_cbranch_execnz .LBB85_93
; %bb.94:
	s_or_b32 exec_lo, exec_lo, s2
.LBB85_95:
	s_delay_alu instid0(SALU_CYCLE_1)
	s_or_b32 exec_lo, exec_lo, s1
.LBB85_96:
	s_delay_alu instid0(SALU_CYCLE_1)
	s_or_b32 exec_lo, exec_lo, s5
	v_mov_b32_e32 v48, 0
	ds_load_b32 v48, v48 offset:56
	s_wait_dscnt 0x0
	v_mul_f32_e32 v48, v114, v48
.LBB85_97:
	s_or_b32 exec_lo, exec_lo, s4
	v_cmp_lt_u32_e64 s1, 13, v0
	ds_store_b32 v113, v47
	s_wait_dscnt 0x0
	s_barrier_signal -1
	s_barrier_wait -1
	s_and_saveexec_b32 s4, s1
	s_cbranch_execz .LBB85_113
; %bb.98:
	s_and_not1_b32 vcc_lo, exec_lo, s26
	s_cbranch_vccnz .LBB85_100
; %bb.99:
	v_cmp_eq_u32_e32 vcc_lo, 1, v0
	ds_load_b32 v111, v113
	v_cndmask_b32_e32 v110, v34, v35, vcc_lo
	v_cmp_eq_u32_e32 vcc_lo, 2, v0
	s_delay_alu instid0(VALU_DEP_2) | instskip(SKIP_1) | instid1(VALU_DEP_2)
	v_cndmask_b32_e32 v110, v110, v36, vcc_lo
	v_cmp_eq_u32_e32 vcc_lo, 3, v0
	v_cndmask_b32_e32 v110, v110, v37, vcc_lo
	v_cmp_eq_u32_e32 vcc_lo, 4, v0
	s_delay_alu instid0(VALU_DEP_2) | instskip(SKIP_1) | instid1(VALU_DEP_2)
	v_cndmask_b32_e32 v110, v110, v38, vcc_lo
	v_cmp_eq_u32_e32 vcc_lo, 5, v0
	;; [unrolled: 5-line block ×10, first 2 shown]
	v_cndmask_b32_e32 v110, v110, v55, vcc_lo
	s_wait_dscnt 0x0
	s_delay_alu instid0(VALU_DEP_1)
	v_mul_f32_e32 v114, v110, v111
	s_cbranch_execz .LBB85_101
	s_branch .LBB85_102
.LBB85_100:
                                        ; implicit-def: $vgpr114
.LBB85_101:
	ds_load_b32 v114, v113
.LBB85_102:
	s_and_saveexec_b32 s5, s0
	s_cbranch_execz .LBB85_112
; %bb.103:
	v_dual_add_nc_u32 v110, -15, v0 :: v_dual_add_nc_u32 v111, -14, v0
	s_delay_alu instid0(VALU_DEP_1)
	v_cmp_lt_u32_e32 vcc_lo, 6, v110
	v_mov_b32_e32 v110, 14
	s_and_saveexec_b32 s0, vcc_lo
	s_cbranch_execz .LBB85_107
; %bb.104:
	v_and_b32_e32 v110, -8, v111
	s_mov_b32 s6, 0
	s_mov_b64 s[2:3], 21
	s_movk_i32 s7, 0x98
	s_delay_alu instid0(VALU_DEP_1)
	v_sub_nc_u32_e32 v112, 0, v110
.LBB85_105:                             ; =>This Inner Loop Header: Depth=1
	s_add_co_i32 m0, s2, -7
	v_movrels_b32_e32 v115, v34
	v_mov_b32_e32 v110, s7
	s_add_co_i32 m0, s2, -6
	s_add_co_i32 s7, s7, 32
	v_movrels_b32_e32 v124, v34
	s_add_co_i32 m0, s2, -5
	ds_load_2addr_b64 v[116:119], v110 offset1:1
	ds_load_2addr_b64 v[120:123], v110 offset0:2 offset1:3
	v_movrels_b32_e32 v110, v34
	s_add_co_i32 m0, s2, -4
	s_wait_dscnt 0x1
	v_fmac_f32_e32 v114, v115, v116
	v_movrels_b32_e32 v115, v34
	s_add_co_i32 m0, s2, -3
	s_delay_alu instid0(VALU_DEP_2) | instskip(NEXT) | instid1(VALU_DEP_1)
	v_fmac_f32_e32 v114, v124, v117
	v_fmac_f32_e32 v114, v110, v118
	v_movrels_b32_e32 v110, v34
	s_add_co_i32 m0, s2, -2
	s_delay_alu instid0(VALU_DEP_2) | instskip(SKIP_3) | instid1(VALU_DEP_2)
	v_fmac_f32_e32 v114, v115, v119
	v_movrels_b32_e32 v115, v34
	s_add_co_i32 m0, s2, -1
	s_wait_dscnt 0x0
	v_fmac_f32_e32 v114, v110, v120
	v_movrels_b32_e32 v110, v34
	s_mov_b32 m0, s2
	s_add_nc_u64 s[2:3], s[2:3], 8
	v_movrels_b32_e32 v116, v34
	v_dual_fmac_f32 v114, v115, v121 :: v_dual_add_nc_u32 v115, s2, v112
	s_add_co_i32 s8, s2, -7
	s_delay_alu instid0(VALU_DEP_1) | instskip(NEXT) | instid1(VALU_DEP_2)
	v_fmac_f32_e32 v114, v110, v122
	v_cmp_eq_u32_e32 vcc_lo, 21, v115
	s_delay_alu instid0(VALU_DEP_2) | instskip(SKIP_1) | instid1(SALU_CYCLE_1)
	v_dual_mov_b32 v110, s8 :: v_dual_fmac_f32 v114, v116, v123
	s_or_b32 s6, vcc_lo, s6
	s_and_not1_b32 exec_lo, exec_lo, s6
	s_cbranch_execnz .LBB85_105
; %bb.106:
	s_or_b32 exec_lo, exec_lo, s6
.LBB85_107:
	s_delay_alu instid0(SALU_CYCLE_1) | instskip(SKIP_3) | instid1(VALU_DEP_1)
	s_or_b32 exec_lo, exec_lo, s0
	v_and_b32_e32 v56, 7, v111
	s_mov_b32 s2, 0
	s_mov_b32 s0, exec_lo
	v_cmpx_ne_u32_e32 0, v56
	s_cbranch_execz .LBB85_111
; %bb.108:
	v_lshl_add_u32 v57, v110, 2, 0x60
	v_mov_b32_e32 v111, 0
.LBB85_109:                             ; =>This Inner Loop Header: Depth=1
	v_cmp_eq_u32_e32 vcc_lo, 1, v110
	ds_load_b32 v59, v57
	v_dual_add_nc_u32 v56, -1, v56 :: v_dual_add_nc_u32 v57, 4, v57
	v_cndmask_b32_e32 v58, v34, v35, vcc_lo
	v_cmp_eq_u32_e32 vcc_lo, 2, v110
	s_delay_alu instid0(VALU_DEP_2) | instskip(SKIP_1) | instid1(VALU_DEP_2)
	v_cndmask_b32_e32 v58, v58, v36, vcc_lo
	v_cmp_eq_u32_e32 vcc_lo, 3, v110
	v_cndmask_b32_e32 v58, v58, v37, vcc_lo
	v_cmp_eq_u32_e32 vcc_lo, 4, v110
	s_delay_alu instid0(VALU_DEP_2) | instskip(SKIP_1) | instid1(VALU_DEP_2)
	v_cndmask_b32_e32 v58, v58, v38, vcc_lo
	v_cmp_eq_u32_e32 vcc_lo, 5, v110
	;; [unrolled: 5-line block ×9, first 2 shown]
	v_cndmask_b32_e32 v58, v58, v53, vcc_lo
	v_cmp_eq_u32_e32 vcc_lo, 20, v110
	s_delay_alu instid0(VALU_DEP_2) | instskip(SKIP_2) | instid1(VALU_DEP_3)
	v_cndmask_b32_e32 v58, v58, v54, vcc_lo
	v_cmp_eq_u32_e32 vcc_lo, 21, v110
	v_add_nc_u64_e32 v[110:111], 1, v[110:111]
	v_cndmask_b32_e32 v58, v58, v55, vcc_lo
	v_cmp_eq_u32_e32 vcc_lo, 0, v56
	s_wait_dscnt 0x0
	s_delay_alu instid0(VALU_DEP_2) | instskip(SKIP_1) | instid1(SALU_CYCLE_1)
	v_fmac_f32_e32 v114, v58, v59
	s_or_b32 s2, vcc_lo, s2
	s_and_not1_b32 exec_lo, exec_lo, s2
	s_cbranch_execnz .LBB85_109
; %bb.110:
	s_or_b32 exec_lo, exec_lo, s2
.LBB85_111:
	s_delay_alu instid0(SALU_CYCLE_1)
	s_or_b32 exec_lo, exec_lo, s0
.LBB85_112:
	s_delay_alu instid0(SALU_CYCLE_1)
	s_or_b32 exec_lo, exec_lo, s5
	v_mov_b32_e32 v47, 0
	ds_load_b32 v47, v47 offset:52
	s_wait_dscnt 0x0
	v_mul_f32_e32 v47, v114, v47
.LBB85_113:
	s_or_b32 exec_lo, exec_lo, s4
	v_cmp_lt_u32_e64 s0, 12, v0
	ds_store_b32 v113, v46
	s_wait_dscnt 0x0
	s_barrier_signal -1
	s_barrier_wait -1
	s_and_saveexec_b32 s4, s0
	s_cbranch_execz .LBB85_129
; %bb.114:
	s_and_not1_b32 vcc_lo, exec_lo, s26
	s_cbranch_vccnz .LBB85_116
; %bb.115:
	v_cmp_eq_u32_e32 vcc_lo, 1, v0
	ds_load_b32 v111, v113
	v_cndmask_b32_e32 v110, v34, v35, vcc_lo
	v_cmp_eq_u32_e32 vcc_lo, 2, v0
	s_delay_alu instid0(VALU_DEP_2) | instskip(SKIP_1) | instid1(VALU_DEP_2)
	v_cndmask_b32_e32 v110, v110, v36, vcc_lo
	v_cmp_eq_u32_e32 vcc_lo, 3, v0
	v_cndmask_b32_e32 v110, v110, v37, vcc_lo
	v_cmp_eq_u32_e32 vcc_lo, 4, v0
	s_delay_alu instid0(VALU_DEP_2) | instskip(SKIP_1) | instid1(VALU_DEP_2)
	v_cndmask_b32_e32 v110, v110, v38, vcc_lo
	v_cmp_eq_u32_e32 vcc_lo, 5, v0
	;; [unrolled: 5-line block ×10, first 2 shown]
	v_cndmask_b32_e32 v110, v110, v55, vcc_lo
	s_wait_dscnt 0x0
	s_delay_alu instid0(VALU_DEP_1)
	v_mul_f32_e32 v114, v110, v111
	s_cbranch_execz .LBB85_117
	s_branch .LBB85_118
.LBB85_116:
                                        ; implicit-def: $vgpr114
.LBB85_117:
	ds_load_b32 v114, v113
.LBB85_118:
	s_and_saveexec_b32 s5, s1
	s_cbranch_execz .LBB85_128
; %bb.119:
	v_dual_add_nc_u32 v110, -14, v0 :: v_dual_add_nc_u32 v111, -13, v0
	s_delay_alu instid0(VALU_DEP_1)
	v_cmp_lt_u32_e32 vcc_lo, 6, v110
	v_mov_b32_e32 v110, 13
	s_and_saveexec_b32 s1, vcc_lo
	s_cbranch_execz .LBB85_123
; %bb.120:
	v_and_b32_e32 v110, -8, v111
	s_mov_b32 s6, 0
	s_mov_b64 s[2:3], 20
	s_movk_i32 s7, 0x94
	s_delay_alu instid0(VALU_DEP_1)
	v_sub_nc_u32_e32 v112, 0, v110
.LBB85_121:                             ; =>This Inner Loop Header: Depth=1
	s_add_co_i32 m0, s2, -7
	v_movrels_b32_e32 v115, v34
	v_mov_b32_e32 v110, s7
	s_add_co_i32 m0, s2, -6
	s_add_co_i32 s7, s7, 32
	v_movrels_b32_e32 v124, v34
	ds_load_2addr_b32 v[116:117], v110 offset1:1
	ds_load_2addr_b32 v[118:119], v110 offset0:2 offset1:3
	s_add_co_i32 m0, s2, -5
	s_wait_dscnt 0x1
	v_fmac_f32_e32 v114, v115, v116
	ds_load_2addr_b32 v[120:121], v110 offset0:4 offset1:5
	ds_load_2addr_b32 v[122:123], v110 offset0:6 offset1:7
	v_movrels_b32_e32 v110, v34
	s_add_co_i32 m0, s2, -4
	v_fmac_f32_e32 v114, v124, v117
	v_movrels_b32_e32 v115, v34
	s_add_co_i32 m0, s2, -3
	s_wait_dscnt 0x2
	s_delay_alu instid0(VALU_DEP_2) | instskip(SKIP_2) | instid1(VALU_DEP_2)
	v_fmac_f32_e32 v114, v110, v118
	v_movrels_b32_e32 v110, v34
	s_add_co_i32 m0, s2, -2
	v_fmac_f32_e32 v114, v115, v119
	v_movrels_b32_e32 v115, v34
	s_add_co_i32 m0, s2, -1
	s_wait_dscnt 0x1
	s_delay_alu instid0(VALU_DEP_2)
	v_fmac_f32_e32 v114, v110, v120
	v_movrels_b32_e32 v110, v34
	s_mov_b32 m0, s2
	s_add_nc_u64 s[2:3], s[2:3], 8
	v_movrels_b32_e32 v116, v34
	v_dual_fmac_f32 v114, v115, v121 :: v_dual_add_nc_u32 v115, s2, v112
	s_add_co_i32 s8, s2, -7
	s_wait_dscnt 0x0
	s_delay_alu instid0(VALU_DEP_1) | instskip(NEXT) | instid1(VALU_DEP_2)
	v_fmac_f32_e32 v114, v110, v122
	v_cmp_eq_u32_e32 vcc_lo, 20, v115
	s_delay_alu instid0(VALU_DEP_2) | instskip(SKIP_1) | instid1(SALU_CYCLE_1)
	v_dual_mov_b32 v110, s8 :: v_dual_fmac_f32 v114, v116, v123
	s_or_b32 s6, vcc_lo, s6
	s_and_not1_b32 exec_lo, exec_lo, s6
	s_cbranch_execnz .LBB85_121
; %bb.122:
	s_or_b32 exec_lo, exec_lo, s6
.LBB85_123:
	s_delay_alu instid0(SALU_CYCLE_1) | instskip(SKIP_3) | instid1(VALU_DEP_1)
	s_or_b32 exec_lo, exec_lo, s1
	v_and_b32_e32 v56, 7, v111
	s_mov_b32 s2, 0
	s_mov_b32 s1, exec_lo
	v_cmpx_ne_u32_e32 0, v56
	s_cbranch_execz .LBB85_127
; %bb.124:
	v_lshl_add_u32 v57, v110, 2, 0x60
	v_mov_b32_e32 v111, 0
.LBB85_125:                             ; =>This Inner Loop Header: Depth=1
	v_cmp_eq_u32_e32 vcc_lo, 1, v110
	ds_load_b32 v59, v57
	v_dual_add_nc_u32 v56, -1, v56 :: v_dual_add_nc_u32 v57, 4, v57
	v_cndmask_b32_e32 v58, v34, v35, vcc_lo
	v_cmp_eq_u32_e32 vcc_lo, 2, v110
	s_delay_alu instid0(VALU_DEP_2) | instskip(SKIP_1) | instid1(VALU_DEP_2)
	v_cndmask_b32_e32 v58, v58, v36, vcc_lo
	v_cmp_eq_u32_e32 vcc_lo, 3, v110
	v_cndmask_b32_e32 v58, v58, v37, vcc_lo
	v_cmp_eq_u32_e32 vcc_lo, 4, v110
	s_delay_alu instid0(VALU_DEP_2) | instskip(SKIP_1) | instid1(VALU_DEP_2)
	v_cndmask_b32_e32 v58, v58, v38, vcc_lo
	v_cmp_eq_u32_e32 vcc_lo, 5, v110
	;; [unrolled: 5-line block ×9, first 2 shown]
	v_cndmask_b32_e32 v58, v58, v53, vcc_lo
	v_cmp_eq_u32_e32 vcc_lo, 20, v110
	s_delay_alu instid0(VALU_DEP_2) | instskip(SKIP_2) | instid1(VALU_DEP_3)
	v_cndmask_b32_e32 v58, v58, v54, vcc_lo
	v_cmp_eq_u32_e32 vcc_lo, 21, v110
	v_add_nc_u64_e32 v[110:111], 1, v[110:111]
	v_cndmask_b32_e32 v58, v58, v55, vcc_lo
	v_cmp_eq_u32_e32 vcc_lo, 0, v56
	s_wait_dscnt 0x0
	s_delay_alu instid0(VALU_DEP_2) | instskip(SKIP_1) | instid1(SALU_CYCLE_1)
	v_fmac_f32_e32 v114, v58, v59
	s_or_b32 s2, vcc_lo, s2
	s_and_not1_b32 exec_lo, exec_lo, s2
	s_cbranch_execnz .LBB85_125
; %bb.126:
	s_or_b32 exec_lo, exec_lo, s2
.LBB85_127:
	s_delay_alu instid0(SALU_CYCLE_1)
	s_or_b32 exec_lo, exec_lo, s1
.LBB85_128:
	s_delay_alu instid0(SALU_CYCLE_1)
	s_or_b32 exec_lo, exec_lo, s5
	v_mov_b32_e32 v46, 0
	ds_load_b32 v46, v46 offset:48
	s_wait_dscnt 0x0
	v_mul_f32_e32 v46, v114, v46
.LBB85_129:
	s_or_b32 exec_lo, exec_lo, s4
	v_cmp_lt_u32_e64 s1, 11, v0
	ds_store_b32 v113, v45
	s_wait_dscnt 0x0
	s_barrier_signal -1
	s_barrier_wait -1
	s_and_saveexec_b32 s4, s1
	s_cbranch_execz .LBB85_145
; %bb.130:
	s_and_not1_b32 vcc_lo, exec_lo, s26
	s_cbranch_vccnz .LBB85_132
; %bb.131:
	v_cmp_eq_u32_e32 vcc_lo, 1, v0
	ds_load_b32 v111, v113
	v_cndmask_b32_e32 v110, v34, v35, vcc_lo
	v_cmp_eq_u32_e32 vcc_lo, 2, v0
	s_delay_alu instid0(VALU_DEP_2) | instskip(SKIP_1) | instid1(VALU_DEP_2)
	v_cndmask_b32_e32 v110, v110, v36, vcc_lo
	v_cmp_eq_u32_e32 vcc_lo, 3, v0
	v_cndmask_b32_e32 v110, v110, v37, vcc_lo
	v_cmp_eq_u32_e32 vcc_lo, 4, v0
	s_delay_alu instid0(VALU_DEP_2) | instskip(SKIP_1) | instid1(VALU_DEP_2)
	v_cndmask_b32_e32 v110, v110, v38, vcc_lo
	v_cmp_eq_u32_e32 vcc_lo, 5, v0
	;; [unrolled: 5-line block ×10, first 2 shown]
	v_cndmask_b32_e32 v110, v110, v55, vcc_lo
	s_wait_dscnt 0x0
	s_delay_alu instid0(VALU_DEP_1)
	v_mul_f32_e32 v114, v110, v111
	s_cbranch_execz .LBB85_133
	s_branch .LBB85_134
.LBB85_132:
                                        ; implicit-def: $vgpr114
.LBB85_133:
	ds_load_b32 v114, v113
.LBB85_134:
	s_and_saveexec_b32 s5, s0
	s_cbranch_execz .LBB85_144
; %bb.135:
	v_dual_add_nc_u32 v110, -13, v0 :: v_dual_add_nc_u32 v111, -12, v0
	s_delay_alu instid0(VALU_DEP_1)
	v_cmp_lt_u32_e32 vcc_lo, 6, v110
	v_mov_b32_e32 v110, 12
	s_and_saveexec_b32 s0, vcc_lo
	s_cbranch_execz .LBB85_139
; %bb.136:
	v_and_b32_e32 v110, -8, v111
	s_mov_b32 s6, 0
	s_mov_b64 s[2:3], 19
	s_movk_i32 s7, 0x90
	s_delay_alu instid0(VALU_DEP_1)
	v_sub_nc_u32_e32 v112, 0, v110
.LBB85_137:                             ; =>This Inner Loop Header: Depth=1
	s_add_co_i32 m0, s2, -7
	v_movrels_b32_e32 v115, v34
	v_mov_b32_e32 v110, s7
	s_add_co_i32 m0, s2, -6
	s_add_co_i32 s7, s7, 32
	v_movrels_b32_e32 v124, v34
	s_add_co_i32 m0, s2, -5
	ds_load_b128 v[116:119], v110
	ds_load_b128 v[120:123], v110 offset:16
	v_movrels_b32_e32 v110, v34
	s_add_co_i32 m0, s2, -4
	s_wait_dscnt 0x1
	v_fmac_f32_e32 v114, v115, v116
	v_movrels_b32_e32 v115, v34
	s_add_co_i32 m0, s2, -3
	s_delay_alu instid0(VALU_DEP_2) | instskip(NEXT) | instid1(VALU_DEP_1)
	v_fmac_f32_e32 v114, v124, v117
	v_fmac_f32_e32 v114, v110, v118
	v_movrels_b32_e32 v110, v34
	s_add_co_i32 m0, s2, -2
	s_delay_alu instid0(VALU_DEP_2) | instskip(SKIP_3) | instid1(VALU_DEP_2)
	v_fmac_f32_e32 v114, v115, v119
	v_movrels_b32_e32 v115, v34
	s_add_co_i32 m0, s2, -1
	s_wait_dscnt 0x0
	v_fmac_f32_e32 v114, v110, v120
	v_movrels_b32_e32 v110, v34
	s_mov_b32 m0, s2
	s_add_nc_u64 s[2:3], s[2:3], 8
	v_movrels_b32_e32 v116, v34
	v_dual_fmac_f32 v114, v115, v121 :: v_dual_add_nc_u32 v115, s2, v112
	s_add_co_i32 s8, s2, -7
	s_delay_alu instid0(VALU_DEP_1) | instskip(NEXT) | instid1(VALU_DEP_2)
	v_fmac_f32_e32 v114, v110, v122
	v_cmp_eq_u32_e32 vcc_lo, 19, v115
	s_delay_alu instid0(VALU_DEP_2) | instskip(SKIP_1) | instid1(SALU_CYCLE_1)
	v_dual_mov_b32 v110, s8 :: v_dual_fmac_f32 v114, v116, v123
	s_or_b32 s6, vcc_lo, s6
	s_and_not1_b32 exec_lo, exec_lo, s6
	s_cbranch_execnz .LBB85_137
; %bb.138:
	s_or_b32 exec_lo, exec_lo, s6
.LBB85_139:
	s_delay_alu instid0(SALU_CYCLE_1) | instskip(SKIP_3) | instid1(VALU_DEP_1)
	s_or_b32 exec_lo, exec_lo, s0
	v_and_b32_e32 v56, 7, v111
	s_mov_b32 s2, 0
	s_mov_b32 s0, exec_lo
	v_cmpx_ne_u32_e32 0, v56
	s_cbranch_execz .LBB85_143
; %bb.140:
	v_lshl_add_u32 v57, v110, 2, 0x60
	v_mov_b32_e32 v111, 0
.LBB85_141:                             ; =>This Inner Loop Header: Depth=1
	v_cmp_eq_u32_e32 vcc_lo, 1, v110
	ds_load_b32 v59, v57
	v_dual_add_nc_u32 v56, -1, v56 :: v_dual_add_nc_u32 v57, 4, v57
	v_cndmask_b32_e32 v58, v34, v35, vcc_lo
	v_cmp_eq_u32_e32 vcc_lo, 2, v110
	s_delay_alu instid0(VALU_DEP_2) | instskip(SKIP_1) | instid1(VALU_DEP_2)
	v_cndmask_b32_e32 v58, v58, v36, vcc_lo
	v_cmp_eq_u32_e32 vcc_lo, 3, v110
	v_cndmask_b32_e32 v58, v58, v37, vcc_lo
	v_cmp_eq_u32_e32 vcc_lo, 4, v110
	s_delay_alu instid0(VALU_DEP_2) | instskip(SKIP_1) | instid1(VALU_DEP_2)
	v_cndmask_b32_e32 v58, v58, v38, vcc_lo
	v_cmp_eq_u32_e32 vcc_lo, 5, v110
	;; [unrolled: 5-line block ×9, first 2 shown]
	v_cndmask_b32_e32 v58, v58, v53, vcc_lo
	v_cmp_eq_u32_e32 vcc_lo, 20, v110
	s_delay_alu instid0(VALU_DEP_2) | instskip(SKIP_2) | instid1(VALU_DEP_3)
	v_cndmask_b32_e32 v58, v58, v54, vcc_lo
	v_cmp_eq_u32_e32 vcc_lo, 21, v110
	v_add_nc_u64_e32 v[110:111], 1, v[110:111]
	v_cndmask_b32_e32 v58, v58, v55, vcc_lo
	v_cmp_eq_u32_e32 vcc_lo, 0, v56
	s_wait_dscnt 0x0
	s_delay_alu instid0(VALU_DEP_2) | instskip(SKIP_1) | instid1(SALU_CYCLE_1)
	v_fmac_f32_e32 v114, v58, v59
	s_or_b32 s2, vcc_lo, s2
	s_and_not1_b32 exec_lo, exec_lo, s2
	s_cbranch_execnz .LBB85_141
; %bb.142:
	s_or_b32 exec_lo, exec_lo, s2
.LBB85_143:
	s_delay_alu instid0(SALU_CYCLE_1)
	s_or_b32 exec_lo, exec_lo, s0
.LBB85_144:
	s_delay_alu instid0(SALU_CYCLE_1)
	s_or_b32 exec_lo, exec_lo, s5
	v_mov_b32_e32 v45, 0
	ds_load_b32 v45, v45 offset:44
	s_wait_dscnt 0x0
	v_mul_f32_e32 v45, v114, v45
.LBB85_145:
	s_or_b32 exec_lo, exec_lo, s4
	v_cmp_lt_u32_e64 s0, 10, v0
	ds_store_b32 v113, v44
	s_wait_dscnt 0x0
	s_barrier_signal -1
	s_barrier_wait -1
	s_and_saveexec_b32 s4, s0
	s_cbranch_execz .LBB85_161
; %bb.146:
	s_and_not1_b32 vcc_lo, exec_lo, s26
	s_cbranch_vccnz .LBB85_148
; %bb.147:
	v_cmp_eq_u32_e32 vcc_lo, 1, v0
	ds_load_b32 v111, v113
	v_cndmask_b32_e32 v110, v34, v35, vcc_lo
	v_cmp_eq_u32_e32 vcc_lo, 2, v0
	s_delay_alu instid0(VALU_DEP_2) | instskip(SKIP_1) | instid1(VALU_DEP_2)
	v_cndmask_b32_e32 v110, v110, v36, vcc_lo
	v_cmp_eq_u32_e32 vcc_lo, 3, v0
	v_cndmask_b32_e32 v110, v110, v37, vcc_lo
	v_cmp_eq_u32_e32 vcc_lo, 4, v0
	s_delay_alu instid0(VALU_DEP_2) | instskip(SKIP_1) | instid1(VALU_DEP_2)
	v_cndmask_b32_e32 v110, v110, v38, vcc_lo
	v_cmp_eq_u32_e32 vcc_lo, 5, v0
	;; [unrolled: 5-line block ×10, first 2 shown]
	v_cndmask_b32_e32 v110, v110, v55, vcc_lo
	s_wait_dscnt 0x0
	s_delay_alu instid0(VALU_DEP_1)
	v_mul_f32_e32 v114, v110, v111
	s_cbranch_execz .LBB85_149
	s_branch .LBB85_150
.LBB85_148:
                                        ; implicit-def: $vgpr114
.LBB85_149:
	ds_load_b32 v114, v113
.LBB85_150:
	s_and_saveexec_b32 s5, s1
	s_cbranch_execz .LBB85_160
; %bb.151:
	v_dual_add_nc_u32 v110, -12, v0 :: v_dual_add_nc_u32 v111, -11, v0
	s_delay_alu instid0(VALU_DEP_1)
	v_cmp_lt_u32_e32 vcc_lo, 6, v110
	v_mov_b32_e32 v110, 11
	s_and_saveexec_b32 s1, vcc_lo
	s_cbranch_execz .LBB85_155
; %bb.152:
	v_and_b32_e32 v110, -8, v111
	s_mov_b32 s6, 0
	s_mov_b64 s[2:3], 18
	s_movk_i32 s7, 0x8c
	s_delay_alu instid0(VALU_DEP_1)
	v_sub_nc_u32_e32 v112, 0, v110
.LBB85_153:                             ; =>This Inner Loop Header: Depth=1
	s_add_co_i32 m0, s2, -7
	v_movrels_b32_e32 v115, v34
	v_mov_b32_e32 v110, s7
	s_add_co_i32 m0, s2, -6
	s_add_co_i32 s7, s7, 32
	v_movrels_b32_e32 v124, v34
	ds_load_2addr_b32 v[116:117], v110 offset1:1
	ds_load_2addr_b32 v[118:119], v110 offset0:2 offset1:3
	s_add_co_i32 m0, s2, -5
	s_wait_dscnt 0x1
	v_fmac_f32_e32 v114, v115, v116
	ds_load_2addr_b32 v[120:121], v110 offset0:4 offset1:5
	ds_load_2addr_b32 v[122:123], v110 offset0:6 offset1:7
	v_movrels_b32_e32 v110, v34
	s_add_co_i32 m0, s2, -4
	v_fmac_f32_e32 v114, v124, v117
	v_movrels_b32_e32 v115, v34
	s_add_co_i32 m0, s2, -3
	s_wait_dscnt 0x2
	s_delay_alu instid0(VALU_DEP_2) | instskip(SKIP_2) | instid1(VALU_DEP_2)
	v_fmac_f32_e32 v114, v110, v118
	v_movrels_b32_e32 v110, v34
	s_add_co_i32 m0, s2, -2
	v_fmac_f32_e32 v114, v115, v119
	v_movrels_b32_e32 v115, v34
	s_add_co_i32 m0, s2, -1
	s_wait_dscnt 0x1
	s_delay_alu instid0(VALU_DEP_2)
	v_fmac_f32_e32 v114, v110, v120
	v_movrels_b32_e32 v110, v34
	s_mov_b32 m0, s2
	s_add_nc_u64 s[2:3], s[2:3], 8
	v_movrels_b32_e32 v116, v34
	v_dual_fmac_f32 v114, v115, v121 :: v_dual_add_nc_u32 v115, s2, v112
	s_add_co_i32 s8, s2, -7
	s_wait_dscnt 0x0
	s_delay_alu instid0(VALU_DEP_1) | instskip(NEXT) | instid1(VALU_DEP_2)
	v_fmac_f32_e32 v114, v110, v122
	v_cmp_eq_u32_e32 vcc_lo, 18, v115
	s_delay_alu instid0(VALU_DEP_2) | instskip(SKIP_1) | instid1(SALU_CYCLE_1)
	v_dual_mov_b32 v110, s8 :: v_dual_fmac_f32 v114, v116, v123
	s_or_b32 s6, vcc_lo, s6
	s_and_not1_b32 exec_lo, exec_lo, s6
	s_cbranch_execnz .LBB85_153
; %bb.154:
	s_or_b32 exec_lo, exec_lo, s6
.LBB85_155:
	s_delay_alu instid0(SALU_CYCLE_1) | instskip(SKIP_3) | instid1(VALU_DEP_1)
	s_or_b32 exec_lo, exec_lo, s1
	v_and_b32_e32 v56, 7, v111
	s_mov_b32 s2, 0
	s_mov_b32 s1, exec_lo
	v_cmpx_ne_u32_e32 0, v56
	s_cbranch_execz .LBB85_159
; %bb.156:
	v_lshl_add_u32 v57, v110, 2, 0x60
	v_mov_b32_e32 v111, 0
.LBB85_157:                             ; =>This Inner Loop Header: Depth=1
	v_cmp_eq_u32_e32 vcc_lo, 1, v110
	ds_load_b32 v59, v57
	v_dual_add_nc_u32 v56, -1, v56 :: v_dual_add_nc_u32 v57, 4, v57
	v_cndmask_b32_e32 v58, v34, v35, vcc_lo
	v_cmp_eq_u32_e32 vcc_lo, 2, v110
	s_delay_alu instid0(VALU_DEP_2) | instskip(SKIP_1) | instid1(VALU_DEP_2)
	v_cndmask_b32_e32 v58, v58, v36, vcc_lo
	v_cmp_eq_u32_e32 vcc_lo, 3, v110
	v_cndmask_b32_e32 v58, v58, v37, vcc_lo
	v_cmp_eq_u32_e32 vcc_lo, 4, v110
	s_delay_alu instid0(VALU_DEP_2) | instskip(SKIP_1) | instid1(VALU_DEP_2)
	v_cndmask_b32_e32 v58, v58, v38, vcc_lo
	v_cmp_eq_u32_e32 vcc_lo, 5, v110
	;; [unrolled: 5-line block ×9, first 2 shown]
	v_cndmask_b32_e32 v58, v58, v53, vcc_lo
	v_cmp_eq_u32_e32 vcc_lo, 20, v110
	s_delay_alu instid0(VALU_DEP_2) | instskip(SKIP_2) | instid1(VALU_DEP_3)
	v_cndmask_b32_e32 v58, v58, v54, vcc_lo
	v_cmp_eq_u32_e32 vcc_lo, 21, v110
	v_add_nc_u64_e32 v[110:111], 1, v[110:111]
	v_cndmask_b32_e32 v58, v58, v55, vcc_lo
	v_cmp_eq_u32_e32 vcc_lo, 0, v56
	s_wait_dscnt 0x0
	s_delay_alu instid0(VALU_DEP_2) | instskip(SKIP_1) | instid1(SALU_CYCLE_1)
	v_fmac_f32_e32 v114, v58, v59
	s_or_b32 s2, vcc_lo, s2
	s_and_not1_b32 exec_lo, exec_lo, s2
	s_cbranch_execnz .LBB85_157
; %bb.158:
	s_or_b32 exec_lo, exec_lo, s2
.LBB85_159:
	s_delay_alu instid0(SALU_CYCLE_1)
	s_or_b32 exec_lo, exec_lo, s1
.LBB85_160:
	s_delay_alu instid0(SALU_CYCLE_1)
	s_or_b32 exec_lo, exec_lo, s5
	v_mov_b32_e32 v44, 0
	ds_load_b32 v44, v44 offset:40
	s_wait_dscnt 0x0
	v_mul_f32_e32 v44, v114, v44
.LBB85_161:
	s_or_b32 exec_lo, exec_lo, s4
	v_cmp_lt_u32_e64 s1, 9, v0
	ds_store_b32 v113, v43
	s_wait_dscnt 0x0
	s_barrier_signal -1
	s_barrier_wait -1
	s_and_saveexec_b32 s4, s1
	s_cbranch_execz .LBB85_177
; %bb.162:
	s_and_not1_b32 vcc_lo, exec_lo, s26
	s_cbranch_vccnz .LBB85_164
; %bb.163:
	v_cmp_eq_u32_e32 vcc_lo, 1, v0
	ds_load_b32 v111, v113
	v_cndmask_b32_e32 v110, v34, v35, vcc_lo
	v_cmp_eq_u32_e32 vcc_lo, 2, v0
	s_delay_alu instid0(VALU_DEP_2) | instskip(SKIP_1) | instid1(VALU_DEP_2)
	v_cndmask_b32_e32 v110, v110, v36, vcc_lo
	v_cmp_eq_u32_e32 vcc_lo, 3, v0
	v_cndmask_b32_e32 v110, v110, v37, vcc_lo
	v_cmp_eq_u32_e32 vcc_lo, 4, v0
	s_delay_alu instid0(VALU_DEP_2) | instskip(SKIP_1) | instid1(VALU_DEP_2)
	v_cndmask_b32_e32 v110, v110, v38, vcc_lo
	v_cmp_eq_u32_e32 vcc_lo, 5, v0
	;; [unrolled: 5-line block ×10, first 2 shown]
	v_cndmask_b32_e32 v110, v110, v55, vcc_lo
	s_wait_dscnt 0x0
	s_delay_alu instid0(VALU_DEP_1)
	v_mul_f32_e32 v114, v110, v111
	s_cbranch_execz .LBB85_165
	s_branch .LBB85_166
.LBB85_164:
                                        ; implicit-def: $vgpr114
.LBB85_165:
	ds_load_b32 v114, v113
.LBB85_166:
	s_and_saveexec_b32 s5, s0
	s_cbranch_execz .LBB85_176
; %bb.167:
	v_dual_add_nc_u32 v110, -11, v0 :: v_dual_add_nc_u32 v111, -10, v0
	s_delay_alu instid0(VALU_DEP_1)
	v_cmp_lt_u32_e32 vcc_lo, 6, v110
	v_mov_b32_e32 v110, 10
	s_and_saveexec_b32 s0, vcc_lo
	s_cbranch_execz .LBB85_171
; %bb.168:
	v_and_b32_e32 v110, -8, v111
	s_mov_b32 s6, 0
	s_mov_b64 s[2:3], 17
	s_movk_i32 s7, 0x88
	s_delay_alu instid0(VALU_DEP_1)
	v_sub_nc_u32_e32 v112, 0, v110
.LBB85_169:                             ; =>This Inner Loop Header: Depth=1
	s_add_co_i32 m0, s2, -7
	v_movrels_b32_e32 v115, v34
	v_mov_b32_e32 v110, s7
	s_add_co_i32 m0, s2, -6
	s_add_co_i32 s7, s7, 32
	v_movrels_b32_e32 v124, v34
	s_add_co_i32 m0, s2, -5
	ds_load_2addr_b64 v[116:119], v110 offset1:1
	ds_load_2addr_b64 v[120:123], v110 offset0:2 offset1:3
	v_movrels_b32_e32 v110, v34
	s_add_co_i32 m0, s2, -4
	s_wait_dscnt 0x1
	v_fmac_f32_e32 v114, v115, v116
	v_movrels_b32_e32 v115, v34
	s_add_co_i32 m0, s2, -3
	s_delay_alu instid0(VALU_DEP_2) | instskip(NEXT) | instid1(VALU_DEP_1)
	v_fmac_f32_e32 v114, v124, v117
	v_fmac_f32_e32 v114, v110, v118
	v_movrels_b32_e32 v110, v34
	s_add_co_i32 m0, s2, -2
	s_delay_alu instid0(VALU_DEP_2) | instskip(SKIP_3) | instid1(VALU_DEP_2)
	v_fmac_f32_e32 v114, v115, v119
	v_movrels_b32_e32 v115, v34
	s_add_co_i32 m0, s2, -1
	s_wait_dscnt 0x0
	v_fmac_f32_e32 v114, v110, v120
	v_movrels_b32_e32 v110, v34
	s_mov_b32 m0, s2
	s_add_nc_u64 s[2:3], s[2:3], 8
	v_movrels_b32_e32 v116, v34
	v_dual_fmac_f32 v114, v115, v121 :: v_dual_add_nc_u32 v115, s2, v112
	s_add_co_i32 s8, s2, -7
	s_delay_alu instid0(VALU_DEP_1) | instskip(NEXT) | instid1(VALU_DEP_2)
	v_fmac_f32_e32 v114, v110, v122
	v_cmp_eq_u32_e32 vcc_lo, 17, v115
	s_delay_alu instid0(VALU_DEP_2) | instskip(SKIP_1) | instid1(SALU_CYCLE_1)
	v_dual_mov_b32 v110, s8 :: v_dual_fmac_f32 v114, v116, v123
	s_or_b32 s6, vcc_lo, s6
	s_and_not1_b32 exec_lo, exec_lo, s6
	s_cbranch_execnz .LBB85_169
; %bb.170:
	s_or_b32 exec_lo, exec_lo, s6
.LBB85_171:
	s_delay_alu instid0(SALU_CYCLE_1) | instskip(SKIP_3) | instid1(VALU_DEP_1)
	s_or_b32 exec_lo, exec_lo, s0
	v_and_b32_e32 v56, 7, v111
	s_mov_b32 s2, 0
	s_mov_b32 s0, exec_lo
	v_cmpx_ne_u32_e32 0, v56
	s_cbranch_execz .LBB85_175
; %bb.172:
	v_lshl_add_u32 v57, v110, 2, 0x60
	v_mov_b32_e32 v111, 0
.LBB85_173:                             ; =>This Inner Loop Header: Depth=1
	v_cmp_eq_u32_e32 vcc_lo, 1, v110
	ds_load_b32 v59, v57
	v_dual_add_nc_u32 v56, -1, v56 :: v_dual_add_nc_u32 v57, 4, v57
	v_cndmask_b32_e32 v58, v34, v35, vcc_lo
	v_cmp_eq_u32_e32 vcc_lo, 2, v110
	s_delay_alu instid0(VALU_DEP_2) | instskip(SKIP_1) | instid1(VALU_DEP_2)
	v_cndmask_b32_e32 v58, v58, v36, vcc_lo
	v_cmp_eq_u32_e32 vcc_lo, 3, v110
	v_cndmask_b32_e32 v58, v58, v37, vcc_lo
	v_cmp_eq_u32_e32 vcc_lo, 4, v110
	s_delay_alu instid0(VALU_DEP_2) | instskip(SKIP_1) | instid1(VALU_DEP_2)
	v_cndmask_b32_e32 v58, v58, v38, vcc_lo
	v_cmp_eq_u32_e32 vcc_lo, 5, v110
	;; [unrolled: 5-line block ×9, first 2 shown]
	v_cndmask_b32_e32 v58, v58, v53, vcc_lo
	v_cmp_eq_u32_e32 vcc_lo, 20, v110
	s_delay_alu instid0(VALU_DEP_2) | instskip(SKIP_2) | instid1(VALU_DEP_3)
	v_cndmask_b32_e32 v58, v58, v54, vcc_lo
	v_cmp_eq_u32_e32 vcc_lo, 21, v110
	v_add_nc_u64_e32 v[110:111], 1, v[110:111]
	v_cndmask_b32_e32 v58, v58, v55, vcc_lo
	v_cmp_eq_u32_e32 vcc_lo, 0, v56
	s_wait_dscnt 0x0
	s_delay_alu instid0(VALU_DEP_2) | instskip(SKIP_1) | instid1(SALU_CYCLE_1)
	v_fmac_f32_e32 v114, v58, v59
	s_or_b32 s2, vcc_lo, s2
	s_and_not1_b32 exec_lo, exec_lo, s2
	s_cbranch_execnz .LBB85_173
; %bb.174:
	s_or_b32 exec_lo, exec_lo, s2
.LBB85_175:
	s_delay_alu instid0(SALU_CYCLE_1)
	s_or_b32 exec_lo, exec_lo, s0
.LBB85_176:
	s_delay_alu instid0(SALU_CYCLE_1)
	s_or_b32 exec_lo, exec_lo, s5
	v_mov_b32_e32 v43, 0
	ds_load_b32 v43, v43 offset:36
	s_wait_dscnt 0x0
	v_mul_f32_e32 v43, v114, v43
.LBB85_177:
	s_or_b32 exec_lo, exec_lo, s4
	v_cmp_lt_u32_e64 s0, 8, v0
	ds_store_b32 v113, v42
	s_wait_dscnt 0x0
	s_barrier_signal -1
	s_barrier_wait -1
	s_and_saveexec_b32 s4, s0
	s_cbranch_execz .LBB85_193
; %bb.178:
	s_and_not1_b32 vcc_lo, exec_lo, s26
	s_cbranch_vccnz .LBB85_180
; %bb.179:
	v_cmp_eq_u32_e32 vcc_lo, 1, v0
	ds_load_b32 v111, v113
	v_cndmask_b32_e32 v110, v34, v35, vcc_lo
	v_cmp_eq_u32_e32 vcc_lo, 2, v0
	s_delay_alu instid0(VALU_DEP_2) | instskip(SKIP_1) | instid1(VALU_DEP_2)
	v_cndmask_b32_e32 v110, v110, v36, vcc_lo
	v_cmp_eq_u32_e32 vcc_lo, 3, v0
	v_cndmask_b32_e32 v110, v110, v37, vcc_lo
	v_cmp_eq_u32_e32 vcc_lo, 4, v0
	s_delay_alu instid0(VALU_DEP_2) | instskip(SKIP_1) | instid1(VALU_DEP_2)
	v_cndmask_b32_e32 v110, v110, v38, vcc_lo
	v_cmp_eq_u32_e32 vcc_lo, 5, v0
	;; [unrolled: 5-line block ×10, first 2 shown]
	v_cndmask_b32_e32 v110, v110, v55, vcc_lo
	s_wait_dscnt 0x0
	s_delay_alu instid0(VALU_DEP_1)
	v_mul_f32_e32 v114, v110, v111
	s_cbranch_execz .LBB85_181
	s_branch .LBB85_182
.LBB85_180:
                                        ; implicit-def: $vgpr114
.LBB85_181:
	ds_load_b32 v114, v113
.LBB85_182:
	s_and_saveexec_b32 s5, s1
	s_cbranch_execz .LBB85_192
; %bb.183:
	v_dual_add_nc_u32 v110, -10, v0 :: v_dual_add_nc_u32 v111, -9, v0
	s_delay_alu instid0(VALU_DEP_1)
	v_cmp_lt_u32_e32 vcc_lo, 6, v110
	v_mov_b32_e32 v110, 9
	s_and_saveexec_b32 s1, vcc_lo
	s_cbranch_execz .LBB85_187
; %bb.184:
	v_and_b32_e32 v110, -8, v111
	s_mov_b32 s6, 0
	s_mov_b64 s[2:3], 16
	s_movk_i32 s7, 0x84
	s_delay_alu instid0(VALU_DEP_1)
	v_sub_nc_u32_e32 v112, 0, v110
.LBB85_185:                             ; =>This Inner Loop Header: Depth=1
	s_add_co_i32 m0, s2, -7
	v_movrels_b32_e32 v115, v34
	v_mov_b32_e32 v110, s7
	s_add_co_i32 m0, s2, -6
	s_add_co_i32 s7, s7, 32
	v_movrels_b32_e32 v124, v34
	ds_load_2addr_b32 v[116:117], v110 offset1:1
	ds_load_2addr_b32 v[118:119], v110 offset0:2 offset1:3
	s_add_co_i32 m0, s2, -5
	s_wait_dscnt 0x1
	v_fmac_f32_e32 v114, v115, v116
	ds_load_2addr_b32 v[120:121], v110 offset0:4 offset1:5
	ds_load_2addr_b32 v[122:123], v110 offset0:6 offset1:7
	v_movrels_b32_e32 v110, v34
	s_add_co_i32 m0, s2, -4
	v_fmac_f32_e32 v114, v124, v117
	v_movrels_b32_e32 v115, v34
	s_add_co_i32 m0, s2, -3
	s_wait_dscnt 0x2
	s_delay_alu instid0(VALU_DEP_2) | instskip(SKIP_2) | instid1(VALU_DEP_2)
	v_fmac_f32_e32 v114, v110, v118
	v_movrels_b32_e32 v110, v34
	s_add_co_i32 m0, s2, -2
	v_fmac_f32_e32 v114, v115, v119
	v_movrels_b32_e32 v115, v34
	s_add_co_i32 m0, s2, -1
	s_wait_dscnt 0x1
	s_delay_alu instid0(VALU_DEP_2)
	v_fmac_f32_e32 v114, v110, v120
	v_movrels_b32_e32 v110, v34
	s_mov_b32 m0, s2
	s_add_nc_u64 s[2:3], s[2:3], 8
	v_movrels_b32_e32 v116, v34
	v_dual_fmac_f32 v114, v115, v121 :: v_dual_add_nc_u32 v115, s2, v112
	s_add_co_i32 s8, s2, -7
	s_wait_dscnt 0x0
	s_delay_alu instid0(VALU_DEP_1) | instskip(NEXT) | instid1(VALU_DEP_2)
	v_fmac_f32_e32 v114, v110, v122
	v_cmp_eq_u32_e32 vcc_lo, 16, v115
	s_delay_alu instid0(VALU_DEP_2) | instskip(SKIP_1) | instid1(SALU_CYCLE_1)
	v_dual_mov_b32 v110, s8 :: v_dual_fmac_f32 v114, v116, v123
	s_or_b32 s6, vcc_lo, s6
	s_and_not1_b32 exec_lo, exec_lo, s6
	s_cbranch_execnz .LBB85_185
; %bb.186:
	s_or_b32 exec_lo, exec_lo, s6
.LBB85_187:
	s_delay_alu instid0(SALU_CYCLE_1) | instskip(SKIP_3) | instid1(VALU_DEP_1)
	s_or_b32 exec_lo, exec_lo, s1
	v_and_b32_e32 v56, 7, v111
	s_mov_b32 s2, 0
	s_mov_b32 s1, exec_lo
	v_cmpx_ne_u32_e32 0, v56
	s_cbranch_execz .LBB85_191
; %bb.188:
	v_lshl_add_u32 v57, v110, 2, 0x60
	v_mov_b32_e32 v111, 0
.LBB85_189:                             ; =>This Inner Loop Header: Depth=1
	v_cmp_eq_u32_e32 vcc_lo, 1, v110
	ds_load_b32 v59, v57
	v_dual_add_nc_u32 v56, -1, v56 :: v_dual_add_nc_u32 v57, 4, v57
	v_cndmask_b32_e32 v58, v34, v35, vcc_lo
	v_cmp_eq_u32_e32 vcc_lo, 2, v110
	s_delay_alu instid0(VALU_DEP_2) | instskip(SKIP_1) | instid1(VALU_DEP_2)
	v_cndmask_b32_e32 v58, v58, v36, vcc_lo
	v_cmp_eq_u32_e32 vcc_lo, 3, v110
	v_cndmask_b32_e32 v58, v58, v37, vcc_lo
	v_cmp_eq_u32_e32 vcc_lo, 4, v110
	s_delay_alu instid0(VALU_DEP_2) | instskip(SKIP_1) | instid1(VALU_DEP_2)
	v_cndmask_b32_e32 v58, v58, v38, vcc_lo
	v_cmp_eq_u32_e32 vcc_lo, 5, v110
	;; [unrolled: 5-line block ×9, first 2 shown]
	v_cndmask_b32_e32 v58, v58, v53, vcc_lo
	v_cmp_eq_u32_e32 vcc_lo, 20, v110
	s_delay_alu instid0(VALU_DEP_2) | instskip(SKIP_2) | instid1(VALU_DEP_3)
	v_cndmask_b32_e32 v58, v58, v54, vcc_lo
	v_cmp_eq_u32_e32 vcc_lo, 21, v110
	v_add_nc_u64_e32 v[110:111], 1, v[110:111]
	v_cndmask_b32_e32 v58, v58, v55, vcc_lo
	v_cmp_eq_u32_e32 vcc_lo, 0, v56
	s_wait_dscnt 0x0
	s_delay_alu instid0(VALU_DEP_2) | instskip(SKIP_1) | instid1(SALU_CYCLE_1)
	v_fmac_f32_e32 v114, v58, v59
	s_or_b32 s2, vcc_lo, s2
	s_and_not1_b32 exec_lo, exec_lo, s2
	s_cbranch_execnz .LBB85_189
; %bb.190:
	s_or_b32 exec_lo, exec_lo, s2
.LBB85_191:
	s_delay_alu instid0(SALU_CYCLE_1)
	s_or_b32 exec_lo, exec_lo, s1
.LBB85_192:
	s_delay_alu instid0(SALU_CYCLE_1)
	s_or_b32 exec_lo, exec_lo, s5
	v_mov_b32_e32 v42, 0
	ds_load_b32 v42, v42 offset:32
	s_wait_dscnt 0x0
	v_mul_f32_e32 v42, v114, v42
.LBB85_193:
	s_or_b32 exec_lo, exec_lo, s4
	v_cmp_lt_u32_e64 s1, 7, v0
	ds_store_b32 v113, v41
	s_wait_dscnt 0x0
	s_barrier_signal -1
	s_barrier_wait -1
	s_and_saveexec_b32 s4, s1
	s_cbranch_execz .LBB85_209
; %bb.194:
	s_and_not1_b32 vcc_lo, exec_lo, s26
	s_cbranch_vccnz .LBB85_196
; %bb.195:
	v_cmp_eq_u32_e32 vcc_lo, 1, v0
	ds_load_b32 v111, v113
	v_cndmask_b32_e32 v110, v34, v35, vcc_lo
	v_cmp_eq_u32_e32 vcc_lo, 2, v0
	s_delay_alu instid0(VALU_DEP_2) | instskip(SKIP_1) | instid1(VALU_DEP_2)
	v_cndmask_b32_e32 v110, v110, v36, vcc_lo
	v_cmp_eq_u32_e32 vcc_lo, 3, v0
	v_cndmask_b32_e32 v110, v110, v37, vcc_lo
	v_cmp_eq_u32_e32 vcc_lo, 4, v0
	s_delay_alu instid0(VALU_DEP_2) | instskip(SKIP_1) | instid1(VALU_DEP_2)
	v_cndmask_b32_e32 v110, v110, v38, vcc_lo
	v_cmp_eq_u32_e32 vcc_lo, 5, v0
	v_cndmask_b32_e32 v110, v110, v39, vcc_lo
	v_cmp_eq_u32_e32 vcc_lo, 6, v0
	s_delay_alu instid0(VALU_DEP_2) | instskip(SKIP_1) | instid1(VALU_DEP_2)
	v_cndmask_b32_e32 v110, v110, v40, vcc_lo
	v_cmp_eq_u32_e32 vcc_lo, 7, v0
	v_cndmask_b32_e32 v110, v110, v41, vcc_lo
	v_cmp_eq_u32_e32 vcc_lo, 8, v0
	s_delay_alu instid0(VALU_DEP_2) | instskip(SKIP_1) | instid1(VALU_DEP_2)
	v_cndmask_b32_e32 v110, v110, v42, vcc_lo
	v_cmp_eq_u32_e32 vcc_lo, 9, v0
	v_cndmask_b32_e32 v110, v110, v43, vcc_lo
	v_cmp_eq_u32_e32 vcc_lo, 10, v0
	s_delay_alu instid0(VALU_DEP_2) | instskip(SKIP_1) | instid1(VALU_DEP_2)
	v_cndmask_b32_e32 v110, v110, v44, vcc_lo
	v_cmp_eq_u32_e32 vcc_lo, 11, v0
	v_cndmask_b32_e32 v110, v110, v45, vcc_lo
	v_cmp_eq_u32_e32 vcc_lo, 12, v0
	s_delay_alu instid0(VALU_DEP_2) | instskip(SKIP_1) | instid1(VALU_DEP_2)
	v_cndmask_b32_e32 v110, v110, v46, vcc_lo
	v_cmp_eq_u32_e32 vcc_lo, 13, v0
	v_cndmask_b32_e32 v110, v110, v47, vcc_lo
	v_cmp_eq_u32_e32 vcc_lo, 14, v0
	s_delay_alu instid0(VALU_DEP_2) | instskip(SKIP_1) | instid1(VALU_DEP_2)
	v_cndmask_b32_e32 v110, v110, v48, vcc_lo
	v_cmp_eq_u32_e32 vcc_lo, 15, v0
	v_cndmask_b32_e32 v110, v110, v49, vcc_lo
	v_cmp_eq_u32_e32 vcc_lo, 16, v0
	s_delay_alu instid0(VALU_DEP_2) | instskip(SKIP_1) | instid1(VALU_DEP_2)
	v_cndmask_b32_e32 v110, v110, v50, vcc_lo
	v_cmp_eq_u32_e32 vcc_lo, 17, v0
	v_cndmask_b32_e32 v110, v110, v51, vcc_lo
	v_cmp_eq_u32_e32 vcc_lo, 18, v0
	s_delay_alu instid0(VALU_DEP_2) | instskip(SKIP_1) | instid1(VALU_DEP_2)
	v_cndmask_b32_e32 v110, v110, v52, vcc_lo
	v_cmp_eq_u32_e32 vcc_lo, 19, v0
	v_cndmask_b32_e32 v110, v110, v53, vcc_lo
	v_cmp_eq_u32_e32 vcc_lo, 20, v0
	s_delay_alu instid0(VALU_DEP_2) | instskip(SKIP_1) | instid1(VALU_DEP_2)
	v_cndmask_b32_e32 v110, v110, v54, vcc_lo
	v_cmp_eq_u32_e32 vcc_lo, 21, v0
	v_cndmask_b32_e32 v110, v110, v55, vcc_lo
	s_wait_dscnt 0x0
	s_delay_alu instid0(VALU_DEP_1)
	v_mul_f32_e32 v114, v110, v111
	s_cbranch_execz .LBB85_197
	s_branch .LBB85_198
.LBB85_196:
                                        ; implicit-def: $vgpr114
.LBB85_197:
	ds_load_b32 v114, v113
.LBB85_198:
	s_and_saveexec_b32 s5, s0
	s_cbranch_execz .LBB85_208
; %bb.199:
	v_add_nc_u32_e32 v110, -9, v0
	s_delay_alu instid0(VALU_DEP_1)
	v_cmp_lt_u32_e32 vcc_lo, 6, v110
	v_mov_b32_e32 v110, 8
	s_and_saveexec_b32 s0, vcc_lo
	s_cbranch_execz .LBB85_203
; %bb.200:
	v_and_b32_e32 v110, 24, v0
	s_mov_b32 s6, 0
	s_mov_b64 s[2:3], 15
	s_movk_i32 s7, 0x80
	s_delay_alu instid0(VALU_DEP_1)
	v_sub_nc_u32_e32 v112, 0, v110
.LBB85_201:                             ; =>This Inner Loop Header: Depth=1
	s_add_co_i32 m0, s2, -7
	v_movrels_b32_e32 v111, v34
	v_mov_b32_e32 v110, s7
	s_add_co_i32 m0, s2, -6
	s_add_co_i32 s7, s7, 32
	v_movrels_b32_e32 v115, v34
	s_add_co_i32 m0, s2, -5
	ds_load_b128 v[116:119], v110
	ds_load_b128 v[120:123], v110 offset:16
	v_movrels_b32_e32 v110, v34
	s_add_co_i32 m0, s2, -4
	s_wait_dscnt 0x1
	v_fmac_f32_e32 v114, v111, v116
	v_movrels_b32_e32 v111, v34
	s_add_co_i32 m0, s2, -3
	s_delay_alu instid0(VALU_DEP_2) | instskip(NEXT) | instid1(VALU_DEP_1)
	v_fmac_f32_e32 v114, v115, v117
	v_fmac_f32_e32 v114, v110, v118
	v_movrels_b32_e32 v110, v34
	s_add_co_i32 m0, s2, -2
	s_delay_alu instid0(VALU_DEP_2) | instskip(SKIP_3) | instid1(VALU_DEP_2)
	v_fmac_f32_e32 v114, v111, v119
	v_movrels_b32_e32 v111, v34
	s_add_co_i32 m0, s2, -1
	s_wait_dscnt 0x0
	v_fmac_f32_e32 v114, v110, v120
	v_movrels_b32_e32 v110, v34
	s_mov_b32 m0, s2
	s_add_nc_u64 s[2:3], s[2:3], 8
	v_movrels_b32_e32 v115, v34
	v_dual_fmac_f32 v114, v111, v121 :: v_dual_add_nc_u32 v111, s2, v112
	s_add_co_i32 s8, s2, -7
	s_delay_alu instid0(VALU_DEP_1) | instskip(NEXT) | instid1(VALU_DEP_2)
	v_fmac_f32_e32 v114, v110, v122
	v_cmp_eq_u32_e32 vcc_lo, 7, v111
	s_delay_alu instid0(VALU_DEP_2) | instskip(SKIP_1) | instid1(SALU_CYCLE_1)
	v_dual_mov_b32 v110, s8 :: v_dual_fmac_f32 v114, v115, v123
	s_or_b32 s6, vcc_lo, s6
	s_and_not1_b32 exec_lo, exec_lo, s6
	s_cbranch_execnz .LBB85_201
; %bb.202:
	s_or_b32 exec_lo, exec_lo, s6
.LBB85_203:
	s_delay_alu instid0(SALU_CYCLE_1) | instskip(SKIP_3) | instid1(VALU_DEP_1)
	s_or_b32 exec_lo, exec_lo, s0
	v_and_b32_e32 v56, 7, v0
	s_mov_b32 s2, 0
	s_mov_b32 s0, exec_lo
	v_cmpx_ne_u32_e32 0, v56
	s_cbranch_execz .LBB85_207
; %bb.204:
	v_lshl_add_u32 v57, v110, 2, 0x60
	v_mov_b32_e32 v111, 0
.LBB85_205:                             ; =>This Inner Loop Header: Depth=1
	v_cmp_eq_u32_e32 vcc_lo, 1, v110
	ds_load_b32 v59, v57
	v_dual_add_nc_u32 v56, -1, v56 :: v_dual_add_nc_u32 v57, 4, v57
	v_cndmask_b32_e32 v58, v34, v35, vcc_lo
	v_cmp_eq_u32_e32 vcc_lo, 2, v110
	s_delay_alu instid0(VALU_DEP_2) | instskip(SKIP_1) | instid1(VALU_DEP_2)
	v_cndmask_b32_e32 v58, v58, v36, vcc_lo
	v_cmp_eq_u32_e32 vcc_lo, 3, v110
	v_cndmask_b32_e32 v58, v58, v37, vcc_lo
	v_cmp_eq_u32_e32 vcc_lo, 4, v110
	s_delay_alu instid0(VALU_DEP_2) | instskip(SKIP_1) | instid1(VALU_DEP_2)
	v_cndmask_b32_e32 v58, v58, v38, vcc_lo
	v_cmp_eq_u32_e32 vcc_lo, 5, v110
	;; [unrolled: 5-line block ×9, first 2 shown]
	v_cndmask_b32_e32 v58, v58, v53, vcc_lo
	v_cmp_eq_u32_e32 vcc_lo, 20, v110
	s_delay_alu instid0(VALU_DEP_2) | instskip(SKIP_2) | instid1(VALU_DEP_3)
	v_cndmask_b32_e32 v58, v58, v54, vcc_lo
	v_cmp_eq_u32_e32 vcc_lo, 21, v110
	v_add_nc_u64_e32 v[110:111], 1, v[110:111]
	v_cndmask_b32_e32 v58, v58, v55, vcc_lo
	v_cmp_eq_u32_e32 vcc_lo, 0, v56
	s_wait_dscnt 0x0
	s_delay_alu instid0(VALU_DEP_2) | instskip(SKIP_1) | instid1(SALU_CYCLE_1)
	v_fmac_f32_e32 v114, v58, v59
	s_or_b32 s2, vcc_lo, s2
	s_and_not1_b32 exec_lo, exec_lo, s2
	s_cbranch_execnz .LBB85_205
; %bb.206:
	s_or_b32 exec_lo, exec_lo, s2
.LBB85_207:
	s_delay_alu instid0(SALU_CYCLE_1)
	s_or_b32 exec_lo, exec_lo, s0
.LBB85_208:
	s_delay_alu instid0(SALU_CYCLE_1)
	s_or_b32 exec_lo, exec_lo, s5
	v_mov_b32_e32 v41, 0
	ds_load_b32 v41, v41 offset:28
	s_wait_dscnt 0x0
	v_mul_f32_e32 v41, v114, v41
.LBB85_209:
	s_or_b32 exec_lo, exec_lo, s4
	v_cmp_lt_u32_e64 s0, 6, v0
	ds_store_b32 v113, v40
	s_wait_dscnt 0x0
	s_barrier_signal -1
	s_barrier_wait -1
	s_and_saveexec_b32 s4, s0
	s_cbranch_execz .LBB85_225
; %bb.210:
	s_and_not1_b32 vcc_lo, exec_lo, s26
	s_cbranch_vccnz .LBB85_212
; %bb.211:
	v_cmp_eq_u32_e32 vcc_lo, 1, v0
	ds_load_b32 v111, v113
	v_cndmask_b32_e32 v110, v34, v35, vcc_lo
	v_cmp_eq_u32_e32 vcc_lo, 2, v0
	s_delay_alu instid0(VALU_DEP_2) | instskip(SKIP_1) | instid1(VALU_DEP_2)
	v_cndmask_b32_e32 v110, v110, v36, vcc_lo
	v_cmp_eq_u32_e32 vcc_lo, 3, v0
	v_cndmask_b32_e32 v110, v110, v37, vcc_lo
	v_cmp_eq_u32_e32 vcc_lo, 4, v0
	s_delay_alu instid0(VALU_DEP_2) | instskip(SKIP_1) | instid1(VALU_DEP_2)
	v_cndmask_b32_e32 v110, v110, v38, vcc_lo
	v_cmp_eq_u32_e32 vcc_lo, 5, v0
	v_cndmask_b32_e32 v110, v110, v39, vcc_lo
	v_cmp_eq_u32_e32 vcc_lo, 6, v0
	s_delay_alu instid0(VALU_DEP_2) | instskip(SKIP_1) | instid1(VALU_DEP_2)
	v_cndmask_b32_e32 v110, v110, v40, vcc_lo
	v_cmp_eq_u32_e32 vcc_lo, 7, v0
	v_cndmask_b32_e32 v110, v110, v41, vcc_lo
	v_cmp_eq_u32_e32 vcc_lo, 8, v0
	s_delay_alu instid0(VALU_DEP_2) | instskip(SKIP_1) | instid1(VALU_DEP_2)
	v_cndmask_b32_e32 v110, v110, v42, vcc_lo
	v_cmp_eq_u32_e32 vcc_lo, 9, v0
	v_cndmask_b32_e32 v110, v110, v43, vcc_lo
	v_cmp_eq_u32_e32 vcc_lo, 10, v0
	s_delay_alu instid0(VALU_DEP_2) | instskip(SKIP_1) | instid1(VALU_DEP_2)
	v_cndmask_b32_e32 v110, v110, v44, vcc_lo
	v_cmp_eq_u32_e32 vcc_lo, 11, v0
	v_cndmask_b32_e32 v110, v110, v45, vcc_lo
	v_cmp_eq_u32_e32 vcc_lo, 12, v0
	s_delay_alu instid0(VALU_DEP_2) | instskip(SKIP_1) | instid1(VALU_DEP_2)
	v_cndmask_b32_e32 v110, v110, v46, vcc_lo
	v_cmp_eq_u32_e32 vcc_lo, 13, v0
	v_cndmask_b32_e32 v110, v110, v47, vcc_lo
	v_cmp_eq_u32_e32 vcc_lo, 14, v0
	s_delay_alu instid0(VALU_DEP_2) | instskip(SKIP_1) | instid1(VALU_DEP_2)
	v_cndmask_b32_e32 v110, v110, v48, vcc_lo
	v_cmp_eq_u32_e32 vcc_lo, 15, v0
	v_cndmask_b32_e32 v110, v110, v49, vcc_lo
	v_cmp_eq_u32_e32 vcc_lo, 16, v0
	s_delay_alu instid0(VALU_DEP_2) | instskip(SKIP_1) | instid1(VALU_DEP_2)
	v_cndmask_b32_e32 v110, v110, v50, vcc_lo
	v_cmp_eq_u32_e32 vcc_lo, 17, v0
	v_cndmask_b32_e32 v110, v110, v51, vcc_lo
	v_cmp_eq_u32_e32 vcc_lo, 18, v0
	s_delay_alu instid0(VALU_DEP_2) | instskip(SKIP_1) | instid1(VALU_DEP_2)
	v_cndmask_b32_e32 v110, v110, v52, vcc_lo
	v_cmp_eq_u32_e32 vcc_lo, 19, v0
	v_cndmask_b32_e32 v110, v110, v53, vcc_lo
	v_cmp_eq_u32_e32 vcc_lo, 20, v0
	s_delay_alu instid0(VALU_DEP_2) | instskip(SKIP_1) | instid1(VALU_DEP_2)
	v_cndmask_b32_e32 v110, v110, v54, vcc_lo
	v_cmp_eq_u32_e32 vcc_lo, 21, v0
	v_cndmask_b32_e32 v110, v110, v55, vcc_lo
	s_wait_dscnt 0x0
	s_delay_alu instid0(VALU_DEP_1)
	v_mul_f32_e32 v114, v110, v111
	s_cbranch_execz .LBB85_213
	s_branch .LBB85_214
.LBB85_212:
                                        ; implicit-def: $vgpr114
.LBB85_213:
	ds_load_b32 v114, v113
.LBB85_214:
	s_and_saveexec_b32 s5, s1
	s_cbranch_execz .LBB85_224
; %bb.215:
	v_dual_add_nc_u32 v110, -8, v0 :: v_dual_add_nc_u32 v111, -7, v0
	s_delay_alu instid0(VALU_DEP_1)
	v_cmp_lt_u32_e32 vcc_lo, 6, v110
	v_mov_b32_e32 v110, 7
	s_and_saveexec_b32 s1, vcc_lo
	s_cbranch_execz .LBB85_219
; %bb.216:
	v_and_b32_e32 v110, -8, v111
	s_mov_b32 s6, 0
	s_mov_b64 s[2:3], 14
	s_movk_i32 s7, 0x7c
	s_delay_alu instid0(VALU_DEP_1)
	v_sub_nc_u32_e32 v112, 0, v110
.LBB85_217:                             ; =>This Inner Loop Header: Depth=1
	s_add_co_i32 m0, s2, -7
	v_movrels_b32_e32 v115, v34
	v_mov_b32_e32 v110, s7
	s_add_co_i32 m0, s2, -6
	s_add_co_i32 s7, s7, 32
	v_movrels_b32_e32 v124, v34
	ds_load_2addr_b32 v[116:117], v110 offset1:1
	ds_load_2addr_b32 v[118:119], v110 offset0:2 offset1:3
	s_add_co_i32 m0, s2, -5
	s_wait_dscnt 0x1
	v_fmac_f32_e32 v114, v115, v116
	ds_load_2addr_b32 v[120:121], v110 offset0:4 offset1:5
	ds_load_2addr_b32 v[122:123], v110 offset0:6 offset1:7
	v_movrels_b32_e32 v110, v34
	s_add_co_i32 m0, s2, -4
	v_fmac_f32_e32 v114, v124, v117
	v_movrels_b32_e32 v115, v34
	s_add_co_i32 m0, s2, -3
	s_wait_dscnt 0x2
	s_delay_alu instid0(VALU_DEP_2) | instskip(SKIP_2) | instid1(VALU_DEP_2)
	v_fmac_f32_e32 v114, v110, v118
	v_movrels_b32_e32 v110, v34
	s_add_co_i32 m0, s2, -2
	v_fmac_f32_e32 v114, v115, v119
	v_movrels_b32_e32 v115, v34
	s_add_co_i32 m0, s2, -1
	s_wait_dscnt 0x1
	s_delay_alu instid0(VALU_DEP_2)
	v_fmac_f32_e32 v114, v110, v120
	v_movrels_b32_e32 v110, v34
	s_mov_b32 m0, s2
	s_add_nc_u64 s[2:3], s[2:3], 8
	v_movrels_b32_e32 v116, v34
	v_dual_fmac_f32 v114, v115, v121 :: v_dual_add_nc_u32 v115, s2, v112
	s_add_co_i32 s8, s2, -7
	s_wait_dscnt 0x0
	s_delay_alu instid0(VALU_DEP_1) | instskip(NEXT) | instid1(VALU_DEP_2)
	v_fmac_f32_e32 v114, v110, v122
	v_cmp_eq_u32_e32 vcc_lo, 14, v115
	s_delay_alu instid0(VALU_DEP_2) | instskip(SKIP_1) | instid1(SALU_CYCLE_1)
	v_dual_mov_b32 v110, s8 :: v_dual_fmac_f32 v114, v116, v123
	s_or_b32 s6, vcc_lo, s6
	s_and_not1_b32 exec_lo, exec_lo, s6
	s_cbranch_execnz .LBB85_217
; %bb.218:
	s_or_b32 exec_lo, exec_lo, s6
.LBB85_219:
	s_delay_alu instid0(SALU_CYCLE_1) | instskip(SKIP_3) | instid1(VALU_DEP_1)
	s_or_b32 exec_lo, exec_lo, s1
	v_and_b32_e32 v56, 7, v111
	s_mov_b32 s2, 0
	s_mov_b32 s1, exec_lo
	v_cmpx_ne_u32_e32 0, v56
	s_cbranch_execz .LBB85_223
; %bb.220:
	v_lshl_add_u32 v57, v110, 2, 0x60
	v_mov_b32_e32 v111, 0
.LBB85_221:                             ; =>This Inner Loop Header: Depth=1
	v_cmp_eq_u32_e32 vcc_lo, 1, v110
	ds_load_b32 v59, v57
	v_dual_add_nc_u32 v56, -1, v56 :: v_dual_add_nc_u32 v57, 4, v57
	v_cndmask_b32_e32 v58, v34, v35, vcc_lo
	v_cmp_eq_u32_e32 vcc_lo, 2, v110
	s_delay_alu instid0(VALU_DEP_2) | instskip(SKIP_1) | instid1(VALU_DEP_2)
	v_cndmask_b32_e32 v58, v58, v36, vcc_lo
	v_cmp_eq_u32_e32 vcc_lo, 3, v110
	v_cndmask_b32_e32 v58, v58, v37, vcc_lo
	v_cmp_eq_u32_e32 vcc_lo, 4, v110
	s_delay_alu instid0(VALU_DEP_2) | instskip(SKIP_1) | instid1(VALU_DEP_2)
	v_cndmask_b32_e32 v58, v58, v38, vcc_lo
	v_cmp_eq_u32_e32 vcc_lo, 5, v110
	;; [unrolled: 5-line block ×9, first 2 shown]
	v_cndmask_b32_e32 v58, v58, v53, vcc_lo
	v_cmp_eq_u32_e32 vcc_lo, 20, v110
	s_delay_alu instid0(VALU_DEP_2) | instskip(SKIP_2) | instid1(VALU_DEP_3)
	v_cndmask_b32_e32 v58, v58, v54, vcc_lo
	v_cmp_eq_u32_e32 vcc_lo, 21, v110
	v_add_nc_u64_e32 v[110:111], 1, v[110:111]
	v_cndmask_b32_e32 v58, v58, v55, vcc_lo
	v_cmp_eq_u32_e32 vcc_lo, 0, v56
	s_wait_dscnt 0x0
	s_delay_alu instid0(VALU_DEP_2) | instskip(SKIP_1) | instid1(SALU_CYCLE_1)
	v_fmac_f32_e32 v114, v58, v59
	s_or_b32 s2, vcc_lo, s2
	s_and_not1_b32 exec_lo, exec_lo, s2
	s_cbranch_execnz .LBB85_221
; %bb.222:
	s_or_b32 exec_lo, exec_lo, s2
.LBB85_223:
	s_delay_alu instid0(SALU_CYCLE_1)
	s_or_b32 exec_lo, exec_lo, s1
.LBB85_224:
	s_delay_alu instid0(SALU_CYCLE_1)
	s_or_b32 exec_lo, exec_lo, s5
	v_mov_b32_e32 v40, 0
	ds_load_b32 v40, v40 offset:24
	s_wait_dscnt 0x0
	v_mul_f32_e32 v40, v114, v40
.LBB85_225:
	s_or_b32 exec_lo, exec_lo, s4
	v_cmp_lt_u32_e64 s1, 5, v0
	ds_store_b32 v113, v39
	s_wait_dscnt 0x0
	s_barrier_signal -1
	s_barrier_wait -1
	s_and_saveexec_b32 s4, s1
	s_cbranch_execz .LBB85_241
; %bb.226:
	s_and_not1_b32 vcc_lo, exec_lo, s26
	s_cbranch_vccnz .LBB85_228
; %bb.227:
	v_cmp_eq_u32_e32 vcc_lo, 1, v0
	ds_load_b32 v111, v113
	v_cndmask_b32_e32 v110, v34, v35, vcc_lo
	v_cmp_eq_u32_e32 vcc_lo, 2, v0
	s_delay_alu instid0(VALU_DEP_2) | instskip(SKIP_1) | instid1(VALU_DEP_2)
	v_cndmask_b32_e32 v110, v110, v36, vcc_lo
	v_cmp_eq_u32_e32 vcc_lo, 3, v0
	v_cndmask_b32_e32 v110, v110, v37, vcc_lo
	v_cmp_eq_u32_e32 vcc_lo, 4, v0
	s_delay_alu instid0(VALU_DEP_2) | instskip(SKIP_1) | instid1(VALU_DEP_2)
	v_cndmask_b32_e32 v110, v110, v38, vcc_lo
	v_cmp_eq_u32_e32 vcc_lo, 5, v0
	;; [unrolled: 5-line block ×10, first 2 shown]
	v_cndmask_b32_e32 v110, v110, v55, vcc_lo
	s_wait_dscnt 0x0
	s_delay_alu instid0(VALU_DEP_1)
	v_mul_f32_e32 v114, v110, v111
	s_cbranch_execz .LBB85_229
	s_branch .LBB85_230
.LBB85_228:
                                        ; implicit-def: $vgpr114
.LBB85_229:
	ds_load_b32 v114, v113
.LBB85_230:
	s_and_saveexec_b32 s5, s0
	s_cbranch_execz .LBB85_240
; %bb.231:
	v_dual_add_nc_u32 v112, -7, v0 :: v_dual_add_nc_u32 v111, -6, v0
	v_mov_b32_e32 v110, 6
	s_mov_b32 s0, exec_lo
	s_delay_alu instid0(VALU_DEP_2)
	v_cmpx_lt_u32_e32 6, v112
	s_cbranch_execz .LBB85_235
; %bb.232:
	v_and_b32_e32 v110, -8, v111
	s_mov_b32 s6, 0
	s_mov_b64 s[2:3], 13
	s_movk_i32 s7, 0x78
	s_delay_alu instid0(VALU_DEP_1)
	v_sub_nc_u32_e32 v112, 0, v110
.LBB85_233:                             ; =>This Inner Loop Header: Depth=1
	s_add_co_i32 m0, s2, -7
	v_movrels_b32_e32 v115, v34
	v_mov_b32_e32 v110, s7
	s_add_co_i32 m0, s2, -6
	s_add_co_i32 s7, s7, 32
	v_movrels_b32_e32 v124, v34
	s_add_co_i32 m0, s2, -5
	ds_load_2addr_b64 v[116:119], v110 offset1:1
	ds_load_2addr_b64 v[120:123], v110 offset0:2 offset1:3
	v_movrels_b32_e32 v110, v34
	s_add_co_i32 m0, s2, -4
	s_wait_dscnt 0x1
	v_fmac_f32_e32 v114, v115, v116
	v_movrels_b32_e32 v115, v34
	s_add_co_i32 m0, s2, -3
	s_delay_alu instid0(VALU_DEP_2) | instskip(NEXT) | instid1(VALU_DEP_1)
	v_fmac_f32_e32 v114, v124, v117
	v_fmac_f32_e32 v114, v110, v118
	v_movrels_b32_e32 v110, v34
	s_add_co_i32 m0, s2, -2
	s_delay_alu instid0(VALU_DEP_2) | instskip(SKIP_3) | instid1(VALU_DEP_2)
	v_fmac_f32_e32 v114, v115, v119
	v_movrels_b32_e32 v115, v34
	s_add_co_i32 m0, s2, -1
	s_wait_dscnt 0x0
	v_fmac_f32_e32 v114, v110, v120
	v_movrels_b32_e32 v110, v34
	s_mov_b32 m0, s2
	s_add_nc_u64 s[2:3], s[2:3], 8
	v_movrels_b32_e32 v116, v34
	v_dual_fmac_f32 v114, v115, v121 :: v_dual_add_nc_u32 v115, s2, v112
	s_add_co_i32 s8, s2, -7
	s_delay_alu instid0(VALU_DEP_1) | instskip(NEXT) | instid1(VALU_DEP_2)
	v_fmac_f32_e32 v114, v110, v122
	v_cmp_eq_u32_e32 vcc_lo, 13, v115
	s_delay_alu instid0(VALU_DEP_2) | instskip(SKIP_1) | instid1(SALU_CYCLE_1)
	v_dual_mov_b32 v110, s8 :: v_dual_fmac_f32 v114, v116, v123
	s_or_b32 s6, vcc_lo, s6
	s_and_not1_b32 exec_lo, exec_lo, s6
	s_cbranch_execnz .LBB85_233
; %bb.234:
	s_or_b32 exec_lo, exec_lo, s6
.LBB85_235:
	s_delay_alu instid0(SALU_CYCLE_1) | instskip(SKIP_3) | instid1(VALU_DEP_1)
	s_or_b32 exec_lo, exec_lo, s0
	v_and_b32_e32 v56, 7, v111
	s_mov_b32 s2, 0
	s_mov_b32 s0, exec_lo
	v_cmpx_ne_u32_e32 0, v56
	s_cbranch_execz .LBB85_239
; %bb.236:
	v_lshl_add_u32 v57, v110, 2, 0x60
	v_mov_b32_e32 v111, 0
.LBB85_237:                             ; =>This Inner Loop Header: Depth=1
	v_cmp_eq_u32_e32 vcc_lo, 1, v110
	ds_load_b32 v59, v57
	v_dual_add_nc_u32 v56, -1, v56 :: v_dual_add_nc_u32 v57, 4, v57
	v_cndmask_b32_e32 v58, v34, v35, vcc_lo
	v_cmp_eq_u32_e32 vcc_lo, 2, v110
	s_delay_alu instid0(VALU_DEP_2) | instskip(SKIP_1) | instid1(VALU_DEP_2)
	v_cndmask_b32_e32 v58, v58, v36, vcc_lo
	v_cmp_eq_u32_e32 vcc_lo, 3, v110
	v_cndmask_b32_e32 v58, v58, v37, vcc_lo
	v_cmp_eq_u32_e32 vcc_lo, 4, v110
	s_delay_alu instid0(VALU_DEP_2) | instskip(SKIP_1) | instid1(VALU_DEP_2)
	v_cndmask_b32_e32 v58, v58, v38, vcc_lo
	v_cmp_eq_u32_e32 vcc_lo, 5, v110
	;; [unrolled: 5-line block ×9, first 2 shown]
	v_cndmask_b32_e32 v58, v58, v53, vcc_lo
	v_cmp_eq_u32_e32 vcc_lo, 20, v110
	s_delay_alu instid0(VALU_DEP_2) | instskip(SKIP_2) | instid1(VALU_DEP_3)
	v_cndmask_b32_e32 v58, v58, v54, vcc_lo
	v_cmp_eq_u32_e32 vcc_lo, 21, v110
	v_add_nc_u64_e32 v[110:111], 1, v[110:111]
	v_cndmask_b32_e32 v58, v58, v55, vcc_lo
	v_cmp_eq_u32_e32 vcc_lo, 0, v56
	s_wait_dscnt 0x0
	s_delay_alu instid0(VALU_DEP_2) | instskip(SKIP_1) | instid1(SALU_CYCLE_1)
	v_fmac_f32_e32 v114, v58, v59
	s_or_b32 s2, vcc_lo, s2
	s_and_not1_b32 exec_lo, exec_lo, s2
	s_cbranch_execnz .LBB85_237
; %bb.238:
	s_or_b32 exec_lo, exec_lo, s2
.LBB85_239:
	s_delay_alu instid0(SALU_CYCLE_1)
	s_or_b32 exec_lo, exec_lo, s0
.LBB85_240:
	s_delay_alu instid0(SALU_CYCLE_1)
	s_or_b32 exec_lo, exec_lo, s5
	v_mov_b32_e32 v39, 0
	ds_load_b32 v39, v39 offset:20
	s_wait_dscnt 0x0
	v_mul_f32_e32 v39, v114, v39
.LBB85_241:
	s_or_b32 exec_lo, exec_lo, s4
	v_cmp_lt_u32_e64 s0, 4, v0
	ds_store_b32 v113, v38
	s_wait_dscnt 0x0
	s_barrier_signal -1
	s_barrier_wait -1
	s_and_saveexec_b32 s4, s0
	s_cbranch_execz .LBB85_257
; %bb.242:
	s_and_not1_b32 vcc_lo, exec_lo, s26
	s_cbranch_vccnz .LBB85_244
; %bb.243:
	v_cmp_eq_u32_e32 vcc_lo, 1, v0
	ds_load_b32 v111, v113
	v_cndmask_b32_e32 v110, v34, v35, vcc_lo
	v_cmp_eq_u32_e32 vcc_lo, 2, v0
	s_delay_alu instid0(VALU_DEP_2) | instskip(SKIP_1) | instid1(VALU_DEP_2)
	v_cndmask_b32_e32 v110, v110, v36, vcc_lo
	v_cmp_eq_u32_e32 vcc_lo, 3, v0
	v_cndmask_b32_e32 v110, v110, v37, vcc_lo
	v_cmp_eq_u32_e32 vcc_lo, 4, v0
	s_delay_alu instid0(VALU_DEP_2) | instskip(SKIP_1) | instid1(VALU_DEP_2)
	v_cndmask_b32_e32 v110, v110, v38, vcc_lo
	v_cmp_eq_u32_e32 vcc_lo, 5, v0
	;; [unrolled: 5-line block ×10, first 2 shown]
	v_cndmask_b32_e32 v110, v110, v55, vcc_lo
	s_wait_dscnt 0x0
	s_delay_alu instid0(VALU_DEP_1)
	v_mul_f32_e32 v114, v110, v111
	s_cbranch_execz .LBB85_245
	s_branch .LBB85_246
.LBB85_244:
                                        ; implicit-def: $vgpr114
.LBB85_245:
	ds_load_b32 v114, v113
.LBB85_246:
	s_and_saveexec_b32 s5, s1
	s_cbranch_execz .LBB85_256
; %bb.247:
	v_dual_add_nc_u32 v110, -6, v0 :: v_dual_add_nc_u32 v111, -5, v0
	s_delay_alu instid0(VALU_DEP_1)
	v_cmp_lt_u32_e32 vcc_lo, 6, v110
	v_mov_b32_e32 v110, 5
	s_and_saveexec_b32 s1, vcc_lo
	s_cbranch_execz .LBB85_251
; %bb.248:
	v_and_b32_e32 v110, -8, v111
	s_mov_b32 s6, 0
	s_mov_b64 s[2:3], 12
	s_movk_i32 s7, 0x74
	s_delay_alu instid0(VALU_DEP_1)
	v_sub_nc_u32_e32 v112, 0, v110
.LBB85_249:                             ; =>This Inner Loop Header: Depth=1
	s_add_co_i32 m0, s2, -7
	v_movrels_b32_e32 v115, v34
	v_mov_b32_e32 v110, s7
	s_add_co_i32 m0, s2, -6
	s_add_co_i32 s7, s7, 32
	v_movrels_b32_e32 v124, v34
	ds_load_2addr_b32 v[116:117], v110 offset1:1
	ds_load_2addr_b32 v[118:119], v110 offset0:2 offset1:3
	s_add_co_i32 m0, s2, -5
	s_wait_dscnt 0x1
	v_fmac_f32_e32 v114, v115, v116
	ds_load_2addr_b32 v[120:121], v110 offset0:4 offset1:5
	ds_load_2addr_b32 v[122:123], v110 offset0:6 offset1:7
	v_movrels_b32_e32 v110, v34
	s_add_co_i32 m0, s2, -4
	v_fmac_f32_e32 v114, v124, v117
	v_movrels_b32_e32 v115, v34
	s_add_co_i32 m0, s2, -3
	s_wait_dscnt 0x2
	s_delay_alu instid0(VALU_DEP_2) | instskip(SKIP_2) | instid1(VALU_DEP_2)
	v_fmac_f32_e32 v114, v110, v118
	v_movrels_b32_e32 v110, v34
	s_add_co_i32 m0, s2, -2
	v_fmac_f32_e32 v114, v115, v119
	v_movrels_b32_e32 v115, v34
	s_add_co_i32 m0, s2, -1
	s_wait_dscnt 0x1
	s_delay_alu instid0(VALU_DEP_2)
	v_fmac_f32_e32 v114, v110, v120
	v_movrels_b32_e32 v110, v34
	s_mov_b32 m0, s2
	s_add_nc_u64 s[2:3], s[2:3], 8
	v_movrels_b32_e32 v116, v34
	v_dual_fmac_f32 v114, v115, v121 :: v_dual_add_nc_u32 v115, s2, v112
	s_add_co_i32 s8, s2, -7
	s_wait_dscnt 0x0
	s_delay_alu instid0(VALU_DEP_1) | instskip(NEXT) | instid1(VALU_DEP_2)
	v_fmac_f32_e32 v114, v110, v122
	v_cmp_eq_u32_e32 vcc_lo, 12, v115
	s_delay_alu instid0(VALU_DEP_2) | instskip(SKIP_1) | instid1(SALU_CYCLE_1)
	v_dual_mov_b32 v110, s8 :: v_dual_fmac_f32 v114, v116, v123
	s_or_b32 s6, vcc_lo, s6
	s_and_not1_b32 exec_lo, exec_lo, s6
	s_cbranch_execnz .LBB85_249
; %bb.250:
	s_or_b32 exec_lo, exec_lo, s6
.LBB85_251:
	s_delay_alu instid0(SALU_CYCLE_1) | instskip(SKIP_3) | instid1(VALU_DEP_1)
	s_or_b32 exec_lo, exec_lo, s1
	v_and_b32_e32 v56, 7, v111
	s_mov_b32 s2, 0
	s_mov_b32 s1, exec_lo
	v_cmpx_ne_u32_e32 0, v56
	s_cbranch_execz .LBB85_255
; %bb.252:
	v_lshl_add_u32 v57, v110, 2, 0x60
	v_mov_b32_e32 v111, 0
.LBB85_253:                             ; =>This Inner Loop Header: Depth=1
	v_cmp_eq_u32_e32 vcc_lo, 1, v110
	ds_load_b32 v59, v57
	v_dual_add_nc_u32 v56, -1, v56 :: v_dual_add_nc_u32 v57, 4, v57
	v_cndmask_b32_e32 v58, v34, v35, vcc_lo
	v_cmp_eq_u32_e32 vcc_lo, 2, v110
	s_delay_alu instid0(VALU_DEP_2) | instskip(SKIP_1) | instid1(VALU_DEP_2)
	v_cndmask_b32_e32 v58, v58, v36, vcc_lo
	v_cmp_eq_u32_e32 vcc_lo, 3, v110
	v_cndmask_b32_e32 v58, v58, v37, vcc_lo
	v_cmp_eq_u32_e32 vcc_lo, 4, v110
	s_delay_alu instid0(VALU_DEP_2) | instskip(SKIP_1) | instid1(VALU_DEP_2)
	v_cndmask_b32_e32 v58, v58, v38, vcc_lo
	v_cmp_eq_u32_e32 vcc_lo, 5, v110
	;; [unrolled: 5-line block ×9, first 2 shown]
	v_cndmask_b32_e32 v58, v58, v53, vcc_lo
	v_cmp_eq_u32_e32 vcc_lo, 20, v110
	s_delay_alu instid0(VALU_DEP_2) | instskip(SKIP_2) | instid1(VALU_DEP_3)
	v_cndmask_b32_e32 v58, v58, v54, vcc_lo
	v_cmp_eq_u32_e32 vcc_lo, 21, v110
	v_add_nc_u64_e32 v[110:111], 1, v[110:111]
	v_cndmask_b32_e32 v58, v58, v55, vcc_lo
	v_cmp_eq_u32_e32 vcc_lo, 0, v56
	s_wait_dscnt 0x0
	s_delay_alu instid0(VALU_DEP_2) | instskip(SKIP_1) | instid1(SALU_CYCLE_1)
	v_fmac_f32_e32 v114, v58, v59
	s_or_b32 s2, vcc_lo, s2
	s_and_not1_b32 exec_lo, exec_lo, s2
	s_cbranch_execnz .LBB85_253
; %bb.254:
	s_or_b32 exec_lo, exec_lo, s2
.LBB85_255:
	s_delay_alu instid0(SALU_CYCLE_1)
	s_or_b32 exec_lo, exec_lo, s1
.LBB85_256:
	s_delay_alu instid0(SALU_CYCLE_1)
	s_or_b32 exec_lo, exec_lo, s5
	v_mov_b32_e32 v38, 0
	ds_load_b32 v38, v38 offset:16
	s_wait_dscnt 0x0
	v_mul_f32_e32 v38, v114, v38
.LBB85_257:
	s_or_b32 exec_lo, exec_lo, s4
	v_cmp_lt_u32_e64 s1, 3, v0
	ds_store_b32 v113, v37
	s_wait_dscnt 0x0
	s_barrier_signal -1
	s_barrier_wait -1
	s_and_saveexec_b32 s4, s1
	s_cbranch_execz .LBB85_273
; %bb.258:
	s_and_not1_b32 vcc_lo, exec_lo, s26
	s_cbranch_vccnz .LBB85_260
; %bb.259:
	v_cmp_eq_u32_e32 vcc_lo, 1, v0
	ds_load_b32 v111, v113
	v_cndmask_b32_e32 v110, v34, v35, vcc_lo
	v_cmp_eq_u32_e32 vcc_lo, 2, v0
	s_delay_alu instid0(VALU_DEP_2) | instskip(SKIP_1) | instid1(VALU_DEP_2)
	v_cndmask_b32_e32 v110, v110, v36, vcc_lo
	v_cmp_eq_u32_e32 vcc_lo, 3, v0
	v_cndmask_b32_e32 v110, v110, v37, vcc_lo
	v_cmp_eq_u32_e32 vcc_lo, 4, v0
	s_delay_alu instid0(VALU_DEP_2) | instskip(SKIP_1) | instid1(VALU_DEP_2)
	v_cndmask_b32_e32 v110, v110, v38, vcc_lo
	v_cmp_eq_u32_e32 vcc_lo, 5, v0
	;; [unrolled: 5-line block ×10, first 2 shown]
	v_cndmask_b32_e32 v110, v110, v55, vcc_lo
	s_wait_dscnt 0x0
	s_delay_alu instid0(VALU_DEP_1)
	v_mul_f32_e32 v114, v110, v111
	s_cbranch_execz .LBB85_261
	s_branch .LBB85_262
.LBB85_260:
                                        ; implicit-def: $vgpr114
.LBB85_261:
	ds_load_b32 v114, v113
.LBB85_262:
	s_and_saveexec_b32 s5, s0
	s_cbranch_execz .LBB85_272
; %bb.263:
	v_dual_add_nc_u32 v110, -5, v0 :: v_dual_add_nc_u32 v111, -4, v0
	s_delay_alu instid0(VALU_DEP_1)
	v_cmp_lt_u32_e32 vcc_lo, 6, v110
	v_mov_b32_e32 v110, 4
	s_and_saveexec_b32 s0, vcc_lo
	s_cbranch_execz .LBB85_267
; %bb.264:
	v_and_b32_e32 v110, -8, v111
	s_mov_b32 s6, 0
	s_mov_b64 s[2:3], 5
	s_movk_i32 s7, 0x70
	s_delay_alu instid0(VALU_DEP_1)
	v_sub_nc_u32_e32 v112, 0, v110
.LBB85_265:                             ; =>This Inner Loop Header: Depth=1
	s_add_co_i32 m0, s2, -1
	v_movrels_b32_e32 v115, v34
	v_mov_b32_e32 v110, s7
	s_mov_b32 m0, s2
	s_add_co_i32 s7, s7, 32
	v_movrels_b32_e32 v124, v34
	s_add_co_i32 m0, s2, 1
	ds_load_b128 v[116:119], v110
	ds_load_b128 v[120:123], v110 offset:16
	v_movrels_b32_e32 v110, v34
	s_add_co_i32 m0, s2, 2
	s_wait_dscnt 0x1
	v_fmac_f32_e32 v114, v115, v116
	v_movrels_b32_e32 v115, v34
	s_add_co_i32 m0, s2, 3
	s_delay_alu instid0(VALU_DEP_2) | instskip(NEXT) | instid1(VALU_DEP_1)
	v_fmac_f32_e32 v114, v124, v117
	v_fmac_f32_e32 v114, v110, v118
	v_movrels_b32_e32 v110, v34
	s_add_co_i32 m0, s2, 4
	s_delay_alu instid0(VALU_DEP_2) | instskip(SKIP_3) | instid1(VALU_DEP_2)
	v_fmac_f32_e32 v114, v115, v119
	v_movrels_b32_e32 v115, v34
	s_add_co_i32 m0, s2, 5
	s_wait_dscnt 0x0
	v_fmac_f32_e32 v114, v110, v120
	v_movrels_b32_e32 v110, v34
	s_add_co_i32 m0, s2, 6
	s_add_nc_u64 s[2:3], s[2:3], 8
	v_movrels_b32_e32 v116, v34
	v_dual_fmac_f32 v114, v115, v121 :: v_dual_add_nc_u32 v115, s2, v112
	s_add_co_i32 s8, s2, -1
	s_delay_alu instid0(VALU_DEP_1) | instskip(NEXT) | instid1(VALU_DEP_2)
	v_fmac_f32_e32 v114, v110, v122
	v_cmp_eq_u32_e32 vcc_lo, 5, v115
	s_delay_alu instid0(VALU_DEP_2) | instskip(SKIP_1) | instid1(SALU_CYCLE_1)
	v_dual_mov_b32 v110, s8 :: v_dual_fmac_f32 v114, v116, v123
	s_or_b32 s6, vcc_lo, s6
	s_and_not1_b32 exec_lo, exec_lo, s6
	s_cbranch_execnz .LBB85_265
; %bb.266:
	s_or_b32 exec_lo, exec_lo, s6
.LBB85_267:
	s_delay_alu instid0(SALU_CYCLE_1) | instskip(SKIP_3) | instid1(VALU_DEP_1)
	s_or_b32 exec_lo, exec_lo, s0
	v_and_b32_e32 v56, 7, v111
	s_mov_b32 s2, 0
	s_mov_b32 s0, exec_lo
	v_cmpx_ne_u32_e32 0, v56
	s_cbranch_execz .LBB85_271
; %bb.268:
	v_lshl_add_u32 v57, v110, 2, 0x60
	v_mov_b32_e32 v111, 0
.LBB85_269:                             ; =>This Inner Loop Header: Depth=1
	v_cmp_eq_u32_e32 vcc_lo, 1, v110
	ds_load_b32 v59, v57
	v_dual_add_nc_u32 v56, -1, v56 :: v_dual_add_nc_u32 v57, 4, v57
	v_cndmask_b32_e32 v58, v34, v35, vcc_lo
	v_cmp_eq_u32_e32 vcc_lo, 2, v110
	s_delay_alu instid0(VALU_DEP_2) | instskip(SKIP_1) | instid1(VALU_DEP_2)
	v_cndmask_b32_e32 v58, v58, v36, vcc_lo
	v_cmp_eq_u32_e32 vcc_lo, 3, v110
	v_cndmask_b32_e32 v58, v58, v37, vcc_lo
	v_cmp_eq_u32_e32 vcc_lo, 4, v110
	s_delay_alu instid0(VALU_DEP_2) | instskip(SKIP_1) | instid1(VALU_DEP_2)
	v_cndmask_b32_e32 v58, v58, v38, vcc_lo
	v_cmp_eq_u32_e32 vcc_lo, 5, v110
	;; [unrolled: 5-line block ×9, first 2 shown]
	v_cndmask_b32_e32 v58, v58, v53, vcc_lo
	v_cmp_eq_u32_e32 vcc_lo, 20, v110
	s_delay_alu instid0(VALU_DEP_2) | instskip(SKIP_2) | instid1(VALU_DEP_3)
	v_cndmask_b32_e32 v58, v58, v54, vcc_lo
	v_cmp_eq_u32_e32 vcc_lo, 21, v110
	v_add_nc_u64_e32 v[110:111], 1, v[110:111]
	v_cndmask_b32_e32 v58, v58, v55, vcc_lo
	v_cmp_eq_u32_e32 vcc_lo, 0, v56
	s_wait_dscnt 0x0
	s_delay_alu instid0(VALU_DEP_2) | instskip(SKIP_1) | instid1(SALU_CYCLE_1)
	v_fmac_f32_e32 v114, v58, v59
	s_or_b32 s2, vcc_lo, s2
	s_and_not1_b32 exec_lo, exec_lo, s2
	s_cbranch_execnz .LBB85_269
; %bb.270:
	s_or_b32 exec_lo, exec_lo, s2
.LBB85_271:
	s_delay_alu instid0(SALU_CYCLE_1)
	s_or_b32 exec_lo, exec_lo, s0
.LBB85_272:
	s_delay_alu instid0(SALU_CYCLE_1)
	s_or_b32 exec_lo, exec_lo, s5
	v_mov_b32_e32 v37, 0
	ds_load_b32 v37, v37 offset:12
	s_wait_dscnt 0x0
	v_mul_f32_e32 v37, v114, v37
.LBB85_273:
	s_or_b32 exec_lo, exec_lo, s4
	v_cmp_lt_u32_e64 s0, 2, v0
	ds_store_b32 v113, v36
	s_wait_dscnt 0x0
	s_barrier_signal -1
	s_barrier_wait -1
	s_and_saveexec_b32 s4, s0
	s_cbranch_execz .LBB85_289
; %bb.274:
	s_and_not1_b32 vcc_lo, exec_lo, s26
	s_cbranch_vccnz .LBB85_276
; %bb.275:
	v_cmp_eq_u32_e32 vcc_lo, 1, v0
	ds_load_b32 v111, v113
	v_cndmask_b32_e32 v110, v34, v35, vcc_lo
	v_cmp_eq_u32_e32 vcc_lo, 2, v0
	s_delay_alu instid0(VALU_DEP_2) | instskip(SKIP_1) | instid1(VALU_DEP_2)
	v_cndmask_b32_e32 v110, v110, v36, vcc_lo
	v_cmp_eq_u32_e32 vcc_lo, 3, v0
	v_cndmask_b32_e32 v110, v110, v37, vcc_lo
	v_cmp_eq_u32_e32 vcc_lo, 4, v0
	s_delay_alu instid0(VALU_DEP_2) | instskip(SKIP_1) | instid1(VALU_DEP_2)
	v_cndmask_b32_e32 v110, v110, v38, vcc_lo
	v_cmp_eq_u32_e32 vcc_lo, 5, v0
	;; [unrolled: 5-line block ×10, first 2 shown]
	v_cndmask_b32_e32 v110, v110, v55, vcc_lo
	s_wait_dscnt 0x0
	s_delay_alu instid0(VALU_DEP_1)
	v_mul_f32_e32 v114, v110, v111
	s_cbranch_execz .LBB85_277
	s_branch .LBB85_278
.LBB85_276:
                                        ; implicit-def: $vgpr114
.LBB85_277:
	ds_load_b32 v114, v113
.LBB85_278:
	s_and_saveexec_b32 s5, s1
	s_cbranch_execz .LBB85_288
; %bb.279:
	v_dual_add_nc_u32 v110, -4, v0 :: v_dual_add_nc_u32 v111, -3, v0
	s_delay_alu instid0(VALU_DEP_1)
	v_cmp_lt_u32_e32 vcc_lo, 6, v110
	v_mov_b32_e32 v110, 3
	s_and_saveexec_b32 s1, vcc_lo
	s_cbranch_execz .LBB85_283
; %bb.280:
	v_and_b32_e32 v110, -8, v111
	s_mov_b32 s6, 0
	s_mov_b64 s[2:3], 10
	s_movk_i32 s7, 0x6c
	s_delay_alu instid0(VALU_DEP_1)
	v_sub_nc_u32_e32 v112, 0, v110
.LBB85_281:                             ; =>This Inner Loop Header: Depth=1
	s_add_co_i32 m0, s2, -7
	v_movrels_b32_e32 v115, v34
	v_mov_b32_e32 v110, s7
	s_add_co_i32 m0, s2, -6
	s_add_co_i32 s7, s7, 32
	v_movrels_b32_e32 v124, v34
	ds_load_2addr_b32 v[116:117], v110 offset1:1
	ds_load_2addr_b32 v[118:119], v110 offset0:2 offset1:3
	s_add_co_i32 m0, s2, -5
	s_wait_dscnt 0x1
	v_fmac_f32_e32 v114, v115, v116
	ds_load_2addr_b32 v[120:121], v110 offset0:4 offset1:5
	ds_load_2addr_b32 v[122:123], v110 offset0:6 offset1:7
	v_movrels_b32_e32 v110, v34
	s_add_co_i32 m0, s2, -4
	v_fmac_f32_e32 v114, v124, v117
	v_movrels_b32_e32 v115, v34
	s_add_co_i32 m0, s2, -3
	s_wait_dscnt 0x2
	s_delay_alu instid0(VALU_DEP_2) | instskip(SKIP_2) | instid1(VALU_DEP_2)
	v_fmac_f32_e32 v114, v110, v118
	v_movrels_b32_e32 v110, v34
	s_add_co_i32 m0, s2, -2
	v_fmac_f32_e32 v114, v115, v119
	v_movrels_b32_e32 v115, v34
	s_add_co_i32 m0, s2, -1
	s_wait_dscnt 0x1
	s_delay_alu instid0(VALU_DEP_2)
	v_fmac_f32_e32 v114, v110, v120
	v_movrels_b32_e32 v110, v34
	s_mov_b32 m0, s2
	s_add_nc_u64 s[2:3], s[2:3], 8
	v_movrels_b32_e32 v116, v34
	v_dual_fmac_f32 v114, v115, v121 :: v_dual_add_nc_u32 v115, s2, v112
	s_add_co_i32 s8, s2, -7
	s_wait_dscnt 0x0
	s_delay_alu instid0(VALU_DEP_1) | instskip(NEXT) | instid1(VALU_DEP_2)
	v_fmac_f32_e32 v114, v110, v122
	v_cmp_eq_u32_e32 vcc_lo, 10, v115
	s_delay_alu instid0(VALU_DEP_2) | instskip(SKIP_1) | instid1(SALU_CYCLE_1)
	v_dual_mov_b32 v110, s8 :: v_dual_fmac_f32 v114, v116, v123
	s_or_b32 s6, vcc_lo, s6
	s_and_not1_b32 exec_lo, exec_lo, s6
	s_cbranch_execnz .LBB85_281
; %bb.282:
	s_or_b32 exec_lo, exec_lo, s6
.LBB85_283:
	s_delay_alu instid0(SALU_CYCLE_1) | instskip(SKIP_3) | instid1(VALU_DEP_1)
	s_or_b32 exec_lo, exec_lo, s1
	v_and_b32_e32 v56, 7, v111
	s_mov_b32 s2, 0
	s_mov_b32 s1, exec_lo
	v_cmpx_ne_u32_e32 0, v56
	s_cbranch_execz .LBB85_287
; %bb.284:
	v_lshl_add_u32 v57, v110, 2, 0x60
	v_mov_b32_e32 v111, 0
.LBB85_285:                             ; =>This Inner Loop Header: Depth=1
	v_cmp_eq_u32_e32 vcc_lo, 1, v110
	ds_load_b32 v59, v57
	v_dual_add_nc_u32 v56, -1, v56 :: v_dual_add_nc_u32 v57, 4, v57
	v_cndmask_b32_e32 v58, v34, v35, vcc_lo
	v_cmp_eq_u32_e32 vcc_lo, 2, v110
	s_delay_alu instid0(VALU_DEP_2) | instskip(SKIP_1) | instid1(VALU_DEP_2)
	v_cndmask_b32_e32 v58, v58, v36, vcc_lo
	v_cmp_eq_u32_e32 vcc_lo, 3, v110
	v_cndmask_b32_e32 v58, v58, v37, vcc_lo
	v_cmp_eq_u32_e32 vcc_lo, 4, v110
	s_delay_alu instid0(VALU_DEP_2) | instskip(SKIP_1) | instid1(VALU_DEP_2)
	v_cndmask_b32_e32 v58, v58, v38, vcc_lo
	v_cmp_eq_u32_e32 vcc_lo, 5, v110
	;; [unrolled: 5-line block ×9, first 2 shown]
	v_cndmask_b32_e32 v58, v58, v53, vcc_lo
	v_cmp_eq_u32_e32 vcc_lo, 20, v110
	s_delay_alu instid0(VALU_DEP_2) | instskip(SKIP_2) | instid1(VALU_DEP_3)
	v_cndmask_b32_e32 v58, v58, v54, vcc_lo
	v_cmp_eq_u32_e32 vcc_lo, 21, v110
	v_add_nc_u64_e32 v[110:111], 1, v[110:111]
	v_cndmask_b32_e32 v58, v58, v55, vcc_lo
	v_cmp_eq_u32_e32 vcc_lo, 0, v56
	s_wait_dscnt 0x0
	s_delay_alu instid0(VALU_DEP_2) | instskip(SKIP_1) | instid1(SALU_CYCLE_1)
	v_fmac_f32_e32 v114, v58, v59
	s_or_b32 s2, vcc_lo, s2
	s_and_not1_b32 exec_lo, exec_lo, s2
	s_cbranch_execnz .LBB85_285
; %bb.286:
	s_or_b32 exec_lo, exec_lo, s2
.LBB85_287:
	s_delay_alu instid0(SALU_CYCLE_1)
	s_or_b32 exec_lo, exec_lo, s1
.LBB85_288:
	s_delay_alu instid0(SALU_CYCLE_1)
	s_or_b32 exec_lo, exec_lo, s5
	v_mov_b32_e32 v36, 0
	ds_load_b32 v36, v36 offset:8
	s_wait_dscnt 0x0
	v_mul_f32_e32 v36, v114, v36
.LBB85_289:
	s_or_b32 exec_lo, exec_lo, s4
	v_cmp_lt_u32_e64 s1, 1, v0
	ds_store_b32 v113, v35
	s_wait_dscnt 0x0
	s_barrier_signal -1
	s_barrier_wait -1
	s_and_saveexec_b32 s4, s1
	s_cbranch_execz .LBB85_305
; %bb.290:
	s_and_not1_b32 vcc_lo, exec_lo, s26
	s_cbranch_vccnz .LBB85_292
; %bb.291:
	v_cmp_eq_u32_e32 vcc_lo, 1, v0
	ds_load_b32 v111, v113
	v_cndmask_b32_e32 v110, v34, v35, vcc_lo
	v_cmp_eq_u32_e32 vcc_lo, 2, v0
	s_delay_alu instid0(VALU_DEP_2) | instskip(SKIP_1) | instid1(VALU_DEP_2)
	v_cndmask_b32_e32 v110, v110, v36, vcc_lo
	v_cmp_eq_u32_e32 vcc_lo, 3, v0
	v_cndmask_b32_e32 v110, v110, v37, vcc_lo
	v_cmp_eq_u32_e32 vcc_lo, 4, v0
	s_delay_alu instid0(VALU_DEP_2) | instskip(SKIP_1) | instid1(VALU_DEP_2)
	v_cndmask_b32_e32 v110, v110, v38, vcc_lo
	v_cmp_eq_u32_e32 vcc_lo, 5, v0
	;; [unrolled: 5-line block ×10, first 2 shown]
	v_cndmask_b32_e32 v110, v110, v55, vcc_lo
	s_wait_dscnt 0x0
	s_delay_alu instid0(VALU_DEP_1)
	v_mul_f32_e32 v114, v110, v111
	s_cbranch_execz .LBB85_293
	s_branch .LBB85_294
.LBB85_292:
                                        ; implicit-def: $vgpr114
.LBB85_293:
	ds_load_b32 v114, v113
.LBB85_294:
	s_and_saveexec_b32 s5, s0
	s_cbranch_execz .LBB85_304
; %bb.295:
	v_dual_add_nc_u32 v110, -3, v0 :: v_dual_add_nc_u32 v111, -2, v0
	s_delay_alu instid0(VALU_DEP_1)
	v_cmp_lt_u32_e32 vcc_lo, 6, v110
	v_mov_b32_e32 v110, 2
	s_and_saveexec_b32 s0, vcc_lo
	s_cbranch_execz .LBB85_299
; %bb.296:
	v_and_b32_e32 v110, -8, v111
	s_mov_b32 s6, 0
	s_mov_b64 s[2:3], 9
	s_movk_i32 s7, 0x68
	s_delay_alu instid0(VALU_DEP_1)
	v_sub_nc_u32_e32 v112, 0, v110
.LBB85_297:                             ; =>This Inner Loop Header: Depth=1
	s_add_co_i32 m0, s2, -7
	v_movrels_b32_e32 v115, v34
	v_mov_b32_e32 v110, s7
	s_add_co_i32 m0, s2, -6
	s_add_co_i32 s7, s7, 32
	v_movrels_b32_e32 v124, v34
	s_add_co_i32 m0, s2, -5
	ds_load_2addr_b64 v[116:119], v110 offset1:1
	ds_load_2addr_b64 v[120:123], v110 offset0:2 offset1:3
	v_movrels_b32_e32 v110, v34
	s_add_co_i32 m0, s2, -4
	s_wait_dscnt 0x1
	v_fmac_f32_e32 v114, v115, v116
	v_movrels_b32_e32 v115, v34
	s_add_co_i32 m0, s2, -3
	s_delay_alu instid0(VALU_DEP_2) | instskip(NEXT) | instid1(VALU_DEP_1)
	v_fmac_f32_e32 v114, v124, v117
	v_fmac_f32_e32 v114, v110, v118
	v_movrels_b32_e32 v110, v34
	s_add_co_i32 m0, s2, -2
	s_delay_alu instid0(VALU_DEP_2) | instskip(SKIP_3) | instid1(VALU_DEP_2)
	v_fmac_f32_e32 v114, v115, v119
	v_movrels_b32_e32 v115, v34
	s_add_co_i32 m0, s2, -1
	s_wait_dscnt 0x0
	v_fmac_f32_e32 v114, v110, v120
	v_movrels_b32_e32 v110, v34
	s_mov_b32 m0, s2
	s_add_nc_u64 s[2:3], s[2:3], 8
	v_movrels_b32_e32 v116, v34
	v_dual_fmac_f32 v114, v115, v121 :: v_dual_add_nc_u32 v115, s2, v112
	s_add_co_i32 s8, s2, -7
	s_delay_alu instid0(VALU_DEP_1) | instskip(NEXT) | instid1(VALU_DEP_2)
	v_fmac_f32_e32 v114, v110, v122
	v_cmp_eq_u32_e32 vcc_lo, 9, v115
	s_delay_alu instid0(VALU_DEP_2) | instskip(SKIP_1) | instid1(SALU_CYCLE_1)
	v_dual_mov_b32 v110, s8 :: v_dual_fmac_f32 v114, v116, v123
	s_or_b32 s6, vcc_lo, s6
	s_and_not1_b32 exec_lo, exec_lo, s6
	s_cbranch_execnz .LBB85_297
; %bb.298:
	s_or_b32 exec_lo, exec_lo, s6
.LBB85_299:
	s_delay_alu instid0(SALU_CYCLE_1) | instskip(SKIP_3) | instid1(VALU_DEP_1)
	s_or_b32 exec_lo, exec_lo, s0
	v_and_b32_e32 v56, 7, v111
	s_mov_b32 s2, 0
	s_mov_b32 s0, exec_lo
	v_cmpx_ne_u32_e32 0, v56
	s_cbranch_execz .LBB85_303
; %bb.300:
	v_lshl_add_u32 v57, v110, 2, 0x60
	v_mov_b32_e32 v111, 0
.LBB85_301:                             ; =>This Inner Loop Header: Depth=1
	v_cmp_eq_u32_e32 vcc_lo, 1, v110
	ds_load_b32 v59, v57
	v_dual_add_nc_u32 v56, -1, v56 :: v_dual_add_nc_u32 v57, 4, v57
	v_cndmask_b32_e32 v58, v34, v35, vcc_lo
	v_cmp_eq_u32_e32 vcc_lo, 2, v110
	s_delay_alu instid0(VALU_DEP_2) | instskip(SKIP_1) | instid1(VALU_DEP_2)
	v_cndmask_b32_e32 v58, v58, v36, vcc_lo
	v_cmp_eq_u32_e32 vcc_lo, 3, v110
	v_cndmask_b32_e32 v58, v58, v37, vcc_lo
	v_cmp_eq_u32_e32 vcc_lo, 4, v110
	s_delay_alu instid0(VALU_DEP_2) | instskip(SKIP_1) | instid1(VALU_DEP_2)
	v_cndmask_b32_e32 v58, v58, v38, vcc_lo
	v_cmp_eq_u32_e32 vcc_lo, 5, v110
	;; [unrolled: 5-line block ×9, first 2 shown]
	v_cndmask_b32_e32 v58, v58, v53, vcc_lo
	v_cmp_eq_u32_e32 vcc_lo, 20, v110
	s_delay_alu instid0(VALU_DEP_2) | instskip(SKIP_2) | instid1(VALU_DEP_3)
	v_cndmask_b32_e32 v58, v58, v54, vcc_lo
	v_cmp_eq_u32_e32 vcc_lo, 21, v110
	v_add_nc_u64_e32 v[110:111], 1, v[110:111]
	v_cndmask_b32_e32 v58, v58, v55, vcc_lo
	v_cmp_eq_u32_e32 vcc_lo, 0, v56
	s_wait_dscnt 0x0
	s_delay_alu instid0(VALU_DEP_2) | instskip(SKIP_1) | instid1(SALU_CYCLE_1)
	v_fmac_f32_e32 v114, v58, v59
	s_or_b32 s2, vcc_lo, s2
	s_and_not1_b32 exec_lo, exec_lo, s2
	s_cbranch_execnz .LBB85_301
; %bb.302:
	s_or_b32 exec_lo, exec_lo, s2
.LBB85_303:
	s_delay_alu instid0(SALU_CYCLE_1)
	s_or_b32 exec_lo, exec_lo, s0
.LBB85_304:
	s_delay_alu instid0(SALU_CYCLE_1)
	s_or_b32 exec_lo, exec_lo, s5
	v_mov_b32_e32 v35, 0
	ds_load_b32 v35, v35 offset:4
	s_wait_dscnt 0x0
	v_mul_f32_e32 v35, v114, v35
.LBB85_305:
	s_or_b32 exec_lo, exec_lo, s4
	s_mov_b32 s2, 0
	s_mov_b32 s3, exec_lo
	ds_store_b32 v113, v34
	s_wait_dscnt 0x0
	s_barrier_signal -1
	s_barrier_wait -1
	v_cmpx_ne_u32_e32 0, v0
	s_cbranch_execz .LBB85_321
; %bb.306:
	s_and_not1_b32 vcc_lo, exec_lo, s26
	s_cbranch_vccnz .LBB85_308
; %bb.307:
	v_cmp_eq_u32_e32 vcc_lo, 1, v0
	ds_load_b32 v111, v113
	v_cndmask_b32_e32 v110, v34, v35, vcc_lo
	v_cmp_eq_u32_e32 vcc_lo, 2, v0
	s_delay_alu instid0(VALU_DEP_2) | instskip(SKIP_1) | instid1(VALU_DEP_2)
	v_cndmask_b32_e32 v110, v110, v36, vcc_lo
	v_cmp_eq_u32_e32 vcc_lo, 3, v0
	v_cndmask_b32_e32 v110, v110, v37, vcc_lo
	v_cmp_eq_u32_e32 vcc_lo, 4, v0
	s_delay_alu instid0(VALU_DEP_2) | instskip(SKIP_1) | instid1(VALU_DEP_2)
	v_cndmask_b32_e32 v110, v110, v38, vcc_lo
	v_cmp_eq_u32_e32 vcc_lo, 5, v0
	;; [unrolled: 5-line block ×10, first 2 shown]
	v_cndmask_b32_e32 v110, v110, v55, vcc_lo
	s_wait_dscnt 0x0
	s_delay_alu instid0(VALU_DEP_1)
	v_mul_f32_e32 v114, v110, v111
	s_cbranch_execz .LBB85_309
	s_branch .LBB85_310
.LBB85_308:
                                        ; implicit-def: $vgpr114
.LBB85_309:
	ds_load_b32 v114, v113
.LBB85_310:
	s_and_saveexec_b32 s4, s1
	s_cbranch_execz .LBB85_320
; %bb.311:
	v_dual_add_nc_u32 v110, -2, v0 :: v_dual_add_nc_u32 v111, -1, v0
	s_delay_alu instid0(VALU_DEP_1)
	v_cmp_lt_u32_e32 vcc_lo, 6, v110
	v_mov_b32_e32 v110, 1
	s_and_saveexec_b32 s5, vcc_lo
	s_cbranch_execz .LBB85_315
; %bb.312:
	v_and_b32_e32 v110, -8, v111
	s_mov_b32 s6, 0
	s_mov_b64 s[0:1], 8
	s_movk_i32 s7, 0x64
	s_delay_alu instid0(VALU_DEP_1)
	v_sub_nc_u32_e32 v112, 0, v110
.LBB85_313:                             ; =>This Inner Loop Header: Depth=1
	s_add_co_i32 m0, s0, -7
	v_movrels_b32_e32 v115, v34
	v_mov_b32_e32 v110, s7
	s_add_co_i32 m0, s0, -6
	s_add_co_i32 s7, s7, 32
	v_movrels_b32_e32 v124, v34
	ds_load_2addr_b32 v[116:117], v110 offset1:1
	ds_load_2addr_b32 v[118:119], v110 offset0:2 offset1:3
	s_add_co_i32 m0, s0, -5
	s_wait_dscnt 0x1
	v_fmac_f32_e32 v114, v115, v116
	ds_load_2addr_b32 v[120:121], v110 offset0:4 offset1:5
	ds_load_2addr_b32 v[122:123], v110 offset0:6 offset1:7
	v_movrels_b32_e32 v110, v34
	s_add_co_i32 m0, s0, -4
	v_fmac_f32_e32 v114, v124, v117
	v_movrels_b32_e32 v115, v34
	s_add_co_i32 m0, s0, -3
	s_wait_dscnt 0x2
	s_delay_alu instid0(VALU_DEP_2) | instskip(SKIP_2) | instid1(VALU_DEP_2)
	v_fmac_f32_e32 v114, v110, v118
	v_movrels_b32_e32 v110, v34
	s_add_co_i32 m0, s0, -2
	v_fmac_f32_e32 v114, v115, v119
	v_movrels_b32_e32 v115, v34
	s_add_co_i32 m0, s0, -1
	s_wait_dscnt 0x1
	s_delay_alu instid0(VALU_DEP_2)
	v_fmac_f32_e32 v114, v110, v120
	v_movrels_b32_e32 v110, v34
	s_mov_b32 m0, s0
	s_add_nc_u64 s[0:1], s[0:1], 8
	v_movrels_b32_e32 v116, v34
	v_dual_fmac_f32 v114, v115, v121 :: v_dual_add_nc_u32 v115, s0, v112
	s_add_co_i32 s8, s0, -7
	s_wait_dscnt 0x0
	s_delay_alu instid0(VALU_DEP_1) | instskip(NEXT) | instid1(VALU_DEP_2)
	v_fmac_f32_e32 v114, v110, v122
	v_cmp_eq_u32_e32 vcc_lo, 8, v115
	s_delay_alu instid0(VALU_DEP_2) | instskip(SKIP_1) | instid1(SALU_CYCLE_1)
	v_dual_mov_b32 v110, s8 :: v_dual_fmac_f32 v114, v116, v123
	s_or_b32 s6, vcc_lo, s6
	s_and_not1_b32 exec_lo, exec_lo, s6
	s_cbranch_execnz .LBB85_313
; %bb.314:
	s_or_b32 exec_lo, exec_lo, s6
.LBB85_315:
	s_delay_alu instid0(SALU_CYCLE_1) | instskip(SKIP_3) | instid1(VALU_DEP_1)
	s_or_b32 exec_lo, exec_lo, s5
	v_and_b32_e32 v56, 7, v111
	s_mov_b32 s1, 0
	s_mov_b32 s0, exec_lo
	v_cmpx_ne_u32_e32 0, v56
	s_cbranch_execz .LBB85_319
; %bb.316:
	v_lshl_add_u32 v57, v110, 2, 0x60
	v_mov_b32_e32 v111, 0
.LBB85_317:                             ; =>This Inner Loop Header: Depth=1
	v_cmp_eq_u32_e32 vcc_lo, 1, v110
	ds_load_b32 v59, v57
	v_dual_add_nc_u32 v56, -1, v56 :: v_dual_add_nc_u32 v57, 4, v57
	v_cndmask_b32_e32 v58, v34, v35, vcc_lo
	v_cmp_eq_u32_e32 vcc_lo, 2, v110
	s_delay_alu instid0(VALU_DEP_2) | instskip(SKIP_1) | instid1(VALU_DEP_2)
	v_cndmask_b32_e32 v58, v58, v36, vcc_lo
	v_cmp_eq_u32_e32 vcc_lo, 3, v110
	v_cndmask_b32_e32 v58, v58, v37, vcc_lo
	v_cmp_eq_u32_e32 vcc_lo, 4, v110
	s_delay_alu instid0(VALU_DEP_2) | instskip(SKIP_1) | instid1(VALU_DEP_2)
	v_cndmask_b32_e32 v58, v58, v38, vcc_lo
	v_cmp_eq_u32_e32 vcc_lo, 5, v110
	;; [unrolled: 5-line block ×9, first 2 shown]
	v_cndmask_b32_e32 v58, v58, v53, vcc_lo
	v_cmp_eq_u32_e32 vcc_lo, 20, v110
	s_delay_alu instid0(VALU_DEP_2) | instskip(SKIP_2) | instid1(VALU_DEP_3)
	v_cndmask_b32_e32 v58, v58, v54, vcc_lo
	v_cmp_eq_u32_e32 vcc_lo, 21, v110
	v_add_nc_u64_e32 v[110:111], 1, v[110:111]
	v_cndmask_b32_e32 v58, v58, v55, vcc_lo
	v_cmp_eq_u32_e32 vcc_lo, 0, v56
	s_wait_dscnt 0x0
	s_delay_alu instid0(VALU_DEP_2) | instskip(SKIP_1) | instid1(SALU_CYCLE_1)
	v_fmac_f32_e32 v114, v58, v59
	s_or_b32 s1, vcc_lo, s1
	s_and_not1_b32 exec_lo, exec_lo, s1
	s_cbranch_execnz .LBB85_317
; %bb.318:
	s_or_b32 exec_lo, exec_lo, s1
.LBB85_319:
	s_delay_alu instid0(SALU_CYCLE_1)
	s_or_b32 exec_lo, exec_lo, s0
.LBB85_320:
	s_delay_alu instid0(SALU_CYCLE_1)
	s_or_b32 exec_lo, exec_lo, s4
	v_mov_b32_e32 v34, 0
	ds_load_b32 v34, v34
	s_wait_dscnt 0x0
	v_mul_f32_e32 v34, v114, v34
.LBB85_321:
	s_or_b32 exec_lo, exec_lo, s3
	s_delay_alu instid0(SALU_CYCLE_1)
	s_and_b32 vcc_lo, exec_lo, s2
	s_cbranch_vccz .LBB85_535
.LBB85_322:
	v_cmp_eq_u32_e64 s0, 0, v0
	s_wait_loadcnt_dscnt 0x1516
	ds_store_b32 v113, v3
	s_wait_loadcnt_dscnt 0x0
	s_barrier_signal -1
	s_barrier_wait -1
	s_and_saveexec_b32 s1, s0
	s_cbranch_execz .LBB85_328
; %bb.323:
	s_and_b32 vcc_lo, exec_lo, s26
	s_cbranch_vccz .LBB85_325
; %bb.324:
	v_cmp_eq_u32_e32 vcc_lo, 1, v0
	ds_load_b32 v24, v113
	v_cndmask_b32_e32 v3, v2, v3, vcc_lo
	v_cmp_eq_u32_e32 vcc_lo, 2, v0
	s_delay_alu instid0(VALU_DEP_2) | instskip(SKIP_1) | instid1(VALU_DEP_2)
	v_cndmask_b32_e32 v3, v3, v4, vcc_lo
	v_cmp_eq_u32_e32 vcc_lo, 3, v0
	v_cndmask_b32_e32 v3, v3, v5, vcc_lo
	v_cmp_eq_u32_e32 vcc_lo, 4, v0
	s_delay_alu instid0(VALU_DEP_2) | instskip(SKIP_1) | instid1(VALU_DEP_2)
	v_cndmask_b32_e32 v3, v3, v6, vcc_lo
	v_cmp_eq_u32_e32 vcc_lo, 5, v0
	;; [unrolled: 5-line block ×10, first 2 shown]
	v_cndmask_b32_e32 v3, v3, v23, vcc_lo
	s_wait_dscnt 0x0
	s_delay_alu instid0(VALU_DEP_1)
	v_mul_f32_e32 v3, v3, v24
	s_cbranch_execz .LBB85_326
	s_branch .LBB85_327
.LBB85_325:
                                        ; implicit-def: $vgpr3
.LBB85_326:
	ds_load_b32 v3, v113
.LBB85_327:
	v_mov_b32_e32 v24, 0
	ds_load_b32 v24, v24 offset:4
	s_wait_dscnt 0x0
	v_mul_f32_e32 v3, v3, v24
.LBB85_328:
	s_or_b32 exec_lo, exec_lo, s1
	v_cndmask_b32_e64 v34, 0, 1, s26
	s_mov_b32 s1, exec_lo
	ds_store_b32 v113, v4
	s_wait_dscnt 0x0
	s_barrier_signal -1
	s_barrier_wait -1
	v_cmpx_gt_u32_e32 2, v0
	s_cbranch_execz .LBB85_334
; %bb.329:
	s_and_not1_b32 vcc_lo, exec_lo, s26
	s_cbranch_vccnz .LBB85_331
; %bb.330:
	v_cmp_eq_u32_e32 vcc_lo, 1, v0
	v_cndmask_b32_e32 v24, v2, v3, vcc_lo
	v_cmp_eq_u32_e32 vcc_lo, 2, v0
	s_delay_alu instid0(VALU_DEP_2) | instskip(SKIP_4) | instid1(VALU_DEP_2)
	v_cndmask_b32_e32 v4, v24, v4, vcc_lo
	v_cmp_eq_u32_e32 vcc_lo, 3, v0
	ds_load_b32 v24, v113
	v_cndmask_b32_e32 v4, v4, v5, vcc_lo
	v_cmp_eq_u32_e32 vcc_lo, 4, v0
	v_cndmask_b32_e32 v4, v4, v6, vcc_lo
	v_cmp_eq_u32_e32 vcc_lo, 5, v0
	s_delay_alu instid0(VALU_DEP_2) | instskip(SKIP_1) | instid1(VALU_DEP_2)
	v_cndmask_b32_e32 v4, v4, v7, vcc_lo
	v_cmp_eq_u32_e32 vcc_lo, 6, v0
	v_cndmask_b32_e32 v4, v4, v8, vcc_lo
	v_cmp_eq_u32_e32 vcc_lo, 7, v0
	s_delay_alu instid0(VALU_DEP_2) | instskip(SKIP_1) | instid1(VALU_DEP_2)
	;; [unrolled: 5-line block ×8, first 2 shown]
	v_cndmask_b32_e32 v4, v4, v21, vcc_lo
	v_cmp_eq_u32_e32 vcc_lo, 20, v0
	v_cndmask_b32_e32 v4, v4, v22, vcc_lo
	v_cmp_eq_u32_e32 vcc_lo, 21, v0
	s_delay_alu instid0(VALU_DEP_2) | instskip(SKIP_1) | instid1(VALU_DEP_1)
	v_cndmask_b32_e32 v4, v4, v23, vcc_lo
	s_wait_dscnt 0x0
	v_mul_f32_e32 v4, v4, v24
	s_cbranch_execz .LBB85_332
	s_branch .LBB85_333
.LBB85_331:
                                        ; implicit-def: $vgpr4
.LBB85_332:
	ds_load_b32 v4, v113
.LBB85_333:
	v_mov_b32_e32 v24, 0
	ds_load_2addr_b32 v[24:25], v24 offset0:2 offset1:25
	s_wait_dscnt 0x0
	v_fma_f32 v25, v3, v25, v4
	s_delay_alu instid0(VALU_DEP_1) | instskip(NEXT) | instid1(VALU_DEP_1)
	v_cndmask_b32_e64 v4, v4, v25, s0
	v_mul_f32_e32 v4, v4, v24
.LBB85_334:
	s_or_b32 exec_lo, exec_lo, s1
	v_add_nc_u32_e32 v35, 1, v0
	v_cmp_gt_u32_e64 s1, 3, v0
	ds_store_b32 v113, v5
	s_wait_dscnt 0x0
	s_barrier_signal -1
	s_barrier_wait -1
	s_and_saveexec_b32 s2, s1
	s_cbranch_execz .LBB85_342
; %bb.335:
	v_cmp_ne_u32_e32 vcc_lo, 1, v34
	s_cbranch_vccnz .LBB85_337
; %bb.336:
	v_cmp_eq_u32_e32 vcc_lo, 1, v0
	ds_load_b32 v25, v113
	v_cndmask_b32_e32 v24, v2, v3, vcc_lo
	v_cmp_eq_u32_e32 vcc_lo, 2, v0
	s_delay_alu instid0(VALU_DEP_2) | instskip(SKIP_1) | instid1(VALU_DEP_2)
	v_cndmask_b32_e32 v24, v24, v4, vcc_lo
	v_cmp_eq_u32_e32 vcc_lo, 3, v0
	v_cndmask_b32_e32 v24, v24, v5, vcc_lo
	v_cmp_eq_u32_e32 vcc_lo, 4, v0
	s_delay_alu instid0(VALU_DEP_2) | instskip(SKIP_1) | instid1(VALU_DEP_2)
	v_cndmask_b32_e32 v24, v24, v6, vcc_lo
	v_cmp_eq_u32_e32 vcc_lo, 5, v0
	v_cndmask_b32_e32 v24, v24, v7, vcc_lo
	v_cmp_eq_u32_e32 vcc_lo, 6, v0
	s_delay_alu instid0(VALU_DEP_2) | instskip(SKIP_1) | instid1(VALU_DEP_2)
	v_cndmask_b32_e32 v24, v24, v8, vcc_lo
	v_cmp_eq_u32_e32 vcc_lo, 7, v0
	v_cndmask_b32_e32 v24, v24, v9, vcc_lo
	v_cmp_eq_u32_e32 vcc_lo, 8, v0
	s_delay_alu instid0(VALU_DEP_2) | instskip(SKIP_1) | instid1(VALU_DEP_2)
	v_cndmask_b32_e32 v24, v24, v10, vcc_lo
	v_cmp_eq_u32_e32 vcc_lo, 9, v0
	v_cndmask_b32_e32 v24, v24, v11, vcc_lo
	v_cmp_eq_u32_e32 vcc_lo, 10, v0
	s_delay_alu instid0(VALU_DEP_2) | instskip(SKIP_1) | instid1(VALU_DEP_2)
	v_cndmask_b32_e32 v24, v24, v12, vcc_lo
	v_cmp_eq_u32_e32 vcc_lo, 11, v0
	v_cndmask_b32_e32 v24, v24, v13, vcc_lo
	v_cmp_eq_u32_e32 vcc_lo, 12, v0
	s_delay_alu instid0(VALU_DEP_2) | instskip(SKIP_1) | instid1(VALU_DEP_2)
	v_cndmask_b32_e32 v24, v24, v14, vcc_lo
	v_cmp_eq_u32_e32 vcc_lo, 13, v0
	v_cndmask_b32_e32 v24, v24, v15, vcc_lo
	v_cmp_eq_u32_e32 vcc_lo, 14, v0
	s_delay_alu instid0(VALU_DEP_2) | instskip(SKIP_1) | instid1(VALU_DEP_2)
	v_cndmask_b32_e32 v24, v24, v16, vcc_lo
	v_cmp_eq_u32_e32 vcc_lo, 15, v0
	v_cndmask_b32_e32 v24, v24, v17, vcc_lo
	v_cmp_eq_u32_e32 vcc_lo, 16, v0
	s_delay_alu instid0(VALU_DEP_2) | instskip(SKIP_1) | instid1(VALU_DEP_2)
	v_cndmask_b32_e32 v24, v24, v18, vcc_lo
	v_cmp_eq_u32_e32 vcc_lo, 17, v0
	v_cndmask_b32_e32 v24, v24, v19, vcc_lo
	v_cmp_eq_u32_e32 vcc_lo, 18, v0
	s_delay_alu instid0(VALU_DEP_2) | instskip(SKIP_1) | instid1(VALU_DEP_2)
	v_cndmask_b32_e32 v24, v24, v20, vcc_lo
	v_cmp_eq_u32_e32 vcc_lo, 19, v0
	v_cndmask_b32_e32 v24, v24, v21, vcc_lo
	v_cmp_eq_u32_e32 vcc_lo, 20, v0
	s_delay_alu instid0(VALU_DEP_2) | instskip(SKIP_1) | instid1(VALU_DEP_2)
	v_cndmask_b32_e32 v24, v24, v22, vcc_lo
	v_cmp_eq_u32_e32 vcc_lo, 21, v0
	v_cndmask_b32_e32 v24, v24, v23, vcc_lo
	s_wait_dscnt 0x0
	s_delay_alu instid0(VALU_DEP_1)
	v_mul_f32_e32 v24, v24, v25
	s_cbranch_execz .LBB85_338
	s_branch .LBB85_339
.LBB85_337:
                                        ; implicit-def: $vgpr24
.LBB85_338:
	ds_load_b32 v24, v113
.LBB85_339:
	s_mov_b32 s3, exec_lo
	v_cmpx_ne_u32_e32 2, v0
	s_cbranch_execz .LBB85_341
; %bb.340:
	v_cmp_eq_u32_e32 vcc_lo, 1, v35
	v_dual_mov_b32 v26, 0 :: v_dual_cndmask_b32 v25, v2, v3
	v_cmp_eq_u32_e32 vcc_lo, 2, v35
	ds_load_b32 v26, v26 offset:104
	v_cndmask_b32_e32 v25, v25, v4, vcc_lo
	v_cmp_eq_u32_e32 vcc_lo, 3, v35
	s_delay_alu instid0(VALU_DEP_2) | instskip(SKIP_4) | instid1(VALU_DEP_2)
	v_cndmask_b32_e32 v5, v25, v5, vcc_lo
	v_cmp_eq_u32_e32 vcc_lo, 4, v35
	ds_load_b32 v25, v113 offset:4
	v_cndmask_b32_e32 v5, v5, v6, vcc_lo
	v_cmp_eq_u32_e32 vcc_lo, 5, v35
	v_cndmask_b32_e32 v5, v5, v7, vcc_lo
	v_cmp_eq_u32_e32 vcc_lo, 6, v35
	s_delay_alu instid0(VALU_DEP_2) | instskip(SKIP_1) | instid1(VALU_DEP_2)
	v_cndmask_b32_e32 v5, v5, v8, vcc_lo
	v_cmp_eq_u32_e32 vcc_lo, 7, v35
	v_cndmask_b32_e32 v5, v5, v9, vcc_lo
	v_cmp_eq_u32_e32 vcc_lo, 8, v35
	s_delay_alu instid0(VALU_DEP_2) | instskip(SKIP_1) | instid1(VALU_DEP_2)
	;; [unrolled: 5-line block ×8, first 2 shown]
	v_cndmask_b32_e32 v5, v5, v22, vcc_lo
	v_cmp_eq_u32_e32 vcc_lo, 21, v35
	v_cndmask_b32_e32 v5, v5, v23, vcc_lo
	s_wait_dscnt 0x0
	s_delay_alu instid0(VALU_DEP_1) | instskip(NEXT) | instid1(VALU_DEP_1)
	v_fmac_f32_e32 v24, v5, v25
	v_fma_f32 v5, v4, v26, v24
	s_delay_alu instid0(VALU_DEP_1)
	v_cndmask_b32_e64 v24, v24, v5, s0
.LBB85_341:
	s_or_b32 exec_lo, exec_lo, s3
	v_mov_b32_e32 v5, 0
	ds_load_b32 v5, v5 offset:12
	s_wait_dscnt 0x0
	v_mul_f32_e32 v5, v24, v5
.LBB85_342:
	s_or_b32 exec_lo, exec_lo, s2
	s_delay_alu instid0(SALU_CYCLE_1)
	s_mov_b32 s2, exec_lo
	ds_store_b32 v113, v6
	s_wait_dscnt 0x0
	s_barrier_signal -1
	s_barrier_wait -1
	v_cmpx_gt_u32_e32 4, v0
	s_cbranch_execz .LBB85_352
; %bb.343:
	v_cmp_ne_u32_e32 vcc_lo, 1, v34
	s_cbranch_vccnz .LBB85_345
; %bb.344:
	v_cmp_eq_u32_e32 vcc_lo, 1, v0
	ds_load_b32 v25, v113
	v_cndmask_b32_e32 v24, v2, v3, vcc_lo
	v_cmp_eq_u32_e32 vcc_lo, 2, v0
	s_delay_alu instid0(VALU_DEP_2) | instskip(SKIP_1) | instid1(VALU_DEP_2)
	v_cndmask_b32_e32 v24, v24, v4, vcc_lo
	v_cmp_eq_u32_e32 vcc_lo, 3, v0
	v_cndmask_b32_e32 v24, v24, v5, vcc_lo
	v_cmp_eq_u32_e32 vcc_lo, 4, v0
	s_delay_alu instid0(VALU_DEP_2) | instskip(SKIP_1) | instid1(VALU_DEP_2)
	v_cndmask_b32_e32 v24, v24, v6, vcc_lo
	v_cmp_eq_u32_e32 vcc_lo, 5, v0
	;; [unrolled: 5-line block ×10, first 2 shown]
	v_cndmask_b32_e32 v24, v24, v23, vcc_lo
	s_wait_dscnt 0x0
	s_delay_alu instid0(VALU_DEP_1)
	v_mul_f32_e32 v26, v24, v25
	s_cbranch_execz .LBB85_346
	s_branch .LBB85_347
.LBB85_345:
                                        ; implicit-def: $vgpr26
.LBB85_346:
	ds_load_b32 v26, v113
.LBB85_347:
	s_mov_b32 s3, exec_lo
	v_cmpx_ne_u32_e32 3, v0
	s_cbranch_execz .LBB85_351
; %bb.348:
	v_mov_b64_e32 v[24:25], v[0:1]
	v_lshl_add_u32 v27, v0, 2, 0x64
	s_mov_b32 s4, 0
.LBB85_349:                             ; =>This Inner Loop Header: Depth=1
	s_delay_alu instid0(VALU_DEP_2)
	v_add_nc_u64_e32 v[24:25], 1, v[24:25]
	ds_load_b32 v29, v27
	v_add_nc_u32_e32 v27, 4, v27
	v_cmp_eq_u32_e32 vcc_lo, 1, v24
	v_cndmask_b32_e32 v28, v2, v3, vcc_lo
	v_cmp_eq_u32_e32 vcc_lo, 2, v24
	s_delay_alu instid0(VALU_DEP_2) | instskip(SKIP_1) | instid1(VALU_DEP_2)
	v_cndmask_b32_e32 v28, v28, v4, vcc_lo
	v_cmp_eq_u32_e32 vcc_lo, 3, v24
	v_cndmask_b32_e32 v28, v28, v5, vcc_lo
	v_cmp_eq_u32_e32 vcc_lo, 4, v24
	s_delay_alu instid0(VALU_DEP_2) | instskip(SKIP_1) | instid1(VALU_DEP_2)
	v_cndmask_b32_e32 v28, v28, v6, vcc_lo
	;; [unrolled: 5-line block ×10, first 2 shown]
	v_cmp_eq_u32_e32 vcc_lo, 21, v24
	v_cndmask_b32_e32 v28, v28, v23, vcc_lo
	v_cmp_lt_u32_e32 vcc_lo, 2, v24
	s_wait_dscnt 0x0
	s_delay_alu instid0(VALU_DEP_2) | instskip(SKIP_1) | instid1(SALU_CYCLE_1)
	v_fmac_f32_e32 v26, v28, v29
	s_or_b32 s4, vcc_lo, s4
	s_and_not1_b32 exec_lo, exec_lo, s4
	s_cbranch_execnz .LBB85_349
; %bb.350:
	s_or_b32 exec_lo, exec_lo, s4
.LBB85_351:
	s_delay_alu instid0(SALU_CYCLE_1)
	s_or_b32 exec_lo, exec_lo, s3
	v_mov_b32_e32 v6, 0
	ds_load_b32 v6, v6 offset:16
	s_wait_dscnt 0x0
	v_mul_f32_e32 v6, v26, v6
.LBB85_352:
	s_or_b32 exec_lo, exec_lo, s2
	v_cmp_gt_u32_e64 s2, 5, v0
	ds_store_b32 v113, v7
	s_wait_dscnt 0x0
	s_barrier_signal -1
	s_barrier_wait -1
	s_and_saveexec_b32 s3, s2
	s_cbranch_execz .LBB85_362
; %bb.353:
	v_cmp_ne_u32_e32 vcc_lo, 1, v34
	s_cbranch_vccnz .LBB85_355
; %bb.354:
	v_cmp_eq_u32_e32 vcc_lo, 1, v0
	ds_load_b32 v25, v113
	v_cndmask_b32_e32 v24, v2, v3, vcc_lo
	v_cmp_eq_u32_e32 vcc_lo, 2, v0
	s_delay_alu instid0(VALU_DEP_2) | instskip(SKIP_1) | instid1(VALU_DEP_2)
	v_cndmask_b32_e32 v24, v24, v4, vcc_lo
	v_cmp_eq_u32_e32 vcc_lo, 3, v0
	v_cndmask_b32_e32 v24, v24, v5, vcc_lo
	v_cmp_eq_u32_e32 vcc_lo, 4, v0
	s_delay_alu instid0(VALU_DEP_2) | instskip(SKIP_1) | instid1(VALU_DEP_2)
	v_cndmask_b32_e32 v24, v24, v6, vcc_lo
	v_cmp_eq_u32_e32 vcc_lo, 5, v0
	;; [unrolled: 5-line block ×10, first 2 shown]
	v_cndmask_b32_e32 v24, v24, v23, vcc_lo
	s_wait_dscnt 0x0
	s_delay_alu instid0(VALU_DEP_1)
	v_mul_f32_e32 v26, v24, v25
	s_cbranch_execz .LBB85_356
	s_branch .LBB85_357
.LBB85_355:
                                        ; implicit-def: $vgpr26
.LBB85_356:
	ds_load_b32 v26, v113
.LBB85_357:
	s_mov_b32 s4, exec_lo
	v_cmpx_ne_u32_e32 4, v0
	s_cbranch_execz .LBB85_361
; %bb.358:
	v_mov_b64_e32 v[24:25], v[0:1]
	v_lshl_add_u32 v27, v0, 2, 0x64
	s_mov_b32 s5, 0
.LBB85_359:                             ; =>This Inner Loop Header: Depth=1
	s_delay_alu instid0(VALU_DEP_2)
	v_add_nc_u64_e32 v[24:25], 1, v[24:25]
	ds_load_b32 v29, v27
	v_add_nc_u32_e32 v27, 4, v27
	v_cmp_eq_u32_e32 vcc_lo, 1, v24
	v_cndmask_b32_e32 v28, v2, v3, vcc_lo
	v_cmp_eq_u32_e32 vcc_lo, 2, v24
	s_delay_alu instid0(VALU_DEP_2) | instskip(SKIP_1) | instid1(VALU_DEP_2)
	v_cndmask_b32_e32 v28, v28, v4, vcc_lo
	v_cmp_eq_u32_e32 vcc_lo, 3, v24
	v_cndmask_b32_e32 v28, v28, v5, vcc_lo
	v_cmp_eq_u32_e32 vcc_lo, 4, v24
	s_delay_alu instid0(VALU_DEP_2) | instskip(SKIP_1) | instid1(VALU_DEP_2)
	v_cndmask_b32_e32 v28, v28, v6, vcc_lo
	;; [unrolled: 5-line block ×10, first 2 shown]
	v_cmp_eq_u32_e32 vcc_lo, 21, v24
	v_cndmask_b32_e32 v28, v28, v23, vcc_lo
	v_cmp_lt_u32_e32 vcc_lo, 3, v24
	s_wait_dscnt 0x0
	s_delay_alu instid0(VALU_DEP_2) | instskip(SKIP_1) | instid1(SALU_CYCLE_1)
	v_fmac_f32_e32 v26, v28, v29
	s_or_b32 s5, vcc_lo, s5
	s_and_not1_b32 exec_lo, exec_lo, s5
	s_cbranch_execnz .LBB85_359
; %bb.360:
	s_or_b32 exec_lo, exec_lo, s5
.LBB85_361:
	s_delay_alu instid0(SALU_CYCLE_1)
	s_or_b32 exec_lo, exec_lo, s4
	v_mov_b32_e32 v7, 0
	ds_load_b32 v7, v7 offset:20
	s_wait_dscnt 0x0
	v_mul_f32_e32 v7, v26, v7
.LBB85_362:
	s_or_b32 exec_lo, exec_lo, s3
	s_delay_alu instid0(SALU_CYCLE_1)
	s_mov_b32 s3, exec_lo
	ds_store_b32 v113, v8
	s_wait_dscnt 0x0
	s_barrier_signal -1
	s_barrier_wait -1
	v_cmpx_gt_u32_e32 6, v0
	s_cbranch_execz .LBB85_372
; %bb.363:
	v_cmp_ne_u32_e32 vcc_lo, 1, v34
	s_cbranch_vccnz .LBB85_365
; %bb.364:
	v_cmp_eq_u32_e32 vcc_lo, 1, v0
	ds_load_b32 v25, v113
	v_cndmask_b32_e32 v24, v2, v3, vcc_lo
	v_cmp_eq_u32_e32 vcc_lo, 2, v0
	s_delay_alu instid0(VALU_DEP_2) | instskip(SKIP_1) | instid1(VALU_DEP_2)
	v_cndmask_b32_e32 v24, v24, v4, vcc_lo
	v_cmp_eq_u32_e32 vcc_lo, 3, v0
	v_cndmask_b32_e32 v24, v24, v5, vcc_lo
	v_cmp_eq_u32_e32 vcc_lo, 4, v0
	s_delay_alu instid0(VALU_DEP_2) | instskip(SKIP_1) | instid1(VALU_DEP_2)
	v_cndmask_b32_e32 v24, v24, v6, vcc_lo
	v_cmp_eq_u32_e32 vcc_lo, 5, v0
	;; [unrolled: 5-line block ×10, first 2 shown]
	v_cndmask_b32_e32 v24, v24, v23, vcc_lo
	s_wait_dscnt 0x0
	s_delay_alu instid0(VALU_DEP_1)
	v_mul_f32_e32 v26, v24, v25
	s_cbranch_execz .LBB85_366
	s_branch .LBB85_367
.LBB85_365:
                                        ; implicit-def: $vgpr26
.LBB85_366:
	ds_load_b32 v26, v113
.LBB85_367:
	s_mov_b32 s4, exec_lo
	v_cmpx_ne_u32_e32 5, v0
	s_cbranch_execz .LBB85_371
; %bb.368:
	v_mov_b64_e32 v[24:25], v[0:1]
	v_lshl_add_u32 v27, v0, 2, 0x64
	s_mov_b32 s5, 0
.LBB85_369:                             ; =>This Inner Loop Header: Depth=1
	s_delay_alu instid0(VALU_DEP_2)
	v_add_nc_u64_e32 v[24:25], 1, v[24:25]
	ds_load_b32 v29, v27
	v_add_nc_u32_e32 v27, 4, v27
	v_cmp_eq_u32_e32 vcc_lo, 1, v24
	v_cndmask_b32_e32 v28, v2, v3, vcc_lo
	v_cmp_eq_u32_e32 vcc_lo, 2, v24
	s_delay_alu instid0(VALU_DEP_2) | instskip(SKIP_1) | instid1(VALU_DEP_2)
	v_cndmask_b32_e32 v28, v28, v4, vcc_lo
	v_cmp_eq_u32_e32 vcc_lo, 3, v24
	v_cndmask_b32_e32 v28, v28, v5, vcc_lo
	v_cmp_eq_u32_e32 vcc_lo, 4, v24
	s_delay_alu instid0(VALU_DEP_2) | instskip(SKIP_1) | instid1(VALU_DEP_2)
	v_cndmask_b32_e32 v28, v28, v6, vcc_lo
	;; [unrolled: 5-line block ×10, first 2 shown]
	v_cmp_eq_u32_e32 vcc_lo, 21, v24
	v_cndmask_b32_e32 v28, v28, v23, vcc_lo
	v_cmp_lt_u32_e32 vcc_lo, 4, v24
	s_wait_dscnt 0x0
	s_delay_alu instid0(VALU_DEP_2) | instskip(SKIP_1) | instid1(SALU_CYCLE_1)
	v_fmac_f32_e32 v26, v28, v29
	s_or_b32 s5, vcc_lo, s5
	s_and_not1_b32 exec_lo, exec_lo, s5
	s_cbranch_execnz .LBB85_369
; %bb.370:
	s_or_b32 exec_lo, exec_lo, s5
.LBB85_371:
	s_delay_alu instid0(SALU_CYCLE_1)
	s_or_b32 exec_lo, exec_lo, s4
	v_mov_b32_e32 v8, 0
	ds_load_b32 v8, v8 offset:24
	s_wait_dscnt 0x0
	v_mul_f32_e32 v8, v26, v8
.LBB85_372:
	s_or_b32 exec_lo, exec_lo, s3
	v_cmp_gt_u32_e64 s3, 7, v0
	ds_store_b32 v113, v9
	s_wait_dscnt 0x0
	s_barrier_signal -1
	s_barrier_wait -1
	s_and_saveexec_b32 s4, s3
	s_cbranch_execz .LBB85_382
; %bb.373:
	v_cmp_ne_u32_e32 vcc_lo, 1, v34
	s_cbranch_vccnz .LBB85_375
; %bb.374:
	v_cmp_eq_u32_e32 vcc_lo, 1, v0
	ds_load_b32 v25, v113
	v_cndmask_b32_e32 v24, v2, v3, vcc_lo
	v_cmp_eq_u32_e32 vcc_lo, 2, v0
	s_delay_alu instid0(VALU_DEP_2) | instskip(SKIP_1) | instid1(VALU_DEP_2)
	v_cndmask_b32_e32 v24, v24, v4, vcc_lo
	v_cmp_eq_u32_e32 vcc_lo, 3, v0
	v_cndmask_b32_e32 v24, v24, v5, vcc_lo
	v_cmp_eq_u32_e32 vcc_lo, 4, v0
	s_delay_alu instid0(VALU_DEP_2) | instskip(SKIP_1) | instid1(VALU_DEP_2)
	v_cndmask_b32_e32 v24, v24, v6, vcc_lo
	v_cmp_eq_u32_e32 vcc_lo, 5, v0
	;; [unrolled: 5-line block ×10, first 2 shown]
	v_cndmask_b32_e32 v24, v24, v23, vcc_lo
	s_wait_dscnt 0x0
	s_delay_alu instid0(VALU_DEP_1)
	v_mul_f32_e32 v26, v24, v25
	s_cbranch_execz .LBB85_376
	s_branch .LBB85_377
.LBB85_375:
                                        ; implicit-def: $vgpr26
.LBB85_376:
	ds_load_b32 v26, v113
.LBB85_377:
	s_mov_b32 s5, exec_lo
	v_cmpx_ne_u32_e32 6, v0
	s_cbranch_execz .LBB85_381
; %bb.378:
	v_mov_b64_e32 v[24:25], v[0:1]
	v_lshl_add_u32 v27, v0, 2, 0x64
	s_mov_b32 s6, 0
.LBB85_379:                             ; =>This Inner Loop Header: Depth=1
	s_delay_alu instid0(VALU_DEP_2)
	v_add_nc_u64_e32 v[24:25], 1, v[24:25]
	ds_load_b32 v29, v27
	v_add_nc_u32_e32 v27, 4, v27
	v_cmp_eq_u32_e32 vcc_lo, 1, v24
	v_cndmask_b32_e32 v28, v2, v3, vcc_lo
	v_cmp_eq_u32_e32 vcc_lo, 2, v24
	s_delay_alu instid0(VALU_DEP_2) | instskip(SKIP_1) | instid1(VALU_DEP_2)
	v_cndmask_b32_e32 v28, v28, v4, vcc_lo
	v_cmp_eq_u32_e32 vcc_lo, 3, v24
	v_cndmask_b32_e32 v28, v28, v5, vcc_lo
	v_cmp_eq_u32_e32 vcc_lo, 4, v24
	s_delay_alu instid0(VALU_DEP_2) | instskip(SKIP_1) | instid1(VALU_DEP_2)
	v_cndmask_b32_e32 v28, v28, v6, vcc_lo
	;; [unrolled: 5-line block ×10, first 2 shown]
	v_cmp_eq_u32_e32 vcc_lo, 21, v24
	v_cndmask_b32_e32 v28, v28, v23, vcc_lo
	v_cmp_lt_u32_e32 vcc_lo, 5, v24
	s_wait_dscnt 0x0
	s_delay_alu instid0(VALU_DEP_2) | instskip(SKIP_1) | instid1(SALU_CYCLE_1)
	v_fmac_f32_e32 v26, v28, v29
	s_or_b32 s6, vcc_lo, s6
	s_and_not1_b32 exec_lo, exec_lo, s6
	s_cbranch_execnz .LBB85_379
; %bb.380:
	s_or_b32 exec_lo, exec_lo, s6
.LBB85_381:
	s_delay_alu instid0(SALU_CYCLE_1)
	s_or_b32 exec_lo, exec_lo, s5
	v_mov_b32_e32 v9, 0
	ds_load_b32 v9, v9 offset:28
	s_wait_dscnt 0x0
	v_mul_f32_e32 v9, v26, v9
.LBB85_382:
	s_or_b32 exec_lo, exec_lo, s4
	s_delay_alu instid0(SALU_CYCLE_1)
	s_mov_b32 s4, exec_lo
	ds_store_b32 v113, v10
	s_wait_dscnt 0x0
	s_barrier_signal -1
	s_barrier_wait -1
	v_cmpx_gt_u32_e32 8, v0
	s_cbranch_execz .LBB85_392
; %bb.383:
	v_cmp_ne_u32_e32 vcc_lo, 1, v34
	s_cbranch_vccnz .LBB85_385
; %bb.384:
	v_cmp_eq_u32_e32 vcc_lo, 1, v0
	ds_load_b32 v25, v113
	v_cndmask_b32_e32 v24, v2, v3, vcc_lo
	v_cmp_eq_u32_e32 vcc_lo, 2, v0
	s_delay_alu instid0(VALU_DEP_2) | instskip(SKIP_1) | instid1(VALU_DEP_2)
	v_cndmask_b32_e32 v24, v24, v4, vcc_lo
	v_cmp_eq_u32_e32 vcc_lo, 3, v0
	v_cndmask_b32_e32 v24, v24, v5, vcc_lo
	v_cmp_eq_u32_e32 vcc_lo, 4, v0
	s_delay_alu instid0(VALU_DEP_2) | instskip(SKIP_1) | instid1(VALU_DEP_2)
	v_cndmask_b32_e32 v24, v24, v6, vcc_lo
	v_cmp_eq_u32_e32 vcc_lo, 5, v0
	;; [unrolled: 5-line block ×10, first 2 shown]
	v_cndmask_b32_e32 v24, v24, v23, vcc_lo
	s_wait_dscnt 0x0
	s_delay_alu instid0(VALU_DEP_1)
	v_mul_f32_e32 v26, v24, v25
	s_cbranch_execz .LBB85_386
	s_branch .LBB85_387
.LBB85_385:
                                        ; implicit-def: $vgpr26
.LBB85_386:
	ds_load_b32 v26, v113
.LBB85_387:
	s_mov_b32 s5, exec_lo
	v_cmpx_ne_u32_e32 7, v0
	s_cbranch_execz .LBB85_391
; %bb.388:
	v_mov_b64_e32 v[24:25], v[0:1]
	v_lshl_add_u32 v27, v0, 2, 0x64
	s_mov_b32 s6, 0
.LBB85_389:                             ; =>This Inner Loop Header: Depth=1
	s_delay_alu instid0(VALU_DEP_2)
	v_add_nc_u64_e32 v[24:25], 1, v[24:25]
	ds_load_b32 v29, v27
	v_add_nc_u32_e32 v27, 4, v27
	v_cmp_eq_u32_e32 vcc_lo, 1, v24
	v_cndmask_b32_e32 v28, v2, v3, vcc_lo
	v_cmp_eq_u32_e32 vcc_lo, 2, v24
	s_delay_alu instid0(VALU_DEP_2) | instskip(SKIP_1) | instid1(VALU_DEP_2)
	v_cndmask_b32_e32 v28, v28, v4, vcc_lo
	v_cmp_eq_u32_e32 vcc_lo, 3, v24
	v_cndmask_b32_e32 v28, v28, v5, vcc_lo
	v_cmp_eq_u32_e32 vcc_lo, 4, v24
	s_delay_alu instid0(VALU_DEP_2) | instskip(SKIP_1) | instid1(VALU_DEP_2)
	v_cndmask_b32_e32 v28, v28, v6, vcc_lo
	;; [unrolled: 5-line block ×10, first 2 shown]
	v_cmp_eq_u32_e32 vcc_lo, 21, v24
	v_cndmask_b32_e32 v28, v28, v23, vcc_lo
	v_cmp_lt_u32_e32 vcc_lo, 6, v24
	s_wait_dscnt 0x0
	s_delay_alu instid0(VALU_DEP_2) | instskip(SKIP_1) | instid1(SALU_CYCLE_1)
	v_fmac_f32_e32 v26, v28, v29
	s_or_b32 s6, vcc_lo, s6
	s_and_not1_b32 exec_lo, exec_lo, s6
	s_cbranch_execnz .LBB85_389
; %bb.390:
	s_or_b32 exec_lo, exec_lo, s6
.LBB85_391:
	s_delay_alu instid0(SALU_CYCLE_1)
	s_or_b32 exec_lo, exec_lo, s5
	v_mov_b32_e32 v10, 0
	ds_load_b32 v10, v10 offset:32
	s_wait_dscnt 0x0
	v_mul_f32_e32 v10, v26, v10
.LBB85_392:
	s_or_b32 exec_lo, exec_lo, s4
	s_delay_alu instid0(SALU_CYCLE_1)
	s_mov_b32 s4, exec_lo
	ds_store_b32 v113, v11
	s_wait_dscnt 0x0
	s_barrier_signal -1
	s_barrier_wait -1
	v_cmpx_gt_u32_e32 9, v0
	s_cbranch_execz .LBB85_414
; %bb.393:
	v_cmp_ne_u32_e32 vcc_lo, 1, v34
	s_cbranch_vccnz .LBB85_395
; %bb.394:
	v_cmp_eq_u32_e32 vcc_lo, 1, v0
	ds_load_b32 v25, v113
	v_cndmask_b32_e32 v24, v2, v3, vcc_lo
	v_cmp_eq_u32_e32 vcc_lo, 2, v0
	s_delay_alu instid0(VALU_DEP_2) | instskip(SKIP_1) | instid1(VALU_DEP_2)
	v_cndmask_b32_e32 v24, v24, v4, vcc_lo
	v_cmp_eq_u32_e32 vcc_lo, 3, v0
	v_cndmask_b32_e32 v24, v24, v5, vcc_lo
	v_cmp_eq_u32_e32 vcc_lo, 4, v0
	s_delay_alu instid0(VALU_DEP_2) | instskip(SKIP_1) | instid1(VALU_DEP_2)
	v_cndmask_b32_e32 v24, v24, v6, vcc_lo
	v_cmp_eq_u32_e32 vcc_lo, 5, v0
	v_cndmask_b32_e32 v24, v24, v7, vcc_lo
	v_cmp_eq_u32_e32 vcc_lo, 6, v0
	s_delay_alu instid0(VALU_DEP_2) | instskip(SKIP_1) | instid1(VALU_DEP_2)
	v_cndmask_b32_e32 v24, v24, v8, vcc_lo
	v_cmp_eq_u32_e32 vcc_lo, 7, v0
	v_cndmask_b32_e32 v24, v24, v9, vcc_lo
	v_cmp_eq_u32_e32 vcc_lo, 8, v0
	s_delay_alu instid0(VALU_DEP_2) | instskip(SKIP_1) | instid1(VALU_DEP_2)
	v_cndmask_b32_e32 v24, v24, v10, vcc_lo
	v_cmp_eq_u32_e32 vcc_lo, 9, v0
	v_cndmask_b32_e32 v24, v24, v11, vcc_lo
	v_cmp_eq_u32_e32 vcc_lo, 10, v0
	s_delay_alu instid0(VALU_DEP_2) | instskip(SKIP_1) | instid1(VALU_DEP_2)
	v_cndmask_b32_e32 v24, v24, v12, vcc_lo
	v_cmp_eq_u32_e32 vcc_lo, 11, v0
	v_cndmask_b32_e32 v24, v24, v13, vcc_lo
	v_cmp_eq_u32_e32 vcc_lo, 12, v0
	s_delay_alu instid0(VALU_DEP_2) | instskip(SKIP_1) | instid1(VALU_DEP_2)
	v_cndmask_b32_e32 v24, v24, v14, vcc_lo
	v_cmp_eq_u32_e32 vcc_lo, 13, v0
	v_cndmask_b32_e32 v24, v24, v15, vcc_lo
	v_cmp_eq_u32_e32 vcc_lo, 14, v0
	s_delay_alu instid0(VALU_DEP_2) | instskip(SKIP_1) | instid1(VALU_DEP_2)
	v_cndmask_b32_e32 v24, v24, v16, vcc_lo
	v_cmp_eq_u32_e32 vcc_lo, 15, v0
	v_cndmask_b32_e32 v24, v24, v17, vcc_lo
	v_cmp_eq_u32_e32 vcc_lo, 16, v0
	s_delay_alu instid0(VALU_DEP_2) | instskip(SKIP_1) | instid1(VALU_DEP_2)
	v_cndmask_b32_e32 v24, v24, v18, vcc_lo
	v_cmp_eq_u32_e32 vcc_lo, 17, v0
	v_cndmask_b32_e32 v24, v24, v19, vcc_lo
	v_cmp_eq_u32_e32 vcc_lo, 18, v0
	s_delay_alu instid0(VALU_DEP_2) | instskip(SKIP_1) | instid1(VALU_DEP_2)
	v_cndmask_b32_e32 v24, v24, v20, vcc_lo
	v_cmp_eq_u32_e32 vcc_lo, 19, v0
	v_cndmask_b32_e32 v24, v24, v21, vcc_lo
	v_cmp_eq_u32_e32 vcc_lo, 20, v0
	s_delay_alu instid0(VALU_DEP_2) | instskip(SKIP_1) | instid1(VALU_DEP_2)
	v_cndmask_b32_e32 v24, v24, v22, vcc_lo
	v_cmp_eq_u32_e32 vcc_lo, 21, v0
	v_cndmask_b32_e32 v24, v24, v23, vcc_lo
	s_wait_dscnt 0x0
	s_delay_alu instid0(VALU_DEP_1)
	v_mul_f32_e32 v24, v24, v25
	s_cbranch_execz .LBB85_396
	s_branch .LBB85_397
.LBB85_395:
                                        ; implicit-def: $vgpr24
.LBB85_396:
	ds_load_b32 v24, v113
.LBB85_397:
	s_mov_b32 s5, exec_lo
	v_cmpx_ne_u32_e32 8, v0
	s_cbranch_execz .LBB85_413
; %bb.398:
	v_cmp_eq_u32_e32 vcc_lo, 1, v35
	ds_load_b32 v26, v113 offset:4
	v_cndmask_b32_e32 v25, v2, v3, vcc_lo
	v_cmp_eq_u32_e32 vcc_lo, 2, v35
	s_delay_alu instid0(VALU_DEP_2) | instskip(SKIP_1) | instid1(VALU_DEP_2)
	v_cndmask_b32_e32 v25, v25, v4, vcc_lo
	v_cmp_eq_u32_e32 vcc_lo, 3, v35
	v_cndmask_b32_e32 v25, v25, v5, vcc_lo
	v_cmp_eq_u32_e32 vcc_lo, 4, v35
	s_delay_alu instid0(VALU_DEP_2) | instskip(SKIP_1) | instid1(VALU_DEP_2)
	v_cndmask_b32_e32 v25, v25, v6, vcc_lo
	v_cmp_eq_u32_e32 vcc_lo, 5, v35
	;; [unrolled: 5-line block ×10, first 2 shown]
	v_cndmask_b32_e32 v25, v25, v23, vcc_lo
	s_wait_dscnt 0x0
	s_delay_alu instid0(VALU_DEP_1)
	v_fmac_f32_e32 v24, v25, v26
	s_and_saveexec_b32 s6, s3
	s_cbranch_execz .LBB85_412
; %bb.399:
	v_add_nc_u32_e32 v25, 2, v0
	ds_load_b32 v27, v113 offset:8
	s_mov_b32 s3, exec_lo
	v_cmp_eq_u32_e32 vcc_lo, 1, v25
	v_cndmask_b32_e32 v26, v2, v3, vcc_lo
	v_cmp_eq_u32_e32 vcc_lo, 2, v25
	s_delay_alu instid0(VALU_DEP_2) | instskip(SKIP_1) | instid1(VALU_DEP_2)
	v_cndmask_b32_e32 v26, v26, v4, vcc_lo
	v_cmp_eq_u32_e32 vcc_lo, 3, v25
	v_cndmask_b32_e32 v26, v26, v5, vcc_lo
	v_cmp_eq_u32_e32 vcc_lo, 4, v25
	s_delay_alu instid0(VALU_DEP_2) | instskip(SKIP_1) | instid1(VALU_DEP_2)
	v_cndmask_b32_e32 v26, v26, v6, vcc_lo
	;; [unrolled: 5-line block ×10, first 2 shown]
	v_cmp_eq_u32_e32 vcc_lo, 21, v25
	v_cndmask_b32_e32 v25, v26, v23, vcc_lo
	s_wait_dscnt 0x0
	s_delay_alu instid0(VALU_DEP_1)
	v_fmac_f32_e32 v24, v25, v27
	v_cmpx_ne_u32_e32 6, v0
	s_cbranch_execz .LBB85_411
; %bb.400:
	v_add_nc_u32_e32 v25, 3, v0
	ds_load_b32 v27, v113 offset:12
	v_cmp_eq_u32_e32 vcc_lo, 1, v25
	v_cndmask_b32_e32 v26, v2, v3, vcc_lo
	v_cmp_eq_u32_e32 vcc_lo, 2, v25
	s_delay_alu instid0(VALU_DEP_2) | instskip(SKIP_1) | instid1(VALU_DEP_2)
	v_cndmask_b32_e32 v26, v26, v4, vcc_lo
	v_cmp_eq_u32_e32 vcc_lo, 3, v25
	v_cndmask_b32_e32 v26, v26, v5, vcc_lo
	v_cmp_eq_u32_e32 vcc_lo, 4, v25
	s_delay_alu instid0(VALU_DEP_2) | instskip(SKIP_1) | instid1(VALU_DEP_2)
	v_cndmask_b32_e32 v26, v26, v6, vcc_lo
	;; [unrolled: 5-line block ×10, first 2 shown]
	v_cmp_eq_u32_e32 vcc_lo, 21, v25
	v_cndmask_b32_e32 v25, v26, v23, vcc_lo
	s_wait_dscnt 0x0
	s_delay_alu instid0(VALU_DEP_1)
	v_fmac_f32_e32 v24, v25, v27
	s_and_saveexec_b32 s7, s2
	s_cbranch_execz .LBB85_410
; %bb.401:
	v_add_nc_u32_e32 v25, 4, v0
	ds_load_b32 v27, v113 offset:16
	s_mov_b32 s2, exec_lo
	v_cmp_eq_u32_e32 vcc_lo, 1, v25
	v_cndmask_b32_e32 v26, v2, v3, vcc_lo
	v_cmp_eq_u32_e32 vcc_lo, 2, v25
	s_delay_alu instid0(VALU_DEP_2) | instskip(SKIP_1) | instid1(VALU_DEP_2)
	v_cndmask_b32_e32 v26, v26, v4, vcc_lo
	v_cmp_eq_u32_e32 vcc_lo, 3, v25
	v_cndmask_b32_e32 v26, v26, v5, vcc_lo
	v_cmp_eq_u32_e32 vcc_lo, 4, v25
	s_delay_alu instid0(VALU_DEP_2) | instskip(SKIP_1) | instid1(VALU_DEP_2)
	v_cndmask_b32_e32 v26, v26, v6, vcc_lo
	;; [unrolled: 5-line block ×10, first 2 shown]
	v_cmp_eq_u32_e32 vcc_lo, 21, v25
	v_cndmask_b32_e32 v25, v26, v23, vcc_lo
	s_wait_dscnt 0x0
	s_delay_alu instid0(VALU_DEP_1)
	v_fmac_f32_e32 v24, v25, v27
	v_cmpx_ne_u32_e32 4, v0
	s_cbranch_execz .LBB85_409
; %bb.402:
	v_add_nc_u32_e32 v25, 5, v0
	ds_load_b32 v27, v113 offset:20
	v_cmp_eq_u32_e32 vcc_lo, 1, v25
	v_cndmask_b32_e32 v26, v2, v3, vcc_lo
	v_cmp_eq_u32_e32 vcc_lo, 2, v25
	s_delay_alu instid0(VALU_DEP_2) | instskip(SKIP_1) | instid1(VALU_DEP_2)
	v_cndmask_b32_e32 v26, v26, v4, vcc_lo
	v_cmp_eq_u32_e32 vcc_lo, 3, v25
	v_cndmask_b32_e32 v26, v26, v5, vcc_lo
	v_cmp_eq_u32_e32 vcc_lo, 4, v25
	s_delay_alu instid0(VALU_DEP_2) | instskip(SKIP_1) | instid1(VALU_DEP_2)
	v_cndmask_b32_e32 v26, v26, v6, vcc_lo
	v_cmp_eq_u32_e32 vcc_lo, 5, v25
	v_cndmask_b32_e32 v26, v26, v7, vcc_lo
	v_cmp_eq_u32_e32 vcc_lo, 6, v25
	s_delay_alu instid0(VALU_DEP_2) | instskip(SKIP_1) | instid1(VALU_DEP_2)
	v_cndmask_b32_e32 v26, v26, v8, vcc_lo
	v_cmp_eq_u32_e32 vcc_lo, 7, v25
	v_cndmask_b32_e32 v26, v26, v9, vcc_lo
	v_cmp_eq_u32_e32 vcc_lo, 8, v25
	s_delay_alu instid0(VALU_DEP_2) | instskip(SKIP_1) | instid1(VALU_DEP_2)
	v_cndmask_b32_e32 v26, v26, v10, vcc_lo
	v_cmp_eq_u32_e32 vcc_lo, 9, v25
	v_cndmask_b32_e32 v26, v26, v11, vcc_lo
	v_cmp_eq_u32_e32 vcc_lo, 10, v25
	s_delay_alu instid0(VALU_DEP_2) | instskip(SKIP_1) | instid1(VALU_DEP_2)
	v_cndmask_b32_e32 v26, v26, v12, vcc_lo
	v_cmp_eq_u32_e32 vcc_lo, 11, v25
	v_cndmask_b32_e32 v26, v26, v13, vcc_lo
	v_cmp_eq_u32_e32 vcc_lo, 12, v25
	s_delay_alu instid0(VALU_DEP_2) | instskip(SKIP_1) | instid1(VALU_DEP_2)
	v_cndmask_b32_e32 v26, v26, v14, vcc_lo
	v_cmp_eq_u32_e32 vcc_lo, 13, v25
	v_cndmask_b32_e32 v26, v26, v15, vcc_lo
	v_cmp_eq_u32_e32 vcc_lo, 14, v25
	s_delay_alu instid0(VALU_DEP_2) | instskip(SKIP_1) | instid1(VALU_DEP_2)
	v_cndmask_b32_e32 v26, v26, v16, vcc_lo
	v_cmp_eq_u32_e32 vcc_lo, 15, v25
	v_cndmask_b32_e32 v26, v26, v17, vcc_lo
	v_cmp_eq_u32_e32 vcc_lo, 16, v25
	s_delay_alu instid0(VALU_DEP_2) | instskip(SKIP_1) | instid1(VALU_DEP_2)
	v_cndmask_b32_e32 v26, v26, v18, vcc_lo
	v_cmp_eq_u32_e32 vcc_lo, 17, v25
	v_cndmask_b32_e32 v26, v26, v19, vcc_lo
	v_cmp_eq_u32_e32 vcc_lo, 18, v25
	s_delay_alu instid0(VALU_DEP_2) | instskip(SKIP_1) | instid1(VALU_DEP_2)
	v_cndmask_b32_e32 v26, v26, v20, vcc_lo
	v_cmp_eq_u32_e32 vcc_lo, 19, v25
	v_cndmask_b32_e32 v26, v26, v21, vcc_lo
	v_cmp_eq_u32_e32 vcc_lo, 20, v25
	s_delay_alu instid0(VALU_DEP_2) | instskip(SKIP_1) | instid1(VALU_DEP_2)
	v_cndmask_b32_e32 v26, v26, v22, vcc_lo
	v_cmp_eq_u32_e32 vcc_lo, 21, v25
	v_cndmask_b32_e32 v25, v26, v23, vcc_lo
	s_wait_dscnt 0x0
	s_delay_alu instid0(VALU_DEP_1)
	v_fmac_f32_e32 v24, v25, v27
	s_and_saveexec_b32 s8, s1
	s_cbranch_execz .LBB85_408
; %bb.403:
	v_add_nc_u32_e32 v25, 6, v0
	ds_load_b32 v27, v113 offset:24
	s_mov_b32 s1, exec_lo
	v_cmp_eq_u32_e32 vcc_lo, 1, v25
	v_cndmask_b32_e32 v26, v2, v3, vcc_lo
	v_cmp_eq_u32_e32 vcc_lo, 2, v25
	s_delay_alu instid0(VALU_DEP_2) | instskip(SKIP_1) | instid1(VALU_DEP_2)
	v_cndmask_b32_e32 v26, v26, v4, vcc_lo
	v_cmp_eq_u32_e32 vcc_lo, 3, v25
	v_cndmask_b32_e32 v26, v26, v5, vcc_lo
	v_cmp_eq_u32_e32 vcc_lo, 4, v25
	s_delay_alu instid0(VALU_DEP_2) | instskip(SKIP_1) | instid1(VALU_DEP_2)
	v_cndmask_b32_e32 v26, v26, v6, vcc_lo
	;; [unrolled: 5-line block ×10, first 2 shown]
	v_cmp_eq_u32_e32 vcc_lo, 21, v25
	v_cndmask_b32_e32 v25, v26, v23, vcc_lo
	s_wait_dscnt 0x0
	s_delay_alu instid0(VALU_DEP_1)
	v_fmac_f32_e32 v24, v25, v27
	v_cmpx_ne_u32_e32 2, v0
	s_cbranch_execz .LBB85_407
; %bb.404:
	v_add_nc_u32_e32 v25, 7, v0
	s_delay_alu instid0(VALU_DEP_1) | instskip(SKIP_2) | instid1(VALU_DEP_2)
	v_cmp_eq_u32_e32 vcc_lo, 1, v25
	v_cndmask_b32_e32 v26, v2, v3, vcc_lo
	v_cmp_eq_u32_e32 vcc_lo, 2, v25
	v_cndmask_b32_e32 v26, v26, v4, vcc_lo
	v_cmp_eq_u32_e32 vcc_lo, 3, v25
	s_delay_alu instid0(VALU_DEP_2) | instskip(SKIP_1) | instid1(VALU_DEP_2)
	v_cndmask_b32_e32 v26, v26, v5, vcc_lo
	v_cmp_eq_u32_e32 vcc_lo, 4, v25
	v_cndmask_b32_e32 v26, v26, v6, vcc_lo
	v_cmp_eq_u32_e32 vcc_lo, 5, v25
	s_delay_alu instid0(VALU_DEP_2) | instskip(SKIP_1) | instid1(VALU_DEP_2)
	;; [unrolled: 5-line block ×3, first 2 shown]
	v_cndmask_b32_e32 v26, v26, v9, vcc_lo
	v_cmp_eq_u32_e32 vcc_lo, 8, v25
	v_cndmask_b32_e32 v26, v26, v10, vcc_lo
	v_cmp_eq_u32_e32 vcc_lo, 9, v25
	s_delay_alu instid0(VALU_DEP_2) | instskip(SKIP_4) | instid1(VALU_DEP_2)
	v_cndmask_b32_e32 v11, v26, v11, vcc_lo
	v_cmp_eq_u32_e32 vcc_lo, 10, v25
	ds_load_b32 v26, v113 offset:28
	v_cndmask_b32_e32 v11, v11, v12, vcc_lo
	v_cmp_eq_u32_e32 vcc_lo, 11, v25
	v_cndmask_b32_e32 v11, v11, v13, vcc_lo
	v_cmp_eq_u32_e32 vcc_lo, 12, v25
	s_delay_alu instid0(VALU_DEP_2) | instskip(SKIP_1) | instid1(VALU_DEP_2)
	v_cndmask_b32_e32 v11, v11, v14, vcc_lo
	v_cmp_eq_u32_e32 vcc_lo, 13, v25
	v_cndmask_b32_e32 v11, v11, v15, vcc_lo
	v_cmp_eq_u32_e32 vcc_lo, 14, v25
	s_delay_alu instid0(VALU_DEP_2) | instskip(SKIP_1) | instid1(VALU_DEP_2)
	;; [unrolled: 5-line block ×5, first 2 shown]
	v_cndmask_b32_e32 v11, v11, v22, vcc_lo
	v_cmp_eq_u32_e32 vcc_lo, 21, v25
	v_cndmask_b32_e32 v11, v11, v23, vcc_lo
	s_wait_dscnt 0x0
	s_delay_alu instid0(VALU_DEP_1)
	v_fmac_f32_e32 v24, v11, v26
	s_and_saveexec_b32 s9, s0
	s_cbranch_execz .LBB85_406
; %bb.405:
	ds_load_b32 v11, v113 offset:32
	s_wait_dscnt 0x0
	v_fmac_f32_e32 v24, v10, v11
.LBB85_406:
	s_or_b32 exec_lo, exec_lo, s9
.LBB85_407:
	s_delay_alu instid0(SALU_CYCLE_1)
	s_or_b32 exec_lo, exec_lo, s1
.LBB85_408:
	s_delay_alu instid0(SALU_CYCLE_1)
	s_or_b32 exec_lo, exec_lo, s8
.LBB85_409:
	s_delay_alu instid0(SALU_CYCLE_1)
	s_or_b32 exec_lo, exec_lo, s2
.LBB85_410:
	s_delay_alu instid0(SALU_CYCLE_1)
	s_or_b32 exec_lo, exec_lo, s7
.LBB85_411:
	s_delay_alu instid0(SALU_CYCLE_1)
	s_or_b32 exec_lo, exec_lo, s3
.LBB85_412:
	s_delay_alu instid0(SALU_CYCLE_1)
	s_or_b32 exec_lo, exec_lo, s6
.LBB85_413:
	s_delay_alu instid0(SALU_CYCLE_1)
	s_or_b32 exec_lo, exec_lo, s5
	v_mov_b32_e32 v11, 0
	ds_load_b32 v11, v11 offset:36
	s_wait_dscnt 0x0
	v_mul_f32_e32 v11, v24, v11
.LBB85_414:
	s_or_b32 exec_lo, exec_lo, s4
	s_delay_alu instid0(SALU_CYCLE_1)
	s_mov_b32 s0, exec_lo
	ds_store_b32 v113, v12
	s_wait_dscnt 0x0
	s_barrier_signal -1
	s_barrier_wait -1
	v_cmpx_gt_u32_e32 10, v0
	s_cbranch_execz .LBB85_424
; %bb.415:
	v_cmp_ne_u32_e32 vcc_lo, 1, v34
	s_cbranch_vccnz .LBB85_417
; %bb.416:
	v_cmp_eq_u32_e32 vcc_lo, 1, v0
	ds_load_b32 v25, v113
	v_cndmask_b32_e32 v24, v2, v3, vcc_lo
	v_cmp_eq_u32_e32 vcc_lo, 2, v0
	s_delay_alu instid0(VALU_DEP_2) | instskip(SKIP_1) | instid1(VALU_DEP_2)
	v_cndmask_b32_e32 v24, v24, v4, vcc_lo
	v_cmp_eq_u32_e32 vcc_lo, 3, v0
	v_cndmask_b32_e32 v24, v24, v5, vcc_lo
	v_cmp_eq_u32_e32 vcc_lo, 4, v0
	s_delay_alu instid0(VALU_DEP_2) | instskip(SKIP_1) | instid1(VALU_DEP_2)
	v_cndmask_b32_e32 v24, v24, v6, vcc_lo
	v_cmp_eq_u32_e32 vcc_lo, 5, v0
	;; [unrolled: 5-line block ×10, first 2 shown]
	v_cndmask_b32_e32 v24, v24, v23, vcc_lo
	s_wait_dscnt 0x0
	s_delay_alu instid0(VALU_DEP_1)
	v_mul_f32_e32 v26, v24, v25
	s_cbranch_execz .LBB85_418
	s_branch .LBB85_419
.LBB85_417:
                                        ; implicit-def: $vgpr26
.LBB85_418:
	ds_load_b32 v26, v113
.LBB85_419:
	s_mov_b32 s1, exec_lo
	v_cmpx_ne_u32_e32 9, v0
	s_cbranch_execz .LBB85_423
; %bb.420:
	v_mov_b64_e32 v[24:25], v[0:1]
	v_lshl_add_u32 v27, v0, 2, 0x64
	s_mov_b32 s2, 0
.LBB85_421:                             ; =>This Inner Loop Header: Depth=1
	s_delay_alu instid0(VALU_DEP_2)
	v_add_nc_u64_e32 v[24:25], 1, v[24:25]
	ds_load_b32 v29, v27
	v_add_nc_u32_e32 v27, 4, v27
	v_cmp_eq_u32_e32 vcc_lo, 1, v24
	v_cndmask_b32_e32 v28, v2, v3, vcc_lo
	v_cmp_eq_u32_e32 vcc_lo, 2, v24
	s_delay_alu instid0(VALU_DEP_2) | instskip(SKIP_1) | instid1(VALU_DEP_2)
	v_cndmask_b32_e32 v28, v28, v4, vcc_lo
	v_cmp_eq_u32_e32 vcc_lo, 3, v24
	v_cndmask_b32_e32 v28, v28, v5, vcc_lo
	v_cmp_eq_u32_e32 vcc_lo, 4, v24
	s_delay_alu instid0(VALU_DEP_2) | instskip(SKIP_1) | instid1(VALU_DEP_2)
	v_cndmask_b32_e32 v28, v28, v6, vcc_lo
	;; [unrolled: 5-line block ×10, first 2 shown]
	v_cmp_eq_u32_e32 vcc_lo, 21, v24
	v_cndmask_b32_e32 v28, v28, v23, vcc_lo
	v_cmp_lt_u32_e32 vcc_lo, 8, v24
	s_wait_dscnt 0x0
	s_delay_alu instid0(VALU_DEP_2) | instskip(SKIP_1) | instid1(SALU_CYCLE_1)
	v_fmac_f32_e32 v26, v28, v29
	s_or_b32 s2, vcc_lo, s2
	s_and_not1_b32 exec_lo, exec_lo, s2
	s_cbranch_execnz .LBB85_421
; %bb.422:
	s_or_b32 exec_lo, exec_lo, s2
.LBB85_423:
	s_delay_alu instid0(SALU_CYCLE_1)
	s_or_b32 exec_lo, exec_lo, s1
	v_mov_b32_e32 v12, 0
	ds_load_b32 v12, v12 offset:40
	s_wait_dscnt 0x0
	v_mul_f32_e32 v12, v26, v12
.LBB85_424:
	s_or_b32 exec_lo, exec_lo, s0
	s_delay_alu instid0(SALU_CYCLE_1)
	s_mov_b32 s0, exec_lo
	ds_store_b32 v113, v13
	s_wait_dscnt 0x0
	s_barrier_signal -1
	s_barrier_wait -1
	v_cmpx_gt_u32_e32 11, v0
	s_cbranch_execz .LBB85_434
; %bb.425:
	v_cmp_ne_u32_e32 vcc_lo, 1, v34
	s_cbranch_vccnz .LBB85_427
; %bb.426:
	v_cmp_eq_u32_e32 vcc_lo, 1, v0
	ds_load_b32 v25, v113
	v_cndmask_b32_e32 v24, v2, v3, vcc_lo
	v_cmp_eq_u32_e32 vcc_lo, 2, v0
	s_delay_alu instid0(VALU_DEP_2) | instskip(SKIP_1) | instid1(VALU_DEP_2)
	v_cndmask_b32_e32 v24, v24, v4, vcc_lo
	v_cmp_eq_u32_e32 vcc_lo, 3, v0
	v_cndmask_b32_e32 v24, v24, v5, vcc_lo
	v_cmp_eq_u32_e32 vcc_lo, 4, v0
	s_delay_alu instid0(VALU_DEP_2) | instskip(SKIP_1) | instid1(VALU_DEP_2)
	v_cndmask_b32_e32 v24, v24, v6, vcc_lo
	v_cmp_eq_u32_e32 vcc_lo, 5, v0
	;; [unrolled: 5-line block ×10, first 2 shown]
	v_cndmask_b32_e32 v24, v24, v23, vcc_lo
	s_wait_dscnt 0x0
	s_delay_alu instid0(VALU_DEP_1)
	v_mul_f32_e32 v26, v24, v25
	s_cbranch_execz .LBB85_428
	s_branch .LBB85_429
.LBB85_427:
                                        ; implicit-def: $vgpr26
.LBB85_428:
	ds_load_b32 v26, v113
.LBB85_429:
	s_mov_b32 s1, exec_lo
	v_cmpx_ne_u32_e32 10, v0
	s_cbranch_execz .LBB85_433
; %bb.430:
	v_mov_b64_e32 v[24:25], v[0:1]
	v_lshl_add_u32 v27, v0, 2, 0x64
	s_mov_b32 s2, 0
.LBB85_431:                             ; =>This Inner Loop Header: Depth=1
	s_delay_alu instid0(VALU_DEP_2)
	v_add_nc_u64_e32 v[24:25], 1, v[24:25]
	ds_load_b32 v29, v27
	v_add_nc_u32_e32 v27, 4, v27
	v_cmp_eq_u32_e32 vcc_lo, 1, v24
	v_cndmask_b32_e32 v28, v2, v3, vcc_lo
	v_cmp_eq_u32_e32 vcc_lo, 2, v24
	s_delay_alu instid0(VALU_DEP_2) | instskip(SKIP_1) | instid1(VALU_DEP_2)
	v_cndmask_b32_e32 v28, v28, v4, vcc_lo
	v_cmp_eq_u32_e32 vcc_lo, 3, v24
	v_cndmask_b32_e32 v28, v28, v5, vcc_lo
	v_cmp_eq_u32_e32 vcc_lo, 4, v24
	s_delay_alu instid0(VALU_DEP_2) | instskip(SKIP_1) | instid1(VALU_DEP_2)
	v_cndmask_b32_e32 v28, v28, v6, vcc_lo
	;; [unrolled: 5-line block ×10, first 2 shown]
	v_cmp_eq_u32_e32 vcc_lo, 21, v24
	v_cndmask_b32_e32 v28, v28, v23, vcc_lo
	v_cmp_lt_u32_e32 vcc_lo, 9, v24
	s_wait_dscnt 0x0
	s_delay_alu instid0(VALU_DEP_2) | instskip(SKIP_1) | instid1(SALU_CYCLE_1)
	v_fmac_f32_e32 v26, v28, v29
	s_or_b32 s2, vcc_lo, s2
	s_and_not1_b32 exec_lo, exec_lo, s2
	s_cbranch_execnz .LBB85_431
; %bb.432:
	s_or_b32 exec_lo, exec_lo, s2
.LBB85_433:
	s_delay_alu instid0(SALU_CYCLE_1)
	s_or_b32 exec_lo, exec_lo, s1
	v_mov_b32_e32 v13, 0
	ds_load_b32 v13, v13 offset:44
	s_wait_dscnt 0x0
	v_mul_f32_e32 v13, v26, v13
.LBB85_434:
	s_or_b32 exec_lo, exec_lo, s0
	s_delay_alu instid0(SALU_CYCLE_1)
	s_mov_b32 s0, exec_lo
	ds_store_b32 v113, v14
	s_wait_dscnt 0x0
	s_barrier_signal -1
	s_barrier_wait -1
	v_cmpx_gt_u32_e32 12, v0
	s_cbranch_execz .LBB85_444
; %bb.435:
	v_cmp_ne_u32_e32 vcc_lo, 1, v34
	s_cbranch_vccnz .LBB85_437
; %bb.436:
	v_cmp_eq_u32_e32 vcc_lo, 1, v0
	ds_load_b32 v25, v113
	v_cndmask_b32_e32 v24, v2, v3, vcc_lo
	v_cmp_eq_u32_e32 vcc_lo, 2, v0
	s_delay_alu instid0(VALU_DEP_2) | instskip(SKIP_1) | instid1(VALU_DEP_2)
	v_cndmask_b32_e32 v24, v24, v4, vcc_lo
	v_cmp_eq_u32_e32 vcc_lo, 3, v0
	v_cndmask_b32_e32 v24, v24, v5, vcc_lo
	v_cmp_eq_u32_e32 vcc_lo, 4, v0
	s_delay_alu instid0(VALU_DEP_2) | instskip(SKIP_1) | instid1(VALU_DEP_2)
	v_cndmask_b32_e32 v24, v24, v6, vcc_lo
	v_cmp_eq_u32_e32 vcc_lo, 5, v0
	;; [unrolled: 5-line block ×10, first 2 shown]
	v_cndmask_b32_e32 v24, v24, v23, vcc_lo
	s_wait_dscnt 0x0
	s_delay_alu instid0(VALU_DEP_1)
	v_mul_f32_e32 v26, v24, v25
	s_cbranch_execz .LBB85_438
	s_branch .LBB85_439
.LBB85_437:
                                        ; implicit-def: $vgpr26
.LBB85_438:
	ds_load_b32 v26, v113
.LBB85_439:
	s_mov_b32 s1, exec_lo
	v_cmpx_ne_u32_e32 11, v0
	s_cbranch_execz .LBB85_443
; %bb.440:
	v_mov_b64_e32 v[24:25], v[0:1]
	v_lshl_add_u32 v27, v0, 2, 0x64
	s_mov_b32 s2, 0
.LBB85_441:                             ; =>This Inner Loop Header: Depth=1
	s_delay_alu instid0(VALU_DEP_2)
	v_add_nc_u64_e32 v[24:25], 1, v[24:25]
	ds_load_b32 v29, v27
	v_add_nc_u32_e32 v27, 4, v27
	v_cmp_eq_u32_e32 vcc_lo, 1, v24
	v_cndmask_b32_e32 v28, v2, v3, vcc_lo
	v_cmp_eq_u32_e32 vcc_lo, 2, v24
	s_delay_alu instid0(VALU_DEP_2) | instskip(SKIP_1) | instid1(VALU_DEP_2)
	v_cndmask_b32_e32 v28, v28, v4, vcc_lo
	v_cmp_eq_u32_e32 vcc_lo, 3, v24
	v_cndmask_b32_e32 v28, v28, v5, vcc_lo
	v_cmp_eq_u32_e32 vcc_lo, 4, v24
	s_delay_alu instid0(VALU_DEP_2) | instskip(SKIP_1) | instid1(VALU_DEP_2)
	v_cndmask_b32_e32 v28, v28, v6, vcc_lo
	;; [unrolled: 5-line block ×10, first 2 shown]
	v_cmp_eq_u32_e32 vcc_lo, 21, v24
	v_cndmask_b32_e32 v28, v28, v23, vcc_lo
	v_cmp_lt_u32_e32 vcc_lo, 10, v24
	s_wait_dscnt 0x0
	s_delay_alu instid0(VALU_DEP_2) | instskip(SKIP_1) | instid1(SALU_CYCLE_1)
	v_fmac_f32_e32 v26, v28, v29
	s_or_b32 s2, vcc_lo, s2
	s_and_not1_b32 exec_lo, exec_lo, s2
	s_cbranch_execnz .LBB85_441
; %bb.442:
	s_or_b32 exec_lo, exec_lo, s2
.LBB85_443:
	s_delay_alu instid0(SALU_CYCLE_1)
	s_or_b32 exec_lo, exec_lo, s1
	v_mov_b32_e32 v14, 0
	ds_load_b32 v14, v14 offset:48
	s_wait_dscnt 0x0
	v_mul_f32_e32 v14, v26, v14
.LBB85_444:
	s_or_b32 exec_lo, exec_lo, s0
	s_delay_alu instid0(SALU_CYCLE_1)
	s_mov_b32 s0, exec_lo
	ds_store_b32 v113, v15
	s_wait_dscnt 0x0
	s_barrier_signal -1
	s_barrier_wait -1
	v_cmpx_gt_u32_e32 13, v0
	s_cbranch_execz .LBB85_454
; %bb.445:
	v_cmp_ne_u32_e32 vcc_lo, 1, v34
	s_cbranch_vccnz .LBB85_447
; %bb.446:
	v_cmp_eq_u32_e32 vcc_lo, 1, v0
	ds_load_b32 v25, v113
	v_cndmask_b32_e32 v24, v2, v3, vcc_lo
	v_cmp_eq_u32_e32 vcc_lo, 2, v0
	s_delay_alu instid0(VALU_DEP_2) | instskip(SKIP_1) | instid1(VALU_DEP_2)
	v_cndmask_b32_e32 v24, v24, v4, vcc_lo
	v_cmp_eq_u32_e32 vcc_lo, 3, v0
	v_cndmask_b32_e32 v24, v24, v5, vcc_lo
	v_cmp_eq_u32_e32 vcc_lo, 4, v0
	s_delay_alu instid0(VALU_DEP_2) | instskip(SKIP_1) | instid1(VALU_DEP_2)
	v_cndmask_b32_e32 v24, v24, v6, vcc_lo
	v_cmp_eq_u32_e32 vcc_lo, 5, v0
	v_cndmask_b32_e32 v24, v24, v7, vcc_lo
	v_cmp_eq_u32_e32 vcc_lo, 6, v0
	s_delay_alu instid0(VALU_DEP_2) | instskip(SKIP_1) | instid1(VALU_DEP_2)
	v_cndmask_b32_e32 v24, v24, v8, vcc_lo
	v_cmp_eq_u32_e32 vcc_lo, 7, v0
	v_cndmask_b32_e32 v24, v24, v9, vcc_lo
	v_cmp_eq_u32_e32 vcc_lo, 8, v0
	s_delay_alu instid0(VALU_DEP_2) | instskip(SKIP_1) | instid1(VALU_DEP_2)
	v_cndmask_b32_e32 v24, v24, v10, vcc_lo
	v_cmp_eq_u32_e32 vcc_lo, 9, v0
	v_cndmask_b32_e32 v24, v24, v11, vcc_lo
	v_cmp_eq_u32_e32 vcc_lo, 10, v0
	s_delay_alu instid0(VALU_DEP_2) | instskip(SKIP_1) | instid1(VALU_DEP_2)
	v_cndmask_b32_e32 v24, v24, v12, vcc_lo
	v_cmp_eq_u32_e32 vcc_lo, 11, v0
	v_cndmask_b32_e32 v24, v24, v13, vcc_lo
	v_cmp_eq_u32_e32 vcc_lo, 12, v0
	s_delay_alu instid0(VALU_DEP_2) | instskip(SKIP_1) | instid1(VALU_DEP_2)
	v_cndmask_b32_e32 v24, v24, v14, vcc_lo
	v_cmp_eq_u32_e32 vcc_lo, 13, v0
	v_cndmask_b32_e32 v24, v24, v15, vcc_lo
	v_cmp_eq_u32_e32 vcc_lo, 14, v0
	s_delay_alu instid0(VALU_DEP_2) | instskip(SKIP_1) | instid1(VALU_DEP_2)
	v_cndmask_b32_e32 v24, v24, v16, vcc_lo
	v_cmp_eq_u32_e32 vcc_lo, 15, v0
	v_cndmask_b32_e32 v24, v24, v17, vcc_lo
	v_cmp_eq_u32_e32 vcc_lo, 16, v0
	s_delay_alu instid0(VALU_DEP_2) | instskip(SKIP_1) | instid1(VALU_DEP_2)
	v_cndmask_b32_e32 v24, v24, v18, vcc_lo
	v_cmp_eq_u32_e32 vcc_lo, 17, v0
	v_cndmask_b32_e32 v24, v24, v19, vcc_lo
	v_cmp_eq_u32_e32 vcc_lo, 18, v0
	s_delay_alu instid0(VALU_DEP_2) | instskip(SKIP_1) | instid1(VALU_DEP_2)
	v_cndmask_b32_e32 v24, v24, v20, vcc_lo
	v_cmp_eq_u32_e32 vcc_lo, 19, v0
	v_cndmask_b32_e32 v24, v24, v21, vcc_lo
	v_cmp_eq_u32_e32 vcc_lo, 20, v0
	s_delay_alu instid0(VALU_DEP_2) | instskip(SKIP_1) | instid1(VALU_DEP_2)
	v_cndmask_b32_e32 v24, v24, v22, vcc_lo
	v_cmp_eq_u32_e32 vcc_lo, 21, v0
	v_cndmask_b32_e32 v24, v24, v23, vcc_lo
	s_wait_dscnt 0x0
	s_delay_alu instid0(VALU_DEP_1)
	v_mul_f32_e32 v26, v24, v25
	s_cbranch_execz .LBB85_448
	s_branch .LBB85_449
.LBB85_447:
                                        ; implicit-def: $vgpr26
.LBB85_448:
	ds_load_b32 v26, v113
.LBB85_449:
	s_mov_b32 s1, exec_lo
	v_cmpx_ne_u32_e32 12, v0
	s_cbranch_execz .LBB85_453
; %bb.450:
	v_mov_b64_e32 v[24:25], v[0:1]
	v_lshl_add_u32 v27, v0, 2, 0x64
	s_mov_b32 s2, 0
.LBB85_451:                             ; =>This Inner Loop Header: Depth=1
	s_delay_alu instid0(VALU_DEP_2)
	v_add_nc_u64_e32 v[24:25], 1, v[24:25]
	ds_load_b32 v29, v27
	v_add_nc_u32_e32 v27, 4, v27
	v_cmp_eq_u32_e32 vcc_lo, 1, v24
	v_cndmask_b32_e32 v28, v2, v3, vcc_lo
	v_cmp_eq_u32_e32 vcc_lo, 2, v24
	s_delay_alu instid0(VALU_DEP_2) | instskip(SKIP_1) | instid1(VALU_DEP_2)
	v_cndmask_b32_e32 v28, v28, v4, vcc_lo
	v_cmp_eq_u32_e32 vcc_lo, 3, v24
	v_cndmask_b32_e32 v28, v28, v5, vcc_lo
	v_cmp_eq_u32_e32 vcc_lo, 4, v24
	s_delay_alu instid0(VALU_DEP_2) | instskip(SKIP_1) | instid1(VALU_DEP_2)
	v_cndmask_b32_e32 v28, v28, v6, vcc_lo
	;; [unrolled: 5-line block ×10, first 2 shown]
	v_cmp_eq_u32_e32 vcc_lo, 21, v24
	v_cndmask_b32_e32 v28, v28, v23, vcc_lo
	v_cmp_lt_u32_e32 vcc_lo, 11, v24
	s_wait_dscnt 0x0
	s_delay_alu instid0(VALU_DEP_2) | instskip(SKIP_1) | instid1(SALU_CYCLE_1)
	v_fmac_f32_e32 v26, v28, v29
	s_or_b32 s2, vcc_lo, s2
	s_and_not1_b32 exec_lo, exec_lo, s2
	s_cbranch_execnz .LBB85_451
; %bb.452:
	s_or_b32 exec_lo, exec_lo, s2
.LBB85_453:
	s_delay_alu instid0(SALU_CYCLE_1)
	s_or_b32 exec_lo, exec_lo, s1
	v_mov_b32_e32 v15, 0
	ds_load_b32 v15, v15 offset:52
	s_wait_dscnt 0x0
	v_mul_f32_e32 v15, v26, v15
.LBB85_454:
	s_or_b32 exec_lo, exec_lo, s0
	s_delay_alu instid0(SALU_CYCLE_1)
	s_mov_b32 s0, exec_lo
	ds_store_b32 v113, v16
	s_wait_dscnt 0x0
	s_barrier_signal -1
	s_barrier_wait -1
	v_cmpx_gt_u32_e32 14, v0
	s_cbranch_execz .LBB85_464
; %bb.455:
	v_cmp_ne_u32_e32 vcc_lo, 1, v34
	s_cbranch_vccnz .LBB85_457
; %bb.456:
	v_cmp_eq_u32_e32 vcc_lo, 1, v0
	ds_load_b32 v25, v113
	v_cndmask_b32_e32 v24, v2, v3, vcc_lo
	v_cmp_eq_u32_e32 vcc_lo, 2, v0
	s_delay_alu instid0(VALU_DEP_2) | instskip(SKIP_1) | instid1(VALU_DEP_2)
	v_cndmask_b32_e32 v24, v24, v4, vcc_lo
	v_cmp_eq_u32_e32 vcc_lo, 3, v0
	v_cndmask_b32_e32 v24, v24, v5, vcc_lo
	v_cmp_eq_u32_e32 vcc_lo, 4, v0
	s_delay_alu instid0(VALU_DEP_2) | instskip(SKIP_1) | instid1(VALU_DEP_2)
	v_cndmask_b32_e32 v24, v24, v6, vcc_lo
	v_cmp_eq_u32_e32 vcc_lo, 5, v0
	v_cndmask_b32_e32 v24, v24, v7, vcc_lo
	v_cmp_eq_u32_e32 vcc_lo, 6, v0
	s_delay_alu instid0(VALU_DEP_2) | instskip(SKIP_1) | instid1(VALU_DEP_2)
	v_cndmask_b32_e32 v24, v24, v8, vcc_lo
	v_cmp_eq_u32_e32 vcc_lo, 7, v0
	v_cndmask_b32_e32 v24, v24, v9, vcc_lo
	v_cmp_eq_u32_e32 vcc_lo, 8, v0
	s_delay_alu instid0(VALU_DEP_2) | instskip(SKIP_1) | instid1(VALU_DEP_2)
	v_cndmask_b32_e32 v24, v24, v10, vcc_lo
	v_cmp_eq_u32_e32 vcc_lo, 9, v0
	v_cndmask_b32_e32 v24, v24, v11, vcc_lo
	v_cmp_eq_u32_e32 vcc_lo, 10, v0
	s_delay_alu instid0(VALU_DEP_2) | instskip(SKIP_1) | instid1(VALU_DEP_2)
	v_cndmask_b32_e32 v24, v24, v12, vcc_lo
	v_cmp_eq_u32_e32 vcc_lo, 11, v0
	v_cndmask_b32_e32 v24, v24, v13, vcc_lo
	v_cmp_eq_u32_e32 vcc_lo, 12, v0
	s_delay_alu instid0(VALU_DEP_2) | instskip(SKIP_1) | instid1(VALU_DEP_2)
	v_cndmask_b32_e32 v24, v24, v14, vcc_lo
	v_cmp_eq_u32_e32 vcc_lo, 13, v0
	v_cndmask_b32_e32 v24, v24, v15, vcc_lo
	v_cmp_eq_u32_e32 vcc_lo, 14, v0
	s_delay_alu instid0(VALU_DEP_2) | instskip(SKIP_1) | instid1(VALU_DEP_2)
	v_cndmask_b32_e32 v24, v24, v16, vcc_lo
	v_cmp_eq_u32_e32 vcc_lo, 15, v0
	v_cndmask_b32_e32 v24, v24, v17, vcc_lo
	v_cmp_eq_u32_e32 vcc_lo, 16, v0
	s_delay_alu instid0(VALU_DEP_2) | instskip(SKIP_1) | instid1(VALU_DEP_2)
	v_cndmask_b32_e32 v24, v24, v18, vcc_lo
	v_cmp_eq_u32_e32 vcc_lo, 17, v0
	v_cndmask_b32_e32 v24, v24, v19, vcc_lo
	v_cmp_eq_u32_e32 vcc_lo, 18, v0
	s_delay_alu instid0(VALU_DEP_2) | instskip(SKIP_1) | instid1(VALU_DEP_2)
	v_cndmask_b32_e32 v24, v24, v20, vcc_lo
	v_cmp_eq_u32_e32 vcc_lo, 19, v0
	v_cndmask_b32_e32 v24, v24, v21, vcc_lo
	v_cmp_eq_u32_e32 vcc_lo, 20, v0
	s_delay_alu instid0(VALU_DEP_2) | instskip(SKIP_1) | instid1(VALU_DEP_2)
	v_cndmask_b32_e32 v24, v24, v22, vcc_lo
	v_cmp_eq_u32_e32 vcc_lo, 21, v0
	v_cndmask_b32_e32 v24, v24, v23, vcc_lo
	s_wait_dscnt 0x0
	s_delay_alu instid0(VALU_DEP_1)
	v_mul_f32_e32 v26, v24, v25
	s_cbranch_execz .LBB85_458
	s_branch .LBB85_459
.LBB85_457:
                                        ; implicit-def: $vgpr26
.LBB85_458:
	ds_load_b32 v26, v113
.LBB85_459:
	s_mov_b32 s1, exec_lo
	v_cmpx_ne_u32_e32 13, v0
	s_cbranch_execz .LBB85_463
; %bb.460:
	v_mov_b64_e32 v[24:25], v[0:1]
	v_lshl_add_u32 v27, v0, 2, 0x64
	s_mov_b32 s2, 0
.LBB85_461:                             ; =>This Inner Loop Header: Depth=1
	s_delay_alu instid0(VALU_DEP_2)
	v_add_nc_u64_e32 v[24:25], 1, v[24:25]
	ds_load_b32 v29, v27
	v_add_nc_u32_e32 v27, 4, v27
	v_cmp_eq_u32_e32 vcc_lo, 1, v24
	v_cndmask_b32_e32 v28, v2, v3, vcc_lo
	v_cmp_eq_u32_e32 vcc_lo, 2, v24
	s_delay_alu instid0(VALU_DEP_2) | instskip(SKIP_1) | instid1(VALU_DEP_2)
	v_cndmask_b32_e32 v28, v28, v4, vcc_lo
	v_cmp_eq_u32_e32 vcc_lo, 3, v24
	v_cndmask_b32_e32 v28, v28, v5, vcc_lo
	v_cmp_eq_u32_e32 vcc_lo, 4, v24
	s_delay_alu instid0(VALU_DEP_2) | instskip(SKIP_1) | instid1(VALU_DEP_2)
	v_cndmask_b32_e32 v28, v28, v6, vcc_lo
	;; [unrolled: 5-line block ×10, first 2 shown]
	v_cmp_eq_u32_e32 vcc_lo, 21, v24
	v_cndmask_b32_e32 v28, v28, v23, vcc_lo
	v_cmp_lt_u32_e32 vcc_lo, 12, v24
	s_wait_dscnt 0x0
	s_delay_alu instid0(VALU_DEP_2) | instskip(SKIP_1) | instid1(SALU_CYCLE_1)
	v_fmac_f32_e32 v26, v28, v29
	s_or_b32 s2, vcc_lo, s2
	s_and_not1_b32 exec_lo, exec_lo, s2
	s_cbranch_execnz .LBB85_461
; %bb.462:
	s_or_b32 exec_lo, exec_lo, s2
.LBB85_463:
	s_delay_alu instid0(SALU_CYCLE_1)
	s_or_b32 exec_lo, exec_lo, s1
	v_mov_b32_e32 v16, 0
	ds_load_b32 v16, v16 offset:56
	s_wait_dscnt 0x0
	v_mul_f32_e32 v16, v26, v16
.LBB85_464:
	s_or_b32 exec_lo, exec_lo, s0
	s_delay_alu instid0(SALU_CYCLE_1)
	s_mov_b32 s0, exec_lo
	ds_store_b32 v113, v17
	s_wait_dscnt 0x0
	s_barrier_signal -1
	s_barrier_wait -1
	v_cmpx_gt_u32_e32 15, v0
	s_cbranch_execz .LBB85_474
; %bb.465:
	v_cmp_ne_u32_e32 vcc_lo, 1, v34
	s_cbranch_vccnz .LBB85_467
; %bb.466:
	v_cmp_eq_u32_e32 vcc_lo, 1, v0
	ds_load_b32 v25, v113
	v_cndmask_b32_e32 v24, v2, v3, vcc_lo
	v_cmp_eq_u32_e32 vcc_lo, 2, v0
	s_delay_alu instid0(VALU_DEP_2) | instskip(SKIP_1) | instid1(VALU_DEP_2)
	v_cndmask_b32_e32 v24, v24, v4, vcc_lo
	v_cmp_eq_u32_e32 vcc_lo, 3, v0
	v_cndmask_b32_e32 v24, v24, v5, vcc_lo
	v_cmp_eq_u32_e32 vcc_lo, 4, v0
	s_delay_alu instid0(VALU_DEP_2) | instskip(SKIP_1) | instid1(VALU_DEP_2)
	v_cndmask_b32_e32 v24, v24, v6, vcc_lo
	v_cmp_eq_u32_e32 vcc_lo, 5, v0
	;; [unrolled: 5-line block ×10, first 2 shown]
	v_cndmask_b32_e32 v24, v24, v23, vcc_lo
	s_wait_dscnt 0x0
	s_delay_alu instid0(VALU_DEP_1)
	v_mul_f32_e32 v26, v24, v25
	s_cbranch_execz .LBB85_468
	s_branch .LBB85_469
.LBB85_467:
                                        ; implicit-def: $vgpr26
.LBB85_468:
	ds_load_b32 v26, v113
.LBB85_469:
	s_mov_b32 s1, exec_lo
	v_cmpx_ne_u32_e32 14, v0
	s_cbranch_execz .LBB85_473
; %bb.470:
	v_mov_b64_e32 v[24:25], v[0:1]
	v_lshl_add_u32 v27, v0, 2, 0x64
	s_mov_b32 s2, 0
.LBB85_471:                             ; =>This Inner Loop Header: Depth=1
	s_delay_alu instid0(VALU_DEP_2)
	v_add_nc_u64_e32 v[24:25], 1, v[24:25]
	ds_load_b32 v29, v27
	v_add_nc_u32_e32 v27, 4, v27
	v_cmp_eq_u32_e32 vcc_lo, 1, v24
	v_cndmask_b32_e32 v28, v2, v3, vcc_lo
	v_cmp_eq_u32_e32 vcc_lo, 2, v24
	s_delay_alu instid0(VALU_DEP_2) | instskip(SKIP_1) | instid1(VALU_DEP_2)
	v_cndmask_b32_e32 v28, v28, v4, vcc_lo
	v_cmp_eq_u32_e32 vcc_lo, 3, v24
	v_cndmask_b32_e32 v28, v28, v5, vcc_lo
	v_cmp_eq_u32_e32 vcc_lo, 4, v24
	s_delay_alu instid0(VALU_DEP_2) | instskip(SKIP_1) | instid1(VALU_DEP_2)
	v_cndmask_b32_e32 v28, v28, v6, vcc_lo
	;; [unrolled: 5-line block ×10, first 2 shown]
	v_cmp_eq_u32_e32 vcc_lo, 21, v24
	v_cndmask_b32_e32 v28, v28, v23, vcc_lo
	v_cmp_lt_u32_e32 vcc_lo, 13, v24
	s_wait_dscnt 0x0
	s_delay_alu instid0(VALU_DEP_2) | instskip(SKIP_1) | instid1(SALU_CYCLE_1)
	v_fmac_f32_e32 v26, v28, v29
	s_or_b32 s2, vcc_lo, s2
	s_and_not1_b32 exec_lo, exec_lo, s2
	s_cbranch_execnz .LBB85_471
; %bb.472:
	s_or_b32 exec_lo, exec_lo, s2
.LBB85_473:
	s_delay_alu instid0(SALU_CYCLE_1)
	s_or_b32 exec_lo, exec_lo, s1
	v_mov_b32_e32 v17, 0
	ds_load_b32 v17, v17 offset:60
	s_wait_dscnt 0x0
	v_mul_f32_e32 v17, v26, v17
.LBB85_474:
	s_or_b32 exec_lo, exec_lo, s0
	s_delay_alu instid0(SALU_CYCLE_1)
	s_mov_b32 s0, exec_lo
	ds_store_b32 v113, v18
	s_wait_dscnt 0x0
	s_barrier_signal -1
	s_barrier_wait -1
	v_cmpx_gt_u32_e32 16, v0
	s_cbranch_execz .LBB85_484
; %bb.475:
	v_cmp_ne_u32_e32 vcc_lo, 1, v34
	s_cbranch_vccnz .LBB85_477
; %bb.476:
	v_cmp_eq_u32_e32 vcc_lo, 1, v0
	ds_load_b32 v25, v113
	v_cndmask_b32_e32 v24, v2, v3, vcc_lo
	v_cmp_eq_u32_e32 vcc_lo, 2, v0
	s_delay_alu instid0(VALU_DEP_2) | instskip(SKIP_1) | instid1(VALU_DEP_2)
	v_cndmask_b32_e32 v24, v24, v4, vcc_lo
	v_cmp_eq_u32_e32 vcc_lo, 3, v0
	v_cndmask_b32_e32 v24, v24, v5, vcc_lo
	v_cmp_eq_u32_e32 vcc_lo, 4, v0
	s_delay_alu instid0(VALU_DEP_2) | instskip(SKIP_1) | instid1(VALU_DEP_2)
	v_cndmask_b32_e32 v24, v24, v6, vcc_lo
	v_cmp_eq_u32_e32 vcc_lo, 5, v0
	;; [unrolled: 5-line block ×10, first 2 shown]
	v_cndmask_b32_e32 v24, v24, v23, vcc_lo
	s_wait_dscnt 0x0
	s_delay_alu instid0(VALU_DEP_1)
	v_mul_f32_e32 v26, v24, v25
	s_cbranch_execz .LBB85_478
	s_branch .LBB85_479
.LBB85_477:
                                        ; implicit-def: $vgpr26
.LBB85_478:
	ds_load_b32 v26, v113
.LBB85_479:
	s_mov_b32 s1, exec_lo
	v_cmpx_ne_u32_e32 15, v0
	s_cbranch_execz .LBB85_483
; %bb.480:
	v_mov_b64_e32 v[24:25], v[0:1]
	v_lshl_add_u32 v27, v0, 2, 0x64
	s_mov_b32 s2, 0
.LBB85_481:                             ; =>This Inner Loop Header: Depth=1
	s_delay_alu instid0(VALU_DEP_2)
	v_add_nc_u64_e32 v[24:25], 1, v[24:25]
	ds_load_b32 v29, v27
	v_add_nc_u32_e32 v27, 4, v27
	v_cmp_eq_u32_e32 vcc_lo, 1, v24
	v_cndmask_b32_e32 v28, v2, v3, vcc_lo
	v_cmp_eq_u32_e32 vcc_lo, 2, v24
	s_delay_alu instid0(VALU_DEP_2) | instskip(SKIP_1) | instid1(VALU_DEP_2)
	v_cndmask_b32_e32 v28, v28, v4, vcc_lo
	v_cmp_eq_u32_e32 vcc_lo, 3, v24
	v_cndmask_b32_e32 v28, v28, v5, vcc_lo
	v_cmp_eq_u32_e32 vcc_lo, 4, v24
	s_delay_alu instid0(VALU_DEP_2) | instskip(SKIP_1) | instid1(VALU_DEP_2)
	v_cndmask_b32_e32 v28, v28, v6, vcc_lo
	;; [unrolled: 5-line block ×10, first 2 shown]
	v_cmp_eq_u32_e32 vcc_lo, 21, v24
	v_cndmask_b32_e32 v28, v28, v23, vcc_lo
	v_cmp_lt_u32_e32 vcc_lo, 14, v24
	s_wait_dscnt 0x0
	s_delay_alu instid0(VALU_DEP_2) | instskip(SKIP_1) | instid1(SALU_CYCLE_1)
	v_fmac_f32_e32 v26, v28, v29
	s_or_b32 s2, vcc_lo, s2
	s_and_not1_b32 exec_lo, exec_lo, s2
	s_cbranch_execnz .LBB85_481
; %bb.482:
	s_or_b32 exec_lo, exec_lo, s2
.LBB85_483:
	s_delay_alu instid0(SALU_CYCLE_1)
	s_or_b32 exec_lo, exec_lo, s1
	v_mov_b32_e32 v18, 0
	ds_load_b32 v18, v18 offset:64
	s_wait_dscnt 0x0
	v_mul_f32_e32 v18, v26, v18
.LBB85_484:
	s_or_b32 exec_lo, exec_lo, s0
	s_delay_alu instid0(SALU_CYCLE_1)
	s_mov_b32 s0, exec_lo
	ds_store_b32 v113, v19
	s_wait_dscnt 0x0
	s_barrier_signal -1
	s_barrier_wait -1
	v_cmpx_gt_u32_e32 17, v0
	s_cbranch_execz .LBB85_494
; %bb.485:
	v_cmp_ne_u32_e32 vcc_lo, 1, v34
	s_cbranch_vccnz .LBB85_487
; %bb.486:
	v_cmp_eq_u32_e32 vcc_lo, 1, v0
	ds_load_b32 v25, v113
	v_cndmask_b32_e32 v24, v2, v3, vcc_lo
	v_cmp_eq_u32_e32 vcc_lo, 2, v0
	s_delay_alu instid0(VALU_DEP_2) | instskip(SKIP_1) | instid1(VALU_DEP_2)
	v_cndmask_b32_e32 v24, v24, v4, vcc_lo
	v_cmp_eq_u32_e32 vcc_lo, 3, v0
	v_cndmask_b32_e32 v24, v24, v5, vcc_lo
	v_cmp_eq_u32_e32 vcc_lo, 4, v0
	s_delay_alu instid0(VALU_DEP_2) | instskip(SKIP_1) | instid1(VALU_DEP_2)
	v_cndmask_b32_e32 v24, v24, v6, vcc_lo
	v_cmp_eq_u32_e32 vcc_lo, 5, v0
	;; [unrolled: 5-line block ×10, first 2 shown]
	v_cndmask_b32_e32 v24, v24, v23, vcc_lo
	s_wait_dscnt 0x0
	s_delay_alu instid0(VALU_DEP_1)
	v_mul_f32_e32 v26, v24, v25
	s_cbranch_execz .LBB85_488
	s_branch .LBB85_489
.LBB85_487:
                                        ; implicit-def: $vgpr26
.LBB85_488:
	ds_load_b32 v26, v113
.LBB85_489:
	s_mov_b32 s1, exec_lo
	v_cmpx_ne_u32_e32 16, v0
	s_cbranch_execz .LBB85_493
; %bb.490:
	v_mov_b64_e32 v[24:25], v[0:1]
	v_lshl_add_u32 v27, v0, 2, 0x64
	s_mov_b32 s2, 0
.LBB85_491:                             ; =>This Inner Loop Header: Depth=1
	s_delay_alu instid0(VALU_DEP_2)
	v_add_nc_u64_e32 v[24:25], 1, v[24:25]
	ds_load_b32 v29, v27
	v_add_nc_u32_e32 v27, 4, v27
	v_cmp_eq_u32_e32 vcc_lo, 1, v24
	v_cndmask_b32_e32 v28, v2, v3, vcc_lo
	v_cmp_eq_u32_e32 vcc_lo, 2, v24
	s_delay_alu instid0(VALU_DEP_2) | instskip(SKIP_1) | instid1(VALU_DEP_2)
	v_cndmask_b32_e32 v28, v28, v4, vcc_lo
	v_cmp_eq_u32_e32 vcc_lo, 3, v24
	v_cndmask_b32_e32 v28, v28, v5, vcc_lo
	v_cmp_eq_u32_e32 vcc_lo, 4, v24
	s_delay_alu instid0(VALU_DEP_2) | instskip(SKIP_1) | instid1(VALU_DEP_2)
	v_cndmask_b32_e32 v28, v28, v6, vcc_lo
	v_cmp_eq_u32_e32 vcc_lo, 5, v24
	v_cndmask_b32_e32 v28, v28, v7, vcc_lo
	v_cmp_eq_u32_e32 vcc_lo, 6, v24
	s_delay_alu instid0(VALU_DEP_2) | instskip(SKIP_1) | instid1(VALU_DEP_2)
	v_cndmask_b32_e32 v28, v28, v8, vcc_lo
	v_cmp_eq_u32_e32 vcc_lo, 7, v24
	v_cndmask_b32_e32 v28, v28, v9, vcc_lo
	v_cmp_eq_u32_e32 vcc_lo, 8, v24
	s_delay_alu instid0(VALU_DEP_2) | instskip(SKIP_1) | instid1(VALU_DEP_2)
	v_cndmask_b32_e32 v28, v28, v10, vcc_lo
	v_cmp_eq_u32_e32 vcc_lo, 9, v24
	v_cndmask_b32_e32 v28, v28, v11, vcc_lo
	v_cmp_eq_u32_e32 vcc_lo, 10, v24
	s_delay_alu instid0(VALU_DEP_2) | instskip(SKIP_1) | instid1(VALU_DEP_2)
	v_cndmask_b32_e32 v28, v28, v12, vcc_lo
	v_cmp_eq_u32_e32 vcc_lo, 11, v24
	v_cndmask_b32_e32 v28, v28, v13, vcc_lo
	v_cmp_eq_u32_e32 vcc_lo, 12, v24
	s_delay_alu instid0(VALU_DEP_2) | instskip(SKIP_1) | instid1(VALU_DEP_2)
	v_cndmask_b32_e32 v28, v28, v14, vcc_lo
	v_cmp_eq_u32_e32 vcc_lo, 13, v24
	v_cndmask_b32_e32 v28, v28, v15, vcc_lo
	v_cmp_eq_u32_e32 vcc_lo, 14, v24
	s_delay_alu instid0(VALU_DEP_2) | instskip(SKIP_1) | instid1(VALU_DEP_2)
	v_cndmask_b32_e32 v28, v28, v16, vcc_lo
	v_cmp_eq_u32_e32 vcc_lo, 15, v24
	v_cndmask_b32_e32 v28, v28, v17, vcc_lo
	v_cmp_eq_u32_e32 vcc_lo, 16, v24
	s_delay_alu instid0(VALU_DEP_2) | instskip(SKIP_1) | instid1(VALU_DEP_2)
	v_cndmask_b32_e32 v28, v28, v18, vcc_lo
	v_cmp_eq_u32_e32 vcc_lo, 17, v24
	v_cndmask_b32_e32 v28, v28, v19, vcc_lo
	v_cmp_eq_u32_e32 vcc_lo, 18, v24
	s_delay_alu instid0(VALU_DEP_2) | instskip(SKIP_1) | instid1(VALU_DEP_2)
	v_cndmask_b32_e32 v28, v28, v20, vcc_lo
	v_cmp_eq_u32_e32 vcc_lo, 19, v24
	v_cndmask_b32_e32 v28, v28, v21, vcc_lo
	v_cmp_eq_u32_e32 vcc_lo, 20, v24
	s_delay_alu instid0(VALU_DEP_2) | instskip(SKIP_1) | instid1(VALU_DEP_2)
	v_cndmask_b32_e32 v28, v28, v22, vcc_lo
	v_cmp_eq_u32_e32 vcc_lo, 21, v24
	v_cndmask_b32_e32 v28, v28, v23, vcc_lo
	v_cmp_lt_u32_e32 vcc_lo, 15, v24
	s_wait_dscnt 0x0
	s_delay_alu instid0(VALU_DEP_2) | instskip(SKIP_1) | instid1(SALU_CYCLE_1)
	v_fmac_f32_e32 v26, v28, v29
	s_or_b32 s2, vcc_lo, s2
	s_and_not1_b32 exec_lo, exec_lo, s2
	s_cbranch_execnz .LBB85_491
; %bb.492:
	s_or_b32 exec_lo, exec_lo, s2
.LBB85_493:
	s_delay_alu instid0(SALU_CYCLE_1)
	s_or_b32 exec_lo, exec_lo, s1
	v_mov_b32_e32 v19, 0
	ds_load_b32 v19, v19 offset:68
	s_wait_dscnt 0x0
	v_mul_f32_e32 v19, v26, v19
.LBB85_494:
	s_or_b32 exec_lo, exec_lo, s0
	s_delay_alu instid0(SALU_CYCLE_1)
	s_mov_b32 s0, exec_lo
	ds_store_b32 v113, v20
	s_wait_dscnt 0x0
	s_barrier_signal -1
	s_barrier_wait -1
	v_cmpx_gt_u32_e32 18, v0
	s_cbranch_execz .LBB85_504
; %bb.495:
	v_cmp_ne_u32_e32 vcc_lo, 1, v34
	s_cbranch_vccnz .LBB85_497
; %bb.496:
	v_cmp_eq_u32_e32 vcc_lo, 1, v0
	ds_load_b32 v25, v113
	v_cndmask_b32_e32 v24, v2, v3, vcc_lo
	v_cmp_eq_u32_e32 vcc_lo, 2, v0
	s_delay_alu instid0(VALU_DEP_2) | instskip(SKIP_1) | instid1(VALU_DEP_2)
	v_cndmask_b32_e32 v24, v24, v4, vcc_lo
	v_cmp_eq_u32_e32 vcc_lo, 3, v0
	v_cndmask_b32_e32 v24, v24, v5, vcc_lo
	v_cmp_eq_u32_e32 vcc_lo, 4, v0
	s_delay_alu instid0(VALU_DEP_2) | instskip(SKIP_1) | instid1(VALU_DEP_2)
	v_cndmask_b32_e32 v24, v24, v6, vcc_lo
	v_cmp_eq_u32_e32 vcc_lo, 5, v0
	;; [unrolled: 5-line block ×10, first 2 shown]
	v_cndmask_b32_e32 v24, v24, v23, vcc_lo
	s_wait_dscnt 0x0
	s_delay_alu instid0(VALU_DEP_1)
	v_mul_f32_e32 v26, v24, v25
	s_cbranch_execz .LBB85_498
	s_branch .LBB85_499
.LBB85_497:
                                        ; implicit-def: $vgpr26
.LBB85_498:
	ds_load_b32 v26, v113
.LBB85_499:
	s_mov_b32 s1, exec_lo
	v_cmpx_ne_u32_e32 17, v0
	s_cbranch_execz .LBB85_503
; %bb.500:
	v_mov_b64_e32 v[24:25], v[0:1]
	v_lshl_add_u32 v27, v0, 2, 0x64
	s_mov_b32 s2, 0
.LBB85_501:                             ; =>This Inner Loop Header: Depth=1
	s_delay_alu instid0(VALU_DEP_2)
	v_add_nc_u64_e32 v[24:25], 1, v[24:25]
	ds_load_b32 v29, v27
	v_add_nc_u32_e32 v27, 4, v27
	v_cmp_eq_u32_e32 vcc_lo, 1, v24
	v_cndmask_b32_e32 v28, v2, v3, vcc_lo
	v_cmp_eq_u32_e32 vcc_lo, 2, v24
	s_delay_alu instid0(VALU_DEP_2) | instskip(SKIP_1) | instid1(VALU_DEP_2)
	v_cndmask_b32_e32 v28, v28, v4, vcc_lo
	v_cmp_eq_u32_e32 vcc_lo, 3, v24
	v_cndmask_b32_e32 v28, v28, v5, vcc_lo
	v_cmp_eq_u32_e32 vcc_lo, 4, v24
	s_delay_alu instid0(VALU_DEP_2) | instskip(SKIP_1) | instid1(VALU_DEP_2)
	v_cndmask_b32_e32 v28, v28, v6, vcc_lo
	;; [unrolled: 5-line block ×10, first 2 shown]
	v_cmp_eq_u32_e32 vcc_lo, 21, v24
	v_cndmask_b32_e32 v28, v28, v23, vcc_lo
	v_cmp_lt_u32_e32 vcc_lo, 16, v24
	s_wait_dscnt 0x0
	s_delay_alu instid0(VALU_DEP_2) | instskip(SKIP_1) | instid1(SALU_CYCLE_1)
	v_fmac_f32_e32 v26, v28, v29
	s_or_b32 s2, vcc_lo, s2
	s_and_not1_b32 exec_lo, exec_lo, s2
	s_cbranch_execnz .LBB85_501
; %bb.502:
	s_or_b32 exec_lo, exec_lo, s2
.LBB85_503:
	s_delay_alu instid0(SALU_CYCLE_1)
	s_or_b32 exec_lo, exec_lo, s1
	v_mov_b32_e32 v20, 0
	ds_load_b32 v20, v20 offset:72
	s_wait_dscnt 0x0
	v_mul_f32_e32 v20, v26, v20
.LBB85_504:
	s_or_b32 exec_lo, exec_lo, s0
	s_delay_alu instid0(SALU_CYCLE_1)
	s_mov_b32 s0, exec_lo
	ds_store_b32 v113, v21
	s_wait_dscnt 0x0
	s_barrier_signal -1
	s_barrier_wait -1
	v_cmpx_gt_u32_e32 19, v0
	s_cbranch_execz .LBB85_514
; %bb.505:
	v_cmp_ne_u32_e32 vcc_lo, 1, v34
	s_cbranch_vccnz .LBB85_507
; %bb.506:
	v_cmp_eq_u32_e32 vcc_lo, 1, v0
	ds_load_b32 v25, v113
	v_cndmask_b32_e32 v24, v2, v3, vcc_lo
	v_cmp_eq_u32_e32 vcc_lo, 2, v0
	s_delay_alu instid0(VALU_DEP_2) | instskip(SKIP_1) | instid1(VALU_DEP_2)
	v_cndmask_b32_e32 v24, v24, v4, vcc_lo
	v_cmp_eq_u32_e32 vcc_lo, 3, v0
	v_cndmask_b32_e32 v24, v24, v5, vcc_lo
	v_cmp_eq_u32_e32 vcc_lo, 4, v0
	s_delay_alu instid0(VALU_DEP_2) | instskip(SKIP_1) | instid1(VALU_DEP_2)
	v_cndmask_b32_e32 v24, v24, v6, vcc_lo
	v_cmp_eq_u32_e32 vcc_lo, 5, v0
	;; [unrolled: 5-line block ×10, first 2 shown]
	v_cndmask_b32_e32 v24, v24, v23, vcc_lo
	s_wait_dscnt 0x0
	s_delay_alu instid0(VALU_DEP_1)
	v_mul_f32_e32 v26, v24, v25
	s_cbranch_execz .LBB85_508
	s_branch .LBB85_509
.LBB85_507:
                                        ; implicit-def: $vgpr26
.LBB85_508:
	ds_load_b32 v26, v113
.LBB85_509:
	s_mov_b32 s1, exec_lo
	v_cmpx_ne_u32_e32 18, v0
	s_cbranch_execz .LBB85_513
; %bb.510:
	v_mov_b64_e32 v[24:25], v[0:1]
	v_lshl_add_u32 v27, v0, 2, 0x64
	s_mov_b32 s2, 0
.LBB85_511:                             ; =>This Inner Loop Header: Depth=1
	s_delay_alu instid0(VALU_DEP_2)
	v_add_nc_u64_e32 v[24:25], 1, v[24:25]
	ds_load_b32 v29, v27
	v_add_nc_u32_e32 v27, 4, v27
	v_cmp_eq_u32_e32 vcc_lo, 1, v24
	v_cndmask_b32_e32 v28, v2, v3, vcc_lo
	v_cmp_eq_u32_e32 vcc_lo, 2, v24
	s_delay_alu instid0(VALU_DEP_2) | instskip(SKIP_1) | instid1(VALU_DEP_2)
	v_cndmask_b32_e32 v28, v28, v4, vcc_lo
	v_cmp_eq_u32_e32 vcc_lo, 3, v24
	v_cndmask_b32_e32 v28, v28, v5, vcc_lo
	v_cmp_eq_u32_e32 vcc_lo, 4, v24
	s_delay_alu instid0(VALU_DEP_2) | instskip(SKIP_1) | instid1(VALU_DEP_2)
	v_cndmask_b32_e32 v28, v28, v6, vcc_lo
	;; [unrolled: 5-line block ×10, first 2 shown]
	v_cmp_eq_u32_e32 vcc_lo, 21, v24
	v_cndmask_b32_e32 v28, v28, v23, vcc_lo
	v_cmp_lt_u32_e32 vcc_lo, 17, v24
	s_wait_dscnt 0x0
	s_delay_alu instid0(VALU_DEP_2) | instskip(SKIP_1) | instid1(SALU_CYCLE_1)
	v_fmac_f32_e32 v26, v28, v29
	s_or_b32 s2, vcc_lo, s2
	s_and_not1_b32 exec_lo, exec_lo, s2
	s_cbranch_execnz .LBB85_511
; %bb.512:
	s_or_b32 exec_lo, exec_lo, s2
.LBB85_513:
	s_delay_alu instid0(SALU_CYCLE_1)
	s_or_b32 exec_lo, exec_lo, s1
	v_mov_b32_e32 v21, 0
	ds_load_b32 v21, v21 offset:76
	s_wait_dscnt 0x0
	v_mul_f32_e32 v21, v26, v21
.LBB85_514:
	s_or_b32 exec_lo, exec_lo, s0
	v_cmp_gt_u32_e64 s0, 20, v0
	ds_store_b32 v113, v22
	s_wait_dscnt 0x0
	s_barrier_signal -1
	s_barrier_wait -1
	s_and_saveexec_b32 s1, s0
	s_cbranch_execz .LBB85_524
; %bb.515:
	v_cmp_ne_u32_e32 vcc_lo, 1, v34
	s_cbranch_vccnz .LBB85_517
; %bb.516:
	v_cmp_eq_u32_e32 vcc_lo, 1, v0
	ds_load_b32 v25, v113
	v_cndmask_b32_e32 v24, v2, v3, vcc_lo
	v_cmp_eq_u32_e32 vcc_lo, 2, v0
	s_delay_alu instid0(VALU_DEP_2) | instskip(SKIP_1) | instid1(VALU_DEP_2)
	v_cndmask_b32_e32 v24, v24, v4, vcc_lo
	v_cmp_eq_u32_e32 vcc_lo, 3, v0
	v_cndmask_b32_e32 v24, v24, v5, vcc_lo
	v_cmp_eq_u32_e32 vcc_lo, 4, v0
	s_delay_alu instid0(VALU_DEP_2) | instskip(SKIP_1) | instid1(VALU_DEP_2)
	v_cndmask_b32_e32 v24, v24, v6, vcc_lo
	v_cmp_eq_u32_e32 vcc_lo, 5, v0
	;; [unrolled: 5-line block ×10, first 2 shown]
	v_cndmask_b32_e32 v24, v24, v23, vcc_lo
	s_wait_dscnt 0x0
	s_delay_alu instid0(VALU_DEP_1)
	v_mul_f32_e32 v26, v24, v25
	s_cbranch_execz .LBB85_518
	s_branch .LBB85_519
.LBB85_517:
                                        ; implicit-def: $vgpr26
.LBB85_518:
	ds_load_b32 v26, v113
.LBB85_519:
	s_mov_b32 s2, exec_lo
	v_cmpx_ne_u32_e32 19, v0
	s_cbranch_execz .LBB85_523
; %bb.520:
	v_mov_b64_e32 v[24:25], v[0:1]
	v_lshl_add_u32 v27, v0, 2, 0x64
	s_mov_b32 s3, 0
.LBB85_521:                             ; =>This Inner Loop Header: Depth=1
	s_delay_alu instid0(VALU_DEP_2)
	v_add_nc_u64_e32 v[24:25], 1, v[24:25]
	ds_load_b32 v29, v27
	v_add_nc_u32_e32 v27, 4, v27
	v_cmp_eq_u32_e32 vcc_lo, 1, v24
	v_cndmask_b32_e32 v28, v2, v3, vcc_lo
	v_cmp_eq_u32_e32 vcc_lo, 2, v24
	s_delay_alu instid0(VALU_DEP_2) | instskip(SKIP_1) | instid1(VALU_DEP_2)
	v_cndmask_b32_e32 v28, v28, v4, vcc_lo
	v_cmp_eq_u32_e32 vcc_lo, 3, v24
	v_cndmask_b32_e32 v28, v28, v5, vcc_lo
	v_cmp_eq_u32_e32 vcc_lo, 4, v24
	s_delay_alu instid0(VALU_DEP_2) | instskip(SKIP_1) | instid1(VALU_DEP_2)
	v_cndmask_b32_e32 v28, v28, v6, vcc_lo
	;; [unrolled: 5-line block ×10, first 2 shown]
	v_cmp_eq_u32_e32 vcc_lo, 21, v24
	v_cndmask_b32_e32 v28, v28, v23, vcc_lo
	v_cmp_lt_u32_e32 vcc_lo, 18, v24
	s_wait_dscnt 0x0
	s_delay_alu instid0(VALU_DEP_2) | instskip(SKIP_1) | instid1(SALU_CYCLE_1)
	v_fmac_f32_e32 v26, v28, v29
	s_or_b32 s3, vcc_lo, s3
	s_and_not1_b32 exec_lo, exec_lo, s3
	s_cbranch_execnz .LBB85_521
; %bb.522:
	s_or_b32 exec_lo, exec_lo, s3
.LBB85_523:
	s_delay_alu instid0(SALU_CYCLE_1)
	s_or_b32 exec_lo, exec_lo, s2
	v_mov_b32_e32 v22, 0
	ds_load_b32 v22, v22 offset:80
	s_wait_dscnt 0x0
	v_mul_f32_e32 v22, v26, v22
.LBB85_524:
	s_or_b32 exec_lo, exec_lo, s1
	s_delay_alu instid0(SALU_CYCLE_1)
	s_mov_b32 s1, exec_lo
	ds_store_b32 v113, v23
	s_wait_dscnt 0x0
	s_barrier_signal -1
	s_barrier_wait -1
	v_cmpx_ne_u32_e32 21, v0
	s_cbranch_execz .LBB85_534
; %bb.525:
	v_cmp_ne_u32_e32 vcc_lo, 1, v34
	s_cbranch_vccnz .LBB85_527
; %bb.526:
	v_cmp_eq_u32_e32 vcc_lo, 1, v0
	ds_load_b32 v25, v113
	v_cndmask_b32_e32 v24, v2, v3, vcc_lo
	v_cmp_eq_u32_e32 vcc_lo, 2, v0
	s_delay_alu instid0(VALU_DEP_2) | instskip(SKIP_1) | instid1(VALU_DEP_2)
	v_cndmask_b32_e32 v24, v24, v4, vcc_lo
	v_cmp_eq_u32_e32 vcc_lo, 3, v0
	v_cndmask_b32_e32 v24, v24, v5, vcc_lo
	v_cmp_eq_u32_e32 vcc_lo, 4, v0
	s_delay_alu instid0(VALU_DEP_2) | instskip(SKIP_1) | instid1(VALU_DEP_2)
	v_cndmask_b32_e32 v24, v24, v6, vcc_lo
	v_cmp_eq_u32_e32 vcc_lo, 5, v0
	;; [unrolled: 5-line block ×10, first 2 shown]
	v_cndmask_b32_e32 v24, v24, v23, vcc_lo
	s_wait_dscnt 0x0
	s_delay_alu instid0(VALU_DEP_1)
	v_mul_f32_e32 v24, v24, v25
	s_cbranch_execz .LBB85_528
	s_branch .LBB85_529
.LBB85_527:
                                        ; implicit-def: $vgpr24
.LBB85_528:
	ds_load_b32 v24, v113
.LBB85_529:
	s_and_saveexec_b32 s2, s0
	s_cbranch_execz .LBB85_533
; %bb.530:
	v_lshl_add_u32 v25, v0, 2, 0x64
	s_mov_b32 s0, 0
.LBB85_531:                             ; =>This Inner Loop Header: Depth=1
	v_add_nc_u64_e32 v[0:1], 1, v[0:1]
	ds_load_b32 v27, v25
	v_add_nc_u32_e32 v25, 4, v25
	v_cmp_eq_u32_e32 vcc_lo, 1, v0
	v_cndmask_b32_e32 v26, v2, v3, vcc_lo
	v_cmp_eq_u32_e32 vcc_lo, 2, v0
	s_delay_alu instid0(VALU_DEP_2) | instskip(SKIP_1) | instid1(VALU_DEP_2)
	v_cndmask_b32_e32 v26, v26, v4, vcc_lo
	v_cmp_eq_u32_e32 vcc_lo, 3, v0
	v_cndmask_b32_e32 v26, v26, v5, vcc_lo
	v_cmp_eq_u32_e32 vcc_lo, 4, v0
	s_delay_alu instid0(VALU_DEP_2) | instskip(SKIP_1) | instid1(VALU_DEP_2)
	v_cndmask_b32_e32 v26, v26, v6, vcc_lo
	;; [unrolled: 5-line block ×10, first 2 shown]
	v_cmp_eq_u32_e32 vcc_lo, 21, v0
	v_cndmask_b32_e32 v26, v26, v23, vcc_lo
	v_cmp_lt_u32_e32 vcc_lo, 19, v0
	s_wait_dscnt 0x0
	s_delay_alu instid0(VALU_DEP_2) | instskip(SKIP_1) | instid1(SALU_CYCLE_1)
	v_fmac_f32_e32 v24, v26, v27
	s_or_b32 s0, vcc_lo, s0
	s_and_not1_b32 exec_lo, exec_lo, s0
	s_cbranch_execnz .LBB85_531
; %bb.532:
	s_or_b32 exec_lo, exec_lo, s0
.LBB85_533:
	s_delay_alu instid0(SALU_CYCLE_1)
	s_or_b32 exec_lo, exec_lo, s2
	v_mov_b32_e32 v0, 0
	ds_load_b32 v0, v0 offset:84
	s_wait_dscnt 0x0
	v_mul_f32_e32 v23, v24, v0
.LBB85_534:
	s_or_b32 exec_lo, exec_lo, s1
	v_mov_b64_e32 v[64:65], v[32:33]
	s_delay_alu instid0(VALU_DEP_2)
	v_mov_b64_e32 v[54:55], v[22:23]
	v_mov_b64_e32 v[52:53], v[20:21]
	;; [unrolled: 1-line block ×15, first 2 shown]
.LBB85_535:
	s_wait_xcnt 0x5
	v_lshl_add_u64 v[0:1], v[66:67], 2, s[22:23]
	s_wait_loadcnt_dscnt 0x506
	v_lshl_add_u64 v[2:3], v[68:69], 2, s[22:23]
	v_lshl_add_u64 v[4:5], v[70:71], 2, s[22:23]
	;; [unrolled: 1-line block ×8, first 2 shown]
	s_wait_loadcnt_dscnt 0x405
	v_lshl_add_u64 v[18:19], v[84:85], 2, s[22:23]
	s_wait_loadcnt_dscnt 0x203
	v_lshl_add_u64 v[20:21], v[86:87], 2, s[22:23]
	;; [unrolled: 2-line block ×3, first 2 shown]
	v_lshl_add_u64 v[24:25], v[90:91], 2, s[22:23]
	v_lshl_add_u64 v[26:27], v[94:95], 2, s[22:23]
	;; [unrolled: 1-line block ×8, first 2 shown]
	s_clause 0x15
	flat_store_b32 v[92:93], v34
	flat_store_b32 v[96:97], v35
	;; [unrolled: 1-line block ×22, first 2 shown]
.LBB85_536:
	s_sendmsg sendmsg(MSG_DEALLOC_VGPRS)
	s_endpgm
	.section	.rodata,"a",@progbits
	.p2align	6, 0x0
	.amdhsa_kernel _ZN9rocsolver6v33100L18trti2_kernel_smallILi22EfPKPfEEv13rocblas_fill_17rocblas_diagonal_T1_iil
		.amdhsa_group_segment_fixed_size 184
		.amdhsa_private_segment_fixed_size 0
		.amdhsa_kernarg_size 32
		.amdhsa_user_sgpr_count 2
		.amdhsa_user_sgpr_dispatch_ptr 0
		.amdhsa_user_sgpr_queue_ptr 0
		.amdhsa_user_sgpr_kernarg_segment_ptr 1
		.amdhsa_user_sgpr_dispatch_id 0
		.amdhsa_user_sgpr_kernarg_preload_length 0
		.amdhsa_user_sgpr_kernarg_preload_offset 0
		.amdhsa_user_sgpr_private_segment_size 0
		.amdhsa_wavefront_size32 1
		.amdhsa_uses_dynamic_stack 0
		.amdhsa_enable_private_segment 0
		.amdhsa_system_sgpr_workgroup_id_x 1
		.amdhsa_system_sgpr_workgroup_id_y 0
		.amdhsa_system_sgpr_workgroup_id_z 0
		.amdhsa_system_sgpr_workgroup_info 0
		.amdhsa_system_vgpr_workitem_id 0
		.amdhsa_next_free_vgpr 125
		.amdhsa_next_free_sgpr 28
		.amdhsa_named_barrier_count 0
		.amdhsa_reserve_vcc 1
		.amdhsa_float_round_mode_32 0
		.amdhsa_float_round_mode_16_64 0
		.amdhsa_float_denorm_mode_32 3
		.amdhsa_float_denorm_mode_16_64 3
		.amdhsa_fp16_overflow 0
		.amdhsa_memory_ordered 1
		.amdhsa_forward_progress 1
		.amdhsa_inst_pref_size 255
		.amdhsa_round_robin_scheduling 0
		.amdhsa_exception_fp_ieee_invalid_op 0
		.amdhsa_exception_fp_denorm_src 0
		.amdhsa_exception_fp_ieee_div_zero 0
		.amdhsa_exception_fp_ieee_overflow 0
		.amdhsa_exception_fp_ieee_underflow 0
		.amdhsa_exception_fp_ieee_inexact 0
		.amdhsa_exception_int_div_zero 0
	.end_amdhsa_kernel
	.section	.text._ZN9rocsolver6v33100L18trti2_kernel_smallILi22EfPKPfEEv13rocblas_fill_17rocblas_diagonal_T1_iil,"axG",@progbits,_ZN9rocsolver6v33100L18trti2_kernel_smallILi22EfPKPfEEv13rocblas_fill_17rocblas_diagonal_T1_iil,comdat
.Lfunc_end85:
	.size	_ZN9rocsolver6v33100L18trti2_kernel_smallILi22EfPKPfEEv13rocblas_fill_17rocblas_diagonal_T1_iil, .Lfunc_end85-_ZN9rocsolver6v33100L18trti2_kernel_smallILi22EfPKPfEEv13rocblas_fill_17rocblas_diagonal_T1_iil
                                        ; -- End function
	.set _ZN9rocsolver6v33100L18trti2_kernel_smallILi22EfPKPfEEv13rocblas_fill_17rocblas_diagonal_T1_iil.num_vgpr, 125
	.set _ZN9rocsolver6v33100L18trti2_kernel_smallILi22EfPKPfEEv13rocblas_fill_17rocblas_diagonal_T1_iil.num_agpr, 0
	.set _ZN9rocsolver6v33100L18trti2_kernel_smallILi22EfPKPfEEv13rocblas_fill_17rocblas_diagonal_T1_iil.numbered_sgpr, 28
	.set _ZN9rocsolver6v33100L18trti2_kernel_smallILi22EfPKPfEEv13rocblas_fill_17rocblas_diagonal_T1_iil.num_named_barrier, 0
	.set _ZN9rocsolver6v33100L18trti2_kernel_smallILi22EfPKPfEEv13rocblas_fill_17rocblas_diagonal_T1_iil.private_seg_size, 0
	.set _ZN9rocsolver6v33100L18trti2_kernel_smallILi22EfPKPfEEv13rocblas_fill_17rocblas_diagonal_T1_iil.uses_vcc, 1
	.set _ZN9rocsolver6v33100L18trti2_kernel_smallILi22EfPKPfEEv13rocblas_fill_17rocblas_diagonal_T1_iil.uses_flat_scratch, 1
	.set _ZN9rocsolver6v33100L18trti2_kernel_smallILi22EfPKPfEEv13rocblas_fill_17rocblas_diagonal_T1_iil.has_dyn_sized_stack, 0
	.set _ZN9rocsolver6v33100L18trti2_kernel_smallILi22EfPKPfEEv13rocblas_fill_17rocblas_diagonal_T1_iil.has_recursion, 0
	.set _ZN9rocsolver6v33100L18trti2_kernel_smallILi22EfPKPfEEv13rocblas_fill_17rocblas_diagonal_T1_iil.has_indirect_call, 0
	.section	.AMDGPU.csdata,"",@progbits
; Kernel info:
; codeLenInByte = 33512
; TotalNumSgprs: 30
; NumVgprs: 125
; ScratchSize: 0
; MemoryBound: 0
; FloatMode: 240
; IeeeMode: 1
; LDSByteSize: 184 bytes/workgroup (compile time only)
; SGPRBlocks: 0
; VGPRBlocks: 7
; NumSGPRsForWavesPerEU: 30
; NumVGPRsForWavesPerEU: 125
; NamedBarCnt: 0
; Occupancy: 8
; WaveLimiterHint : 1
; COMPUTE_PGM_RSRC2:SCRATCH_EN: 0
; COMPUTE_PGM_RSRC2:USER_SGPR: 2
; COMPUTE_PGM_RSRC2:TRAP_HANDLER: 0
; COMPUTE_PGM_RSRC2:TGID_X_EN: 1
; COMPUTE_PGM_RSRC2:TGID_Y_EN: 0
; COMPUTE_PGM_RSRC2:TGID_Z_EN: 0
; COMPUTE_PGM_RSRC2:TIDIG_COMP_CNT: 0
	.section	.text._ZN9rocsolver6v33100L18trti2_kernel_smallILi23EfPKPfEEv13rocblas_fill_17rocblas_diagonal_T1_iil,"axG",@progbits,_ZN9rocsolver6v33100L18trti2_kernel_smallILi23EfPKPfEEv13rocblas_fill_17rocblas_diagonal_T1_iil,comdat
	.globl	_ZN9rocsolver6v33100L18trti2_kernel_smallILi23EfPKPfEEv13rocblas_fill_17rocblas_diagonal_T1_iil ; -- Begin function _ZN9rocsolver6v33100L18trti2_kernel_smallILi23EfPKPfEEv13rocblas_fill_17rocblas_diagonal_T1_iil
	.p2align	8
	.type	_ZN9rocsolver6v33100L18trti2_kernel_smallILi23EfPKPfEEv13rocblas_fill_17rocblas_diagonal_T1_iil,@function
_ZN9rocsolver6v33100L18trti2_kernel_smallILi23EfPKPfEEv13rocblas_fill_17rocblas_diagonal_T1_iil: ; @_ZN9rocsolver6v33100L18trti2_kernel_smallILi23EfPKPfEEv13rocblas_fill_17rocblas_diagonal_T1_iil
; %bb.0:
	s_mov_b32 s2, exec_lo
	v_cmpx_gt_u32_e32 23, v0
	s_cbranch_execz .LBB86_562
; %bb.1:
	s_clause 0x1
	s_load_b64 s[2:3], s[0:1], 0x10
	s_load_b128 s[24:27], s[0:1], 0x0
	s_wait_xcnt 0x0
	s_bfe_u32 s0, ttmp6, 0x4000c
	s_and_b32 s1, ttmp6, 15
	s_add_co_i32 s0, s0, 1
	s_getreg_b32 s4, hwreg(HW_REG_IB_STS2, 6, 4)
	s_mul_i32 s0, ttmp9, s0
	v_mov_b32_e32 v1, 0
	s_add_co_i32 s0, s1, s0
	s_delay_alu instid0(VALU_DEP_1)
	v_mov_b32_e32 v35, v1
	s_wait_kmcnt 0x0
	v_add3_u32 v66, s3, s3, v0
	s_ashr_i32 s1, s2, 31
	s_cmp_eq_u32 s4, 0
	s_cselect_b32 s4, ttmp9, s0
	s_delay_alu instid0(VALU_DEP_1)
	v_add_nc_u32_e32 v68, s3, v66
	s_ashr_i32 s5, s4, 31
	s_mov_b32 s0, s2
	s_lshl_b64 s[4:5], s[4:5], 3
	s_lshl_b64 s[0:1], s[0:1], 2
	v_add_nc_u32_e32 v70, s3, v68
	s_add_nc_u64 s[4:5], s[26:27], s[4:5]
	s_load_b64 s[4:5], s[4:5], 0x0
	s_delay_alu instid0(VALU_DEP_1) | instskip(NEXT) | instid1(VALU_DEP_1)
	v_add_nc_u32_e32 v72, s3, v70
	v_add_nc_u32_e32 v74, s3, v72
	s_delay_alu instid0(VALU_DEP_1) | instskip(NEXT) | instid1(VALU_DEP_1)
	v_add_nc_u32_e32 v76, s3, v74
	v_add_nc_u32_e32 v78, s3, v76
	s_wait_kmcnt 0x0
	s_add_nc_u64 s[26:27], s[4:5], s[0:1]
	s_mov_b32 s0, s3
	s_delay_alu instid0(VALU_DEP_1) | instskip(SKIP_3) | instid1(VALU_DEP_1)
	v_add_nc_u32_e32 v80, s3, v78
	s_ashr_i32 s1, s3, 31
	s_cmp_lg_u32 s25, 0x84
	s_cselect_b32 s23, -1, 0
	v_add_nc_u32_e32 v82, s3, v80
	s_cmp_eq_u32 s25, 0x84
	s_delay_alu instid0(VALU_DEP_1) | instskip(NEXT) | instid1(VALU_DEP_1)
	v_add_nc_u32_e32 v84, s3, v82
	v_add_nc_u32_e32 v86, s3, v84
	s_delay_alu instid0(VALU_DEP_1) | instskip(NEXT) | instid1(VALU_DEP_1)
	v_add_nc_u32_e32 v88, s3, v86
	v_add_nc_u32_e32 v90, s3, v88
	;; [unrolled: 3-line block ×4, first 2 shown]
	s_delay_alu instid0(VALU_DEP_1) | instskip(NEXT) | instid1(VALU_DEP_1)
	v_dual_lshlrev_b32 v34, 2, v0 :: v_dual_add_nc_u32 v104, s3, v102
	v_add_nc_u64_e32 v[94:95], s[26:27], v[34:35]
	s_delay_alu instid0(VALU_DEP_2) | instskip(NEXT) | instid1(VALU_DEP_2)
	v_dual_mov_b32 v35, -1.0 :: v_dual_add_nc_u32 v106, s3, v104
	v_lshl_add_u64 v[98:99], s[0:1], 2, v[94:95]
	v_cmp_eq_u32_e64 s0, 0, v0
	s_delay_alu instid0(VALU_DEP_3)
	v_add_nc_u32_e32 v108, s3, v106
	s_clause 0xf
	flat_load_b32 v3, v[98:99]
	flat_load_b32 v4, v66, s[26:27] scale_offset
	flat_load_b32 v5, v68, s[26:27] scale_offset
	;; [unrolled: 1-line block ×15, first 2 shown]
	v_add_nc_u32_e32 v110, s3, v108
	s_clause 0x6
	flat_load_b32 v2, v0, s[26:27] scale_offset
	flat_load_b32 v19, v100, s[26:27] scale_offset
	;; [unrolled: 1-line block ×7, first 2 shown]
	s_cbranch_scc1 .LBB86_3
; %bb.2:
	v_cmp_eq_u32_e64 s1, 1, v0
	v_cmp_eq_u32_e64 s2, 2, v0
	;; [unrolled: 1-line block ×5, first 2 shown]
	s_wait_loadcnt_dscnt 0x606
	v_cndmask_b32_e64 v25, v2, v3, s1
	v_cmp_eq_u32_e64 s6, 6, v0
	v_cmp_eq_u32_e64 s7, 7, v0
	v_cmp_eq_u32_e64 s8, 8, v0
	v_cmp_eq_u32_e64 s9, 9, v0
	v_cndmask_b32_e64 v25, v25, v4, s2
	v_cmp_eq_u32_e64 s10, 10, v0
	v_cmp_eq_u32_e64 s11, 11, v0
	v_cmp_eq_u32_e64 s12, 12, v0
	v_cmp_eq_u32_e64 s13, 13, v0
	;; [unrolled: 5-line block ×4, first 2 shown]
	v_cndmask_b32_e64 v25, v25, v7, s5
	v_cmp_eq_u32_e64 s22, 22, v0
	s_delay_alu instid0(VALU_DEP_2) | instskip(NEXT) | instid1(VALU_DEP_1)
	v_cndmask_b32_e64 v25, v25, v8, s6
	v_cndmask_b32_e64 v25, v25, v9, s7
	s_delay_alu instid0(VALU_DEP_1) | instskip(NEXT) | instid1(VALU_DEP_1)
	v_cndmask_b32_e64 v25, v25, v10, s8
	v_cndmask_b32_e64 v25, v25, v11, s9
	s_delay_alu instid0(VALU_DEP_1) | instskip(NEXT) | instid1(VALU_DEP_1)
	;; [unrolled: 3-line block ×4, first 2 shown]
	v_cndmask_b32_e64 v25, v25, v16, s14
	v_cndmask_b32_e64 v25, v25, v17, s15
	s_delay_alu instid0(VALU_DEP_1) | instskip(SKIP_1) | instid1(VALU_DEP_1)
	v_cndmask_b32_e64 v25, v25, v18, s16
	s_wait_loadcnt_dscnt 0x505
	v_cndmask_b32_e64 v25, v25, v19, s17
	s_wait_loadcnt_dscnt 0x404
	s_delay_alu instid0(VALU_DEP_1) | instskip(SKIP_1) | instid1(VALU_DEP_1)
	v_cndmask_b32_e64 v25, v25, v20, s18
	s_wait_loadcnt_dscnt 0x303
	v_cndmask_b32_e64 v25, v25, v21, s19
	s_wait_loadcnt_dscnt 0x202
	;; [unrolled: 5-line block ×3, first 2 shown]
	s_delay_alu instid0(VALU_DEP_1) | instskip(NEXT) | instid1(VALU_DEP_1)
	v_cndmask_b32_e64 v25, v25, v24, s22
	v_div_scale_f32 v26, null, v25, v25, 1.0
	v_div_scale_f32 v29, vcc_lo, 1.0, v25, 1.0
	s_delay_alu instid0(VALU_DEP_2) | instskip(SKIP_1) | instid1(TRANS32_DEP_1)
	v_rcp_f32_e32 v27, v26
	v_nop
	v_fma_f32 v28, -v26, v27, 1.0
	s_delay_alu instid0(VALU_DEP_1) | instskip(NEXT) | instid1(VALU_DEP_1)
	v_fmac_f32_e32 v27, v28, v27
	v_mul_f32_e32 v28, v29, v27
	s_delay_alu instid0(VALU_DEP_1) | instskip(NEXT) | instid1(VALU_DEP_1)
	v_fma_f32 v30, -v26, v28, v29
	v_fmac_f32_e32 v28, v30, v27
	s_delay_alu instid0(VALU_DEP_1) | instskip(NEXT) | instid1(VALU_DEP_1)
	v_fma_f32 v26, -v26, v28, v29
	v_div_fmas_f32 v26, v26, v27, v28
	s_delay_alu instid0(VALU_DEP_1) | instskip(NEXT) | instid1(VALU_DEP_1)
	v_div_fixup_f32 v25, v26, v25, 1.0
	v_dual_cndmask_b32 v24, v24, v25, s22 :: v_dual_cndmask_b32 v23, v23, v25, s21
	v_dual_cndmask_b32 v22, v22, v25, s20 :: v_dual_cndmask_b32 v21, v21, v25, s19
	v_dual_cndmask_b32 v20, v20, v25, s18 :: v_dual_cndmask_b32 v19, v19, v25, s17
	v_dual_cndmask_b32 v18, v18, v25, s16 :: v_dual_cndmask_b32 v17, v17, v25, s15
	v_dual_cndmask_b32 v16, v16, v25, s14 :: v_dual_cndmask_b32 v15, v15, v25, s13
	v_dual_cndmask_b32 v14, v14, v25, s12 :: v_dual_cndmask_b32 v13, v13, v25, s11
	v_dual_cndmask_b32 v12, v12, v25, s10 :: v_dual_cndmask_b32 v11, v11, v25, s9
	v_dual_cndmask_b32 v10, v10, v25, s8 :: v_dual_cndmask_b32 v9, v9, v25, s7
	v_dual_cndmask_b32 v8, v8, v25, s6 :: v_dual_cndmask_b32 v7, v7, v25, s5
	v_dual_cndmask_b32 v6, v6, v25, s4 :: v_dual_cndmask_b32 v5, v5, v25, s3
	v_dual_cndmask_b32 v4, v4, v25, s2 :: v_dual_cndmask_b32 v3, v3, v25, s1
	v_cndmask_b32_e64 v2, v2, v25, s0
	v_xor_b32_e32 v35, 0x80000000, v25
.LBB86_3:
	v_dual_ashrrev_i32 v67, 31, v66 :: v_dual_ashrrev_i32 v69, 31, v68
	v_dual_ashrrev_i32 v71, 31, v70 :: v_dual_ashrrev_i32 v73, 31, v72
	;; [unrolled: 1-line block ×10, first 2 shown]
	v_ashrrev_i32_e32 v109, 31, v108
	v_add_nc_u32_e32 v115, 0x60, v34
	s_cmp_eq_u32 s24, 0x79
	ds_store_b32 v34, v35
	s_cbranch_scc1 .LBB86_7
; %bb.4:
	s_wait_loadcnt_dscnt 0x1
	v_mov_b64_e32 v[64:65], v[32:33]
	v_mov_b64_e32 v[62:63], v[30:31]
	;; [unrolled: 1-line block ×16, first 2 shown]
	v_cmp_eq_u32_e64 s1, 22, v0
	ds_store_b32 v115, v23
	s_wait_dscnt 0x0
	s_barrier_signal -1
	s_barrier_wait -1
	s_and_saveexec_b32 s0, s1
	s_cbranch_execz .LBB86_11
; %bb.5:
	s_and_b32 vcc_lo, exec_lo, s23
	s_cbranch_vccz .LBB86_8
; %bb.6:
	v_cmp_eq_u32_e32 vcc_lo, 1, v0
	ds_load_b32 v35, v115
	v_cndmask_b32_e32 v34, v2, v3, vcc_lo
	v_cmp_eq_u32_e32 vcc_lo, 2, v0
	s_delay_alu instid0(VALU_DEP_2) | instskip(SKIP_1) | instid1(VALU_DEP_2)
	v_cndmask_b32_e32 v34, v34, v4, vcc_lo
	v_cmp_eq_u32_e32 vcc_lo, 3, v0
	v_cndmask_b32_e32 v34, v34, v5, vcc_lo
	v_cmp_eq_u32_e32 vcc_lo, 4, v0
	s_delay_alu instid0(VALU_DEP_2) | instskip(SKIP_1) | instid1(VALU_DEP_2)
	v_cndmask_b32_e32 v34, v34, v6, vcc_lo
	v_cmp_eq_u32_e32 vcc_lo, 5, v0
	;; [unrolled: 5-line block ×10, first 2 shown]
	v_cndmask_b32_e32 v34, v34, v23, vcc_lo
	v_cmp_eq_u32_e32 vcc_lo, 22, v0
	s_delay_alu instid0(VALU_DEP_2) | instskip(SKIP_1) | instid1(VALU_DEP_1)
	v_cndmask_b32_e32 v34, v34, v24, vcc_lo
	s_wait_dscnt 0x0
	v_mul_f32_e32 v55, v34, v35
	s_cbranch_execz .LBB86_9
	s_branch .LBB86_10
.LBB86_7:
                                        ; implicit-def: $vgpr34_vgpr35_vgpr36_vgpr37_vgpr38_vgpr39_vgpr40_vgpr41_vgpr42_vgpr43_vgpr44_vgpr45_vgpr46_vgpr47_vgpr48_vgpr49_vgpr50_vgpr51_vgpr52_vgpr53_vgpr54_vgpr55_vgpr56_vgpr57_vgpr58_vgpr59_vgpr60_vgpr61_vgpr62_vgpr63_vgpr64_vgpr65
	s_cbranch_execnz .LBB86_338
	s_branch .LBB86_561
.LBB86_8:
                                        ; implicit-def: $vgpr55
.LBB86_9:
	ds_load_b32 v55, v115
.LBB86_10:
	v_dual_mov_b32 v36, 0 :: v_dual_mov_b32 v34, v2
	v_dual_mov_b32 v35, v3 :: v_dual_mov_b32 v37, v5
	v_mov_b32_e32 v38, v6
	ds_load_b32 v56, v36 offset:84
	v_dual_mov_b32 v36, v4 :: v_dual_mov_b32 v39, v7
	v_dual_mov_b32 v40, v8 :: v_dual_mov_b32 v41, v9
	;; [unrolled: 1-line block ×8, first 2 shown]
	s_wait_dscnt 0x0
	v_dual_mov_b32 v54, v22 :: v_dual_mul_f32 v55, v55, v56
	v_mov_b32_e32 v56, v24
.LBB86_11:
	s_or_b32 exec_lo, exec_lo, s0
	v_cmp_lt_u32_e64 s0, 20, v0
	ds_store_b32 v115, v54
	s_wait_dscnt 0x0
	s_barrier_signal -1
	s_barrier_wait -1
	s_and_saveexec_b32 s2, s0
	s_cbranch_execz .LBB86_17
; %bb.12:
	s_and_not1_b32 vcc_lo, exec_lo, s23
	s_cbranch_vccnz .LBB86_14
; %bb.13:
	v_cmp_eq_u32_e32 vcc_lo, 1, v0
	ds_load_b32 v58, v115
	v_cndmask_b32_e32 v57, v34, v35, vcc_lo
	v_cmp_eq_u32_e32 vcc_lo, 2, v0
	s_delay_alu instid0(VALU_DEP_2) | instskip(SKIP_1) | instid1(VALU_DEP_2)
	v_cndmask_b32_e32 v57, v57, v36, vcc_lo
	v_cmp_eq_u32_e32 vcc_lo, 3, v0
	v_cndmask_b32_e32 v57, v57, v37, vcc_lo
	v_cmp_eq_u32_e32 vcc_lo, 4, v0
	s_delay_alu instid0(VALU_DEP_2) | instskip(SKIP_1) | instid1(VALU_DEP_2)
	v_cndmask_b32_e32 v57, v57, v38, vcc_lo
	v_cmp_eq_u32_e32 vcc_lo, 5, v0
	;; [unrolled: 5-line block ×10, first 2 shown]
	v_cndmask_b32_e32 v54, v54, v55, vcc_lo
	v_cmp_eq_u32_e32 vcc_lo, 22, v0
	s_delay_alu instid0(VALU_DEP_2) | instskip(SKIP_1) | instid1(VALU_DEP_1)
	v_cndmask_b32_e32 v54, v54, v56, vcc_lo
	s_wait_dscnt 0x0
	v_mul_f32_e32 v54, v54, v58
	s_cbranch_execz .LBB86_15
	s_branch .LBB86_16
.LBB86_14:
                                        ; implicit-def: $vgpr54
.LBB86_15:
	ds_load_b32 v54, v115
.LBB86_16:
	v_mov_b32_e32 v57, 0
	ds_load_2addr_b32 v[58:59], v57 offset0:20 offset1:45
	s_wait_dscnt 0x0
	v_fma_f32 v57, v55, v59, v54
	s_delay_alu instid0(VALU_DEP_1) | instskip(NEXT) | instid1(VALU_DEP_1)
	v_cndmask_b32_e64 v54, v54, v57, s1
	v_mul_f32_e32 v54, v54, v58
.LBB86_17:
	s_or_b32 exec_lo, exec_lo, s2
	v_cmp_lt_u32_e64 s1, 19, v0
	ds_store_b32 v115, v53
	s_wait_dscnt 0x0
	s_barrier_signal -1
	s_barrier_wait -1
	s_and_saveexec_b32 s4, s1
	s_cbranch_execz .LBB86_33
; %bb.18:
	s_and_not1_b32 vcc_lo, exec_lo, s23
	s_cbranch_vccnz .LBB86_20
; %bb.19:
	v_cmp_eq_u32_e32 vcc_lo, 1, v0
	ds_load_b32 v113, v115
	v_cndmask_b32_e32 v112, v34, v35, vcc_lo
	v_cmp_eq_u32_e32 vcc_lo, 2, v0
	s_delay_alu instid0(VALU_DEP_2) | instskip(SKIP_1) | instid1(VALU_DEP_2)
	v_cndmask_b32_e32 v112, v112, v36, vcc_lo
	v_cmp_eq_u32_e32 vcc_lo, 3, v0
	v_cndmask_b32_e32 v112, v112, v37, vcc_lo
	v_cmp_eq_u32_e32 vcc_lo, 4, v0
	s_delay_alu instid0(VALU_DEP_2) | instskip(SKIP_1) | instid1(VALU_DEP_2)
	v_cndmask_b32_e32 v112, v112, v38, vcc_lo
	v_cmp_eq_u32_e32 vcc_lo, 5, v0
	;; [unrolled: 5-line block ×10, first 2 shown]
	v_cndmask_b32_e32 v112, v112, v55, vcc_lo
	v_cmp_eq_u32_e32 vcc_lo, 22, v0
	s_delay_alu instid0(VALU_DEP_2) | instskip(SKIP_1) | instid1(VALU_DEP_1)
	v_cndmask_b32_e32 v112, v112, v56, vcc_lo
	s_wait_dscnt 0x0
	v_mul_f32_e32 v116, v112, v113
	s_cbranch_execz .LBB86_21
	s_branch .LBB86_22
.LBB86_20:
                                        ; implicit-def: $vgpr116
.LBB86_21:
	ds_load_b32 v116, v115
.LBB86_22:
	s_and_saveexec_b32 s5, s0
	s_cbranch_execz .LBB86_32
; %bb.23:
	v_subrev_nc_u32_e32 v114, 21, v0
	v_mov_b32_e32 v112, 20
	v_subrev_nc_u32_e32 v113, 20, v0
	s_mov_b32 s0, exec_lo
	s_delay_alu instid0(VALU_DEP_3)
	v_cmpx_lt_u32_e32 6, v114
	s_cbranch_execz .LBB86_27
; %bb.24:
	s_delay_alu instid0(VALU_DEP_2) | instskip(SKIP_3) | instid1(VALU_DEP_1)
	v_and_b32_e32 v112, -8, v113
	s_mov_b32 s6, 0
	s_mov_b64 s[2:3], 27
	s_movk_i32 s7, 0xb0
	v_sub_nc_u32_e32 v114, 0, v112
.LBB86_25:                              ; =>This Inner Loop Header: Depth=1
	s_add_co_i32 m0, s2, -7
	v_movrels_b32_e32 v117, v34
	v_mov_b32_e32 v112, s7
	s_add_co_i32 m0, s2, -6
	s_add_co_i32 s7, s7, 32
	v_movrels_b32_e32 v126, v34
	s_add_co_i32 m0, s2, -5
	ds_load_b128 v[118:121], v112
	ds_load_b128 v[122:125], v112 offset:16
	v_movrels_b32_e32 v112, v34
	s_add_co_i32 m0, s2, -4
	s_wait_dscnt 0x1
	v_fmac_f32_e32 v116, v117, v118
	v_movrels_b32_e32 v117, v34
	s_add_co_i32 m0, s2, -3
	s_delay_alu instid0(VALU_DEP_2) | instskip(NEXT) | instid1(VALU_DEP_1)
	v_fmac_f32_e32 v116, v126, v119
	v_fmac_f32_e32 v116, v112, v120
	v_movrels_b32_e32 v112, v34
	s_add_co_i32 m0, s2, -2
	s_delay_alu instid0(VALU_DEP_2) | instskip(SKIP_3) | instid1(VALU_DEP_2)
	v_fmac_f32_e32 v116, v117, v121
	v_movrels_b32_e32 v117, v34
	s_add_co_i32 m0, s2, -1
	s_wait_dscnt 0x0
	v_fmac_f32_e32 v116, v112, v122
	v_movrels_b32_e32 v112, v34
	s_mov_b32 m0, s2
	s_add_nc_u64 s[2:3], s[2:3], 8
	v_movrels_b32_e32 v118, v34
	v_dual_fmac_f32 v116, v117, v123 :: v_dual_add_nc_u32 v117, s2, v114
	s_add_co_i32 s8, s2, -7
	s_delay_alu instid0(VALU_DEP_1) | instskip(NEXT) | instid1(VALU_DEP_2)
	v_fmac_f32_e32 v116, v112, v124
	v_cmp_eq_u32_e32 vcc_lo, 27, v117
	s_delay_alu instid0(VALU_DEP_2) | instskip(SKIP_1) | instid1(SALU_CYCLE_1)
	v_dual_mov_b32 v112, s8 :: v_dual_fmac_f32 v116, v118, v125
	s_or_b32 s6, vcc_lo, s6
	s_and_not1_b32 exec_lo, exec_lo, s6
	s_cbranch_execnz .LBB86_25
; %bb.26:
	s_or_b32 exec_lo, exec_lo, s6
.LBB86_27:
	s_delay_alu instid0(SALU_CYCLE_1) | instskip(SKIP_3) | instid1(VALU_DEP_1)
	s_or_b32 exec_lo, exec_lo, s0
	v_and_b32_e32 v57, 7, v113
	s_mov_b32 s2, 0
	s_mov_b32 s0, exec_lo
	v_cmpx_ne_u32_e32 0, v57
	s_cbranch_execz .LBB86_31
; %bb.28:
	v_lshl_add_u32 v58, v112, 2, 0x60
	v_mov_b32_e32 v113, 0
.LBB86_29:                              ; =>This Inner Loop Header: Depth=1
	v_cmp_eq_u32_e32 vcc_lo, 1, v112
	ds_load_b32 v60, v58
	v_dual_add_nc_u32 v57, -1, v57 :: v_dual_add_nc_u32 v58, 4, v58
	v_cndmask_b32_e32 v59, v34, v35, vcc_lo
	v_cmp_eq_u32_e32 vcc_lo, 2, v112
	s_delay_alu instid0(VALU_DEP_2) | instskip(SKIP_1) | instid1(VALU_DEP_2)
	v_cndmask_b32_e32 v59, v59, v36, vcc_lo
	v_cmp_eq_u32_e32 vcc_lo, 3, v112
	v_cndmask_b32_e32 v59, v59, v37, vcc_lo
	v_cmp_eq_u32_e32 vcc_lo, 4, v112
	s_delay_alu instid0(VALU_DEP_2) | instskip(SKIP_1) | instid1(VALU_DEP_2)
	v_cndmask_b32_e32 v59, v59, v38, vcc_lo
	v_cmp_eq_u32_e32 vcc_lo, 5, v112
	v_cndmask_b32_e32 v59, v59, v39, vcc_lo
	v_cmp_eq_u32_e32 vcc_lo, 6, v112
	s_delay_alu instid0(VALU_DEP_2) | instskip(SKIP_1) | instid1(VALU_DEP_2)
	v_cndmask_b32_e32 v59, v59, v40, vcc_lo
	v_cmp_eq_u32_e32 vcc_lo, 7, v112
	v_cndmask_b32_e32 v59, v59, v41, vcc_lo
	v_cmp_eq_u32_e32 vcc_lo, 8, v112
	s_delay_alu instid0(VALU_DEP_2) | instskip(SKIP_1) | instid1(VALU_DEP_2)
	v_cndmask_b32_e32 v59, v59, v42, vcc_lo
	v_cmp_eq_u32_e32 vcc_lo, 9, v112
	v_cndmask_b32_e32 v59, v59, v43, vcc_lo
	v_cmp_eq_u32_e32 vcc_lo, 10, v112
	s_delay_alu instid0(VALU_DEP_2) | instskip(SKIP_1) | instid1(VALU_DEP_2)
	v_cndmask_b32_e32 v59, v59, v44, vcc_lo
	v_cmp_eq_u32_e32 vcc_lo, 11, v112
	v_cndmask_b32_e32 v59, v59, v45, vcc_lo
	v_cmp_eq_u32_e32 vcc_lo, 12, v112
	s_delay_alu instid0(VALU_DEP_2) | instskip(SKIP_1) | instid1(VALU_DEP_2)
	v_cndmask_b32_e32 v59, v59, v46, vcc_lo
	v_cmp_eq_u32_e32 vcc_lo, 13, v112
	v_cndmask_b32_e32 v59, v59, v47, vcc_lo
	v_cmp_eq_u32_e32 vcc_lo, 14, v112
	s_delay_alu instid0(VALU_DEP_2) | instskip(SKIP_1) | instid1(VALU_DEP_2)
	v_cndmask_b32_e32 v59, v59, v48, vcc_lo
	v_cmp_eq_u32_e32 vcc_lo, 15, v112
	v_cndmask_b32_e32 v59, v59, v49, vcc_lo
	v_cmp_eq_u32_e32 vcc_lo, 16, v112
	s_delay_alu instid0(VALU_DEP_2) | instskip(SKIP_1) | instid1(VALU_DEP_2)
	v_cndmask_b32_e32 v59, v59, v50, vcc_lo
	v_cmp_eq_u32_e32 vcc_lo, 17, v112
	v_cndmask_b32_e32 v59, v59, v51, vcc_lo
	v_cmp_eq_u32_e32 vcc_lo, 18, v112
	s_delay_alu instid0(VALU_DEP_2) | instskip(SKIP_1) | instid1(VALU_DEP_2)
	v_cndmask_b32_e32 v59, v59, v52, vcc_lo
	v_cmp_eq_u32_e32 vcc_lo, 19, v112
	v_cndmask_b32_e32 v59, v59, v53, vcc_lo
	v_cmp_eq_u32_e32 vcc_lo, 20, v112
	s_delay_alu instid0(VALU_DEP_2) | instskip(SKIP_1) | instid1(VALU_DEP_2)
	v_cndmask_b32_e32 v59, v59, v54, vcc_lo
	v_cmp_eq_u32_e32 vcc_lo, 21, v112
	v_cndmask_b32_e32 v59, v59, v55, vcc_lo
	v_cmp_eq_u32_e32 vcc_lo, 22, v112
	v_add_nc_u64_e32 v[112:113], 1, v[112:113]
	s_delay_alu instid0(VALU_DEP_3) | instskip(SKIP_2) | instid1(VALU_DEP_2)
	v_cndmask_b32_e32 v59, v59, v56, vcc_lo
	v_cmp_eq_u32_e32 vcc_lo, 0, v57
	s_wait_dscnt 0x0
	v_fmac_f32_e32 v116, v59, v60
	s_or_b32 s2, vcc_lo, s2
	s_delay_alu instid0(SALU_CYCLE_1)
	s_and_not1_b32 exec_lo, exec_lo, s2
	s_cbranch_execnz .LBB86_29
; %bb.30:
	s_or_b32 exec_lo, exec_lo, s2
.LBB86_31:
	s_delay_alu instid0(SALU_CYCLE_1)
	s_or_b32 exec_lo, exec_lo, s0
.LBB86_32:
	s_delay_alu instid0(SALU_CYCLE_1)
	s_or_b32 exec_lo, exec_lo, s5
	v_mov_b32_e32 v53, 0
	ds_load_b32 v53, v53 offset:76
	s_wait_dscnt 0x0
	v_mul_f32_e32 v53, v116, v53
.LBB86_33:
	s_or_b32 exec_lo, exec_lo, s4
	v_cmp_lt_u32_e64 s0, 18, v0
	ds_store_b32 v115, v52
	s_wait_dscnt 0x0
	s_barrier_signal -1
	s_barrier_wait -1
	s_and_saveexec_b32 s4, s0
	s_cbranch_execz .LBB86_49
; %bb.34:
	s_and_not1_b32 vcc_lo, exec_lo, s23
	s_cbranch_vccnz .LBB86_36
; %bb.35:
	v_cmp_eq_u32_e32 vcc_lo, 1, v0
	ds_load_b32 v113, v115
	v_cndmask_b32_e32 v112, v34, v35, vcc_lo
	v_cmp_eq_u32_e32 vcc_lo, 2, v0
	s_delay_alu instid0(VALU_DEP_2) | instskip(SKIP_1) | instid1(VALU_DEP_2)
	v_cndmask_b32_e32 v112, v112, v36, vcc_lo
	v_cmp_eq_u32_e32 vcc_lo, 3, v0
	v_cndmask_b32_e32 v112, v112, v37, vcc_lo
	v_cmp_eq_u32_e32 vcc_lo, 4, v0
	s_delay_alu instid0(VALU_DEP_2) | instskip(SKIP_1) | instid1(VALU_DEP_2)
	v_cndmask_b32_e32 v112, v112, v38, vcc_lo
	v_cmp_eq_u32_e32 vcc_lo, 5, v0
	;; [unrolled: 5-line block ×10, first 2 shown]
	v_cndmask_b32_e32 v112, v112, v55, vcc_lo
	v_cmp_eq_u32_e32 vcc_lo, 22, v0
	s_delay_alu instid0(VALU_DEP_2) | instskip(SKIP_1) | instid1(VALU_DEP_1)
	v_cndmask_b32_e32 v112, v112, v56, vcc_lo
	s_wait_dscnt 0x0
	v_mul_f32_e32 v116, v112, v113
	s_cbranch_execz .LBB86_37
	s_branch .LBB86_38
.LBB86_36:
                                        ; implicit-def: $vgpr116
.LBB86_37:
	ds_load_b32 v116, v115
.LBB86_38:
	s_and_saveexec_b32 s5, s1
	s_cbranch_execz .LBB86_48
; %bb.39:
	v_subrev_nc_u32_e32 v114, 20, v0
	v_mov_b32_e32 v112, 19
	v_subrev_nc_u32_e32 v113, 19, v0
	s_mov_b32 s1, exec_lo
	s_delay_alu instid0(VALU_DEP_3)
	v_cmpx_lt_u32_e32 6, v114
	s_cbranch_execz .LBB86_43
; %bb.40:
	s_delay_alu instid0(VALU_DEP_2) | instskip(SKIP_3) | instid1(VALU_DEP_1)
	v_and_b32_e32 v112, -8, v113
	s_mov_b32 s6, 0
	s_mov_b64 s[2:3], 26
	s_movk_i32 s7, 0xac
	v_sub_nc_u32_e32 v114, 0, v112
.LBB86_41:                              ; =>This Inner Loop Header: Depth=1
	s_add_co_i32 m0, s2, -7
	v_movrels_b32_e32 v117, v34
	v_mov_b32_e32 v112, s7
	s_add_co_i32 m0, s2, -6
	s_add_co_i32 s7, s7, 32
	v_movrels_b32_e32 v126, v34
	ds_load_2addr_b32 v[118:119], v112 offset1:1
	ds_load_2addr_b32 v[120:121], v112 offset0:2 offset1:3
	s_add_co_i32 m0, s2, -5
	s_wait_dscnt 0x1
	v_fmac_f32_e32 v116, v117, v118
	ds_load_2addr_b32 v[122:123], v112 offset0:4 offset1:5
	ds_load_2addr_b32 v[124:125], v112 offset0:6 offset1:7
	v_movrels_b32_e32 v112, v34
	s_add_co_i32 m0, s2, -4
	v_fmac_f32_e32 v116, v126, v119
	v_movrels_b32_e32 v117, v34
	s_add_co_i32 m0, s2, -3
	s_wait_dscnt 0x2
	s_delay_alu instid0(VALU_DEP_2) | instskip(SKIP_2) | instid1(VALU_DEP_2)
	v_fmac_f32_e32 v116, v112, v120
	v_movrels_b32_e32 v112, v34
	s_add_co_i32 m0, s2, -2
	v_fmac_f32_e32 v116, v117, v121
	v_movrels_b32_e32 v117, v34
	s_add_co_i32 m0, s2, -1
	s_wait_dscnt 0x1
	s_delay_alu instid0(VALU_DEP_2)
	v_fmac_f32_e32 v116, v112, v122
	v_movrels_b32_e32 v112, v34
	s_mov_b32 m0, s2
	s_add_nc_u64 s[2:3], s[2:3], 8
	v_movrels_b32_e32 v118, v34
	v_dual_fmac_f32 v116, v117, v123 :: v_dual_add_nc_u32 v117, s2, v114
	s_add_co_i32 s8, s2, -7
	s_wait_dscnt 0x0
	s_delay_alu instid0(VALU_DEP_1) | instskip(NEXT) | instid1(VALU_DEP_2)
	v_fmac_f32_e32 v116, v112, v124
	v_cmp_eq_u32_e32 vcc_lo, 26, v117
	s_delay_alu instid0(VALU_DEP_2) | instskip(SKIP_1) | instid1(SALU_CYCLE_1)
	v_dual_mov_b32 v112, s8 :: v_dual_fmac_f32 v116, v118, v125
	s_or_b32 s6, vcc_lo, s6
	s_and_not1_b32 exec_lo, exec_lo, s6
	s_cbranch_execnz .LBB86_41
; %bb.42:
	s_or_b32 exec_lo, exec_lo, s6
.LBB86_43:
	s_delay_alu instid0(SALU_CYCLE_1) | instskip(SKIP_3) | instid1(VALU_DEP_1)
	s_or_b32 exec_lo, exec_lo, s1
	v_and_b32_e32 v57, 7, v113
	s_mov_b32 s2, 0
	s_mov_b32 s1, exec_lo
	v_cmpx_ne_u32_e32 0, v57
	s_cbranch_execz .LBB86_47
; %bb.44:
	v_lshl_add_u32 v58, v112, 2, 0x60
	v_mov_b32_e32 v113, 0
.LBB86_45:                              ; =>This Inner Loop Header: Depth=1
	v_cmp_eq_u32_e32 vcc_lo, 1, v112
	ds_load_b32 v60, v58
	v_dual_add_nc_u32 v57, -1, v57 :: v_dual_add_nc_u32 v58, 4, v58
	v_cndmask_b32_e32 v59, v34, v35, vcc_lo
	v_cmp_eq_u32_e32 vcc_lo, 2, v112
	s_delay_alu instid0(VALU_DEP_2) | instskip(SKIP_1) | instid1(VALU_DEP_2)
	v_cndmask_b32_e32 v59, v59, v36, vcc_lo
	v_cmp_eq_u32_e32 vcc_lo, 3, v112
	v_cndmask_b32_e32 v59, v59, v37, vcc_lo
	v_cmp_eq_u32_e32 vcc_lo, 4, v112
	s_delay_alu instid0(VALU_DEP_2) | instskip(SKIP_1) | instid1(VALU_DEP_2)
	v_cndmask_b32_e32 v59, v59, v38, vcc_lo
	v_cmp_eq_u32_e32 vcc_lo, 5, v112
	;; [unrolled: 5-line block ×10, first 2 shown]
	v_cndmask_b32_e32 v59, v59, v55, vcc_lo
	v_cmp_eq_u32_e32 vcc_lo, 22, v112
	v_add_nc_u64_e32 v[112:113], 1, v[112:113]
	s_delay_alu instid0(VALU_DEP_3) | instskip(SKIP_2) | instid1(VALU_DEP_2)
	v_cndmask_b32_e32 v59, v59, v56, vcc_lo
	v_cmp_eq_u32_e32 vcc_lo, 0, v57
	s_wait_dscnt 0x0
	v_fmac_f32_e32 v116, v59, v60
	s_or_b32 s2, vcc_lo, s2
	s_delay_alu instid0(SALU_CYCLE_1)
	s_and_not1_b32 exec_lo, exec_lo, s2
	s_cbranch_execnz .LBB86_45
; %bb.46:
	s_or_b32 exec_lo, exec_lo, s2
.LBB86_47:
	s_delay_alu instid0(SALU_CYCLE_1)
	s_or_b32 exec_lo, exec_lo, s1
.LBB86_48:
	s_delay_alu instid0(SALU_CYCLE_1)
	s_or_b32 exec_lo, exec_lo, s5
	v_mov_b32_e32 v52, 0
	ds_load_b32 v52, v52 offset:72
	s_wait_dscnt 0x0
	v_mul_f32_e32 v52, v116, v52
.LBB86_49:
	s_or_b32 exec_lo, exec_lo, s4
	v_cmp_lt_u32_e64 s1, 17, v0
	ds_store_b32 v115, v51
	s_wait_dscnt 0x0
	s_barrier_signal -1
	s_barrier_wait -1
	s_and_saveexec_b32 s4, s1
	s_cbranch_execz .LBB86_65
; %bb.50:
	s_and_not1_b32 vcc_lo, exec_lo, s23
	s_cbranch_vccnz .LBB86_52
; %bb.51:
	v_cmp_eq_u32_e32 vcc_lo, 1, v0
	ds_load_b32 v113, v115
	v_cndmask_b32_e32 v112, v34, v35, vcc_lo
	v_cmp_eq_u32_e32 vcc_lo, 2, v0
	s_delay_alu instid0(VALU_DEP_2) | instskip(SKIP_1) | instid1(VALU_DEP_2)
	v_cndmask_b32_e32 v112, v112, v36, vcc_lo
	v_cmp_eq_u32_e32 vcc_lo, 3, v0
	v_cndmask_b32_e32 v112, v112, v37, vcc_lo
	v_cmp_eq_u32_e32 vcc_lo, 4, v0
	s_delay_alu instid0(VALU_DEP_2) | instskip(SKIP_1) | instid1(VALU_DEP_2)
	v_cndmask_b32_e32 v112, v112, v38, vcc_lo
	v_cmp_eq_u32_e32 vcc_lo, 5, v0
	;; [unrolled: 5-line block ×10, first 2 shown]
	v_cndmask_b32_e32 v112, v112, v55, vcc_lo
	v_cmp_eq_u32_e32 vcc_lo, 22, v0
	s_delay_alu instid0(VALU_DEP_2) | instskip(SKIP_1) | instid1(VALU_DEP_1)
	v_cndmask_b32_e32 v112, v112, v56, vcc_lo
	s_wait_dscnt 0x0
	v_mul_f32_e32 v116, v112, v113
	s_cbranch_execz .LBB86_53
	s_branch .LBB86_54
.LBB86_52:
                                        ; implicit-def: $vgpr116
.LBB86_53:
	ds_load_b32 v116, v115
.LBB86_54:
	s_and_saveexec_b32 s5, s0
	s_cbranch_execz .LBB86_64
; %bb.55:
	v_subrev_nc_u32_e32 v114, 19, v0
	v_mov_b32_e32 v112, 18
	v_subrev_nc_u32_e32 v113, 18, v0
	s_mov_b32 s0, exec_lo
	s_delay_alu instid0(VALU_DEP_3)
	v_cmpx_lt_u32_e32 6, v114
	s_cbranch_execz .LBB86_59
; %bb.56:
	s_delay_alu instid0(VALU_DEP_2) | instskip(SKIP_3) | instid1(VALU_DEP_1)
	v_and_b32_e32 v112, -8, v113
	s_mov_b32 s6, 0
	s_mov_b64 s[2:3], 25
	s_movk_i32 s7, 0xa8
	v_sub_nc_u32_e32 v114, 0, v112
.LBB86_57:                              ; =>This Inner Loop Header: Depth=1
	s_add_co_i32 m0, s2, -7
	v_movrels_b32_e32 v117, v34
	v_mov_b32_e32 v112, s7
	s_add_co_i32 m0, s2, -6
	s_add_co_i32 s7, s7, 32
	v_movrels_b32_e32 v126, v34
	s_add_co_i32 m0, s2, -5
	ds_load_2addr_b64 v[118:121], v112 offset1:1
	ds_load_2addr_b64 v[122:125], v112 offset0:2 offset1:3
	v_movrels_b32_e32 v112, v34
	s_add_co_i32 m0, s2, -4
	s_wait_dscnt 0x1
	v_fmac_f32_e32 v116, v117, v118
	v_movrels_b32_e32 v117, v34
	s_add_co_i32 m0, s2, -3
	s_delay_alu instid0(VALU_DEP_2) | instskip(NEXT) | instid1(VALU_DEP_1)
	v_fmac_f32_e32 v116, v126, v119
	v_fmac_f32_e32 v116, v112, v120
	v_movrels_b32_e32 v112, v34
	s_add_co_i32 m0, s2, -2
	s_delay_alu instid0(VALU_DEP_2) | instskip(SKIP_3) | instid1(VALU_DEP_2)
	v_fmac_f32_e32 v116, v117, v121
	v_movrels_b32_e32 v117, v34
	s_add_co_i32 m0, s2, -1
	s_wait_dscnt 0x0
	v_fmac_f32_e32 v116, v112, v122
	v_movrels_b32_e32 v112, v34
	s_mov_b32 m0, s2
	s_add_nc_u64 s[2:3], s[2:3], 8
	v_movrels_b32_e32 v118, v34
	v_dual_fmac_f32 v116, v117, v123 :: v_dual_add_nc_u32 v117, s2, v114
	s_add_co_i32 s8, s2, -7
	s_delay_alu instid0(VALU_DEP_1) | instskip(NEXT) | instid1(VALU_DEP_2)
	v_fmac_f32_e32 v116, v112, v124
	v_cmp_eq_u32_e32 vcc_lo, 25, v117
	s_delay_alu instid0(VALU_DEP_2) | instskip(SKIP_1) | instid1(SALU_CYCLE_1)
	v_dual_mov_b32 v112, s8 :: v_dual_fmac_f32 v116, v118, v125
	s_or_b32 s6, vcc_lo, s6
	s_and_not1_b32 exec_lo, exec_lo, s6
	s_cbranch_execnz .LBB86_57
; %bb.58:
	s_or_b32 exec_lo, exec_lo, s6
.LBB86_59:
	s_delay_alu instid0(SALU_CYCLE_1) | instskip(SKIP_3) | instid1(VALU_DEP_1)
	s_or_b32 exec_lo, exec_lo, s0
	v_and_b32_e32 v57, 7, v113
	s_mov_b32 s2, 0
	s_mov_b32 s0, exec_lo
	v_cmpx_ne_u32_e32 0, v57
	s_cbranch_execz .LBB86_63
; %bb.60:
	v_lshl_add_u32 v58, v112, 2, 0x60
	v_mov_b32_e32 v113, 0
.LBB86_61:                              ; =>This Inner Loop Header: Depth=1
	v_cmp_eq_u32_e32 vcc_lo, 1, v112
	ds_load_b32 v60, v58
	v_dual_add_nc_u32 v57, -1, v57 :: v_dual_add_nc_u32 v58, 4, v58
	v_cndmask_b32_e32 v59, v34, v35, vcc_lo
	v_cmp_eq_u32_e32 vcc_lo, 2, v112
	s_delay_alu instid0(VALU_DEP_2) | instskip(SKIP_1) | instid1(VALU_DEP_2)
	v_cndmask_b32_e32 v59, v59, v36, vcc_lo
	v_cmp_eq_u32_e32 vcc_lo, 3, v112
	v_cndmask_b32_e32 v59, v59, v37, vcc_lo
	v_cmp_eq_u32_e32 vcc_lo, 4, v112
	s_delay_alu instid0(VALU_DEP_2) | instskip(SKIP_1) | instid1(VALU_DEP_2)
	v_cndmask_b32_e32 v59, v59, v38, vcc_lo
	v_cmp_eq_u32_e32 vcc_lo, 5, v112
	;; [unrolled: 5-line block ×10, first 2 shown]
	v_cndmask_b32_e32 v59, v59, v55, vcc_lo
	v_cmp_eq_u32_e32 vcc_lo, 22, v112
	v_add_nc_u64_e32 v[112:113], 1, v[112:113]
	s_delay_alu instid0(VALU_DEP_3) | instskip(SKIP_2) | instid1(VALU_DEP_2)
	v_cndmask_b32_e32 v59, v59, v56, vcc_lo
	v_cmp_eq_u32_e32 vcc_lo, 0, v57
	s_wait_dscnt 0x0
	v_fmac_f32_e32 v116, v59, v60
	s_or_b32 s2, vcc_lo, s2
	s_delay_alu instid0(SALU_CYCLE_1)
	s_and_not1_b32 exec_lo, exec_lo, s2
	s_cbranch_execnz .LBB86_61
; %bb.62:
	s_or_b32 exec_lo, exec_lo, s2
.LBB86_63:
	s_delay_alu instid0(SALU_CYCLE_1)
	s_or_b32 exec_lo, exec_lo, s0
.LBB86_64:
	s_delay_alu instid0(SALU_CYCLE_1)
	s_or_b32 exec_lo, exec_lo, s5
	v_mov_b32_e32 v51, 0
	ds_load_b32 v51, v51 offset:68
	s_wait_dscnt 0x0
	v_mul_f32_e32 v51, v116, v51
.LBB86_65:
	s_or_b32 exec_lo, exec_lo, s4
	v_cmp_lt_u32_e64 s0, 16, v0
	ds_store_b32 v115, v50
	s_wait_dscnt 0x0
	s_barrier_signal -1
	s_barrier_wait -1
	s_and_saveexec_b32 s4, s0
	s_cbranch_execz .LBB86_81
; %bb.66:
	s_and_not1_b32 vcc_lo, exec_lo, s23
	s_cbranch_vccnz .LBB86_68
; %bb.67:
	v_cmp_eq_u32_e32 vcc_lo, 1, v0
	ds_load_b32 v113, v115
	v_cndmask_b32_e32 v112, v34, v35, vcc_lo
	v_cmp_eq_u32_e32 vcc_lo, 2, v0
	s_delay_alu instid0(VALU_DEP_2) | instskip(SKIP_1) | instid1(VALU_DEP_2)
	v_cndmask_b32_e32 v112, v112, v36, vcc_lo
	v_cmp_eq_u32_e32 vcc_lo, 3, v0
	v_cndmask_b32_e32 v112, v112, v37, vcc_lo
	v_cmp_eq_u32_e32 vcc_lo, 4, v0
	s_delay_alu instid0(VALU_DEP_2) | instskip(SKIP_1) | instid1(VALU_DEP_2)
	v_cndmask_b32_e32 v112, v112, v38, vcc_lo
	v_cmp_eq_u32_e32 vcc_lo, 5, v0
	;; [unrolled: 5-line block ×10, first 2 shown]
	v_cndmask_b32_e32 v112, v112, v55, vcc_lo
	v_cmp_eq_u32_e32 vcc_lo, 22, v0
	s_delay_alu instid0(VALU_DEP_2) | instskip(SKIP_1) | instid1(VALU_DEP_1)
	v_cndmask_b32_e32 v112, v112, v56, vcc_lo
	s_wait_dscnt 0x0
	v_mul_f32_e32 v116, v112, v113
	s_cbranch_execz .LBB86_69
	s_branch .LBB86_70
.LBB86_68:
                                        ; implicit-def: $vgpr116
.LBB86_69:
	ds_load_b32 v116, v115
.LBB86_70:
	s_and_saveexec_b32 s5, s1
	s_cbranch_execz .LBB86_80
; %bb.71:
	v_subrev_nc_u32_e32 v114, 18, v0
	v_mov_b32_e32 v112, 17
	v_subrev_nc_u32_e32 v113, 17, v0
	s_mov_b32 s1, exec_lo
	s_delay_alu instid0(VALU_DEP_3)
	v_cmpx_lt_u32_e32 6, v114
	s_cbranch_execz .LBB86_75
; %bb.72:
	s_delay_alu instid0(VALU_DEP_2) | instskip(SKIP_3) | instid1(VALU_DEP_1)
	v_and_b32_e32 v112, -8, v113
	s_mov_b32 s6, 0
	s_mov_b64 s[2:3], 24
	s_movk_i32 s7, 0xa4
	v_sub_nc_u32_e32 v114, 0, v112
.LBB86_73:                              ; =>This Inner Loop Header: Depth=1
	s_add_co_i32 m0, s2, -7
	v_movrels_b32_e32 v117, v34
	v_mov_b32_e32 v112, s7
	s_add_co_i32 m0, s2, -6
	s_add_co_i32 s7, s7, 32
	v_movrels_b32_e32 v126, v34
	ds_load_2addr_b32 v[118:119], v112 offset1:1
	ds_load_2addr_b32 v[120:121], v112 offset0:2 offset1:3
	s_add_co_i32 m0, s2, -5
	s_wait_dscnt 0x1
	v_fmac_f32_e32 v116, v117, v118
	ds_load_2addr_b32 v[122:123], v112 offset0:4 offset1:5
	ds_load_2addr_b32 v[124:125], v112 offset0:6 offset1:7
	v_movrels_b32_e32 v112, v34
	s_add_co_i32 m0, s2, -4
	v_fmac_f32_e32 v116, v126, v119
	v_movrels_b32_e32 v117, v34
	s_add_co_i32 m0, s2, -3
	s_wait_dscnt 0x2
	s_delay_alu instid0(VALU_DEP_2) | instskip(SKIP_2) | instid1(VALU_DEP_2)
	v_fmac_f32_e32 v116, v112, v120
	v_movrels_b32_e32 v112, v34
	s_add_co_i32 m0, s2, -2
	v_fmac_f32_e32 v116, v117, v121
	v_movrels_b32_e32 v117, v34
	s_add_co_i32 m0, s2, -1
	s_wait_dscnt 0x1
	s_delay_alu instid0(VALU_DEP_2)
	v_fmac_f32_e32 v116, v112, v122
	v_movrels_b32_e32 v112, v34
	s_mov_b32 m0, s2
	s_add_nc_u64 s[2:3], s[2:3], 8
	v_movrels_b32_e32 v118, v34
	v_dual_fmac_f32 v116, v117, v123 :: v_dual_add_nc_u32 v117, s2, v114
	s_add_co_i32 s8, s2, -7
	s_wait_dscnt 0x0
	s_delay_alu instid0(VALU_DEP_1) | instskip(NEXT) | instid1(VALU_DEP_2)
	v_fmac_f32_e32 v116, v112, v124
	v_cmp_eq_u32_e32 vcc_lo, 24, v117
	s_delay_alu instid0(VALU_DEP_2) | instskip(SKIP_1) | instid1(SALU_CYCLE_1)
	v_dual_mov_b32 v112, s8 :: v_dual_fmac_f32 v116, v118, v125
	s_or_b32 s6, vcc_lo, s6
	s_and_not1_b32 exec_lo, exec_lo, s6
	s_cbranch_execnz .LBB86_73
; %bb.74:
	s_or_b32 exec_lo, exec_lo, s6
.LBB86_75:
	s_delay_alu instid0(SALU_CYCLE_1) | instskip(SKIP_3) | instid1(VALU_DEP_1)
	s_or_b32 exec_lo, exec_lo, s1
	v_and_b32_e32 v57, 7, v113
	s_mov_b32 s2, 0
	s_mov_b32 s1, exec_lo
	v_cmpx_ne_u32_e32 0, v57
	s_cbranch_execz .LBB86_79
; %bb.76:
	v_lshl_add_u32 v58, v112, 2, 0x60
	v_mov_b32_e32 v113, 0
.LBB86_77:                              ; =>This Inner Loop Header: Depth=1
	v_cmp_eq_u32_e32 vcc_lo, 1, v112
	ds_load_b32 v60, v58
	v_dual_add_nc_u32 v57, -1, v57 :: v_dual_add_nc_u32 v58, 4, v58
	v_cndmask_b32_e32 v59, v34, v35, vcc_lo
	v_cmp_eq_u32_e32 vcc_lo, 2, v112
	s_delay_alu instid0(VALU_DEP_2) | instskip(SKIP_1) | instid1(VALU_DEP_2)
	v_cndmask_b32_e32 v59, v59, v36, vcc_lo
	v_cmp_eq_u32_e32 vcc_lo, 3, v112
	v_cndmask_b32_e32 v59, v59, v37, vcc_lo
	v_cmp_eq_u32_e32 vcc_lo, 4, v112
	s_delay_alu instid0(VALU_DEP_2) | instskip(SKIP_1) | instid1(VALU_DEP_2)
	v_cndmask_b32_e32 v59, v59, v38, vcc_lo
	v_cmp_eq_u32_e32 vcc_lo, 5, v112
	;; [unrolled: 5-line block ×10, first 2 shown]
	v_cndmask_b32_e32 v59, v59, v55, vcc_lo
	v_cmp_eq_u32_e32 vcc_lo, 22, v112
	v_add_nc_u64_e32 v[112:113], 1, v[112:113]
	s_delay_alu instid0(VALU_DEP_3) | instskip(SKIP_2) | instid1(VALU_DEP_2)
	v_cndmask_b32_e32 v59, v59, v56, vcc_lo
	v_cmp_eq_u32_e32 vcc_lo, 0, v57
	s_wait_dscnt 0x0
	v_fmac_f32_e32 v116, v59, v60
	s_or_b32 s2, vcc_lo, s2
	s_delay_alu instid0(SALU_CYCLE_1)
	s_and_not1_b32 exec_lo, exec_lo, s2
	s_cbranch_execnz .LBB86_77
; %bb.78:
	s_or_b32 exec_lo, exec_lo, s2
.LBB86_79:
	s_delay_alu instid0(SALU_CYCLE_1)
	s_or_b32 exec_lo, exec_lo, s1
.LBB86_80:
	s_delay_alu instid0(SALU_CYCLE_1)
	s_or_b32 exec_lo, exec_lo, s5
	v_mov_b32_e32 v50, 0
	ds_load_b32 v50, v50 offset:64
	s_wait_dscnt 0x0
	v_mul_f32_e32 v50, v116, v50
.LBB86_81:
	s_or_b32 exec_lo, exec_lo, s4
	v_cmp_lt_u32_e64 s1, 15, v0
	ds_store_b32 v115, v49
	s_wait_dscnt 0x0
	s_barrier_signal -1
	s_barrier_wait -1
	s_and_saveexec_b32 s4, s1
	s_cbranch_execz .LBB86_97
; %bb.82:
	s_and_not1_b32 vcc_lo, exec_lo, s23
	s_cbranch_vccnz .LBB86_84
; %bb.83:
	v_cmp_eq_u32_e32 vcc_lo, 1, v0
	ds_load_b32 v113, v115
	v_cndmask_b32_e32 v112, v34, v35, vcc_lo
	v_cmp_eq_u32_e32 vcc_lo, 2, v0
	s_delay_alu instid0(VALU_DEP_2) | instskip(SKIP_1) | instid1(VALU_DEP_2)
	v_cndmask_b32_e32 v112, v112, v36, vcc_lo
	v_cmp_eq_u32_e32 vcc_lo, 3, v0
	v_cndmask_b32_e32 v112, v112, v37, vcc_lo
	v_cmp_eq_u32_e32 vcc_lo, 4, v0
	s_delay_alu instid0(VALU_DEP_2) | instskip(SKIP_1) | instid1(VALU_DEP_2)
	v_cndmask_b32_e32 v112, v112, v38, vcc_lo
	v_cmp_eq_u32_e32 vcc_lo, 5, v0
	;; [unrolled: 5-line block ×10, first 2 shown]
	v_cndmask_b32_e32 v112, v112, v55, vcc_lo
	v_cmp_eq_u32_e32 vcc_lo, 22, v0
	s_delay_alu instid0(VALU_DEP_2) | instskip(SKIP_1) | instid1(VALU_DEP_1)
	v_cndmask_b32_e32 v112, v112, v56, vcc_lo
	s_wait_dscnt 0x0
	v_mul_f32_e32 v116, v112, v113
	s_cbranch_execz .LBB86_85
	s_branch .LBB86_86
.LBB86_84:
                                        ; implicit-def: $vgpr116
.LBB86_85:
	ds_load_b32 v116, v115
.LBB86_86:
	s_and_saveexec_b32 s5, s0
	s_cbranch_execz .LBB86_96
; %bb.87:
	v_subrev_nc_u32_e32 v112, 17, v0
	s_delay_alu instid0(VALU_DEP_1)
	v_cmp_lt_u32_e32 vcc_lo, 6, v112
	v_mov_b32_e32 v112, 16
	s_and_saveexec_b32 s0, vcc_lo
	s_cbranch_execz .LBB86_91
; %bb.88:
	v_and_b32_e32 v112, 24, v0
	s_mov_b32 s6, 0
	s_mov_b64 s[2:3], 23
	s_movk_i32 s7, 0xa0
	s_delay_alu instid0(VALU_DEP_1)
	v_sub_nc_u32_e32 v114, 0, v112
.LBB86_89:                              ; =>This Inner Loop Header: Depth=1
	s_add_co_i32 m0, s2, -7
	v_movrels_b32_e32 v113, v34
	v_mov_b32_e32 v112, s7
	s_add_co_i32 m0, s2, -6
	s_add_co_i32 s7, s7, 32
	v_movrels_b32_e32 v117, v34
	s_add_co_i32 m0, s2, -5
	ds_load_b128 v[118:121], v112
	ds_load_b128 v[122:125], v112 offset:16
	v_movrels_b32_e32 v112, v34
	s_add_co_i32 m0, s2, -4
	s_wait_dscnt 0x1
	v_fmac_f32_e32 v116, v113, v118
	v_movrels_b32_e32 v113, v34
	s_add_co_i32 m0, s2, -3
	s_delay_alu instid0(VALU_DEP_2) | instskip(NEXT) | instid1(VALU_DEP_1)
	v_fmac_f32_e32 v116, v117, v119
	v_fmac_f32_e32 v116, v112, v120
	v_movrels_b32_e32 v112, v34
	s_add_co_i32 m0, s2, -2
	s_delay_alu instid0(VALU_DEP_2) | instskip(SKIP_3) | instid1(VALU_DEP_2)
	v_fmac_f32_e32 v116, v113, v121
	v_movrels_b32_e32 v113, v34
	s_add_co_i32 m0, s2, -1
	s_wait_dscnt 0x0
	v_fmac_f32_e32 v116, v112, v122
	v_movrels_b32_e32 v112, v34
	s_mov_b32 m0, s2
	s_add_nc_u64 s[2:3], s[2:3], 8
	v_movrels_b32_e32 v117, v34
	v_dual_fmac_f32 v116, v113, v123 :: v_dual_add_nc_u32 v113, s2, v114
	s_add_co_i32 s8, s2, -7
	s_delay_alu instid0(VALU_DEP_1) | instskip(NEXT) | instid1(VALU_DEP_2)
	v_fmac_f32_e32 v116, v112, v124
	v_cmp_eq_u32_e32 vcc_lo, 7, v113
	s_delay_alu instid0(VALU_DEP_2) | instskip(SKIP_1) | instid1(SALU_CYCLE_1)
	v_dual_mov_b32 v112, s8 :: v_dual_fmac_f32 v116, v117, v125
	s_or_b32 s6, vcc_lo, s6
	s_and_not1_b32 exec_lo, exec_lo, s6
	s_cbranch_execnz .LBB86_89
; %bb.90:
	s_or_b32 exec_lo, exec_lo, s6
.LBB86_91:
	s_delay_alu instid0(SALU_CYCLE_1) | instskip(SKIP_3) | instid1(VALU_DEP_1)
	s_or_b32 exec_lo, exec_lo, s0
	v_and_b32_e32 v57, 7, v0
	s_mov_b32 s2, 0
	s_mov_b32 s0, exec_lo
	v_cmpx_ne_u32_e32 0, v57
	s_cbranch_execz .LBB86_95
; %bb.92:
	v_lshl_add_u32 v58, v112, 2, 0x60
	v_mov_b32_e32 v113, 0
.LBB86_93:                              ; =>This Inner Loop Header: Depth=1
	v_cmp_eq_u32_e32 vcc_lo, 1, v112
	ds_load_b32 v60, v58
	v_dual_add_nc_u32 v57, -1, v57 :: v_dual_add_nc_u32 v58, 4, v58
	v_cndmask_b32_e32 v59, v34, v35, vcc_lo
	v_cmp_eq_u32_e32 vcc_lo, 2, v112
	s_delay_alu instid0(VALU_DEP_2) | instskip(SKIP_1) | instid1(VALU_DEP_2)
	v_cndmask_b32_e32 v59, v59, v36, vcc_lo
	v_cmp_eq_u32_e32 vcc_lo, 3, v112
	v_cndmask_b32_e32 v59, v59, v37, vcc_lo
	v_cmp_eq_u32_e32 vcc_lo, 4, v112
	s_delay_alu instid0(VALU_DEP_2) | instskip(SKIP_1) | instid1(VALU_DEP_2)
	v_cndmask_b32_e32 v59, v59, v38, vcc_lo
	v_cmp_eq_u32_e32 vcc_lo, 5, v112
	v_cndmask_b32_e32 v59, v59, v39, vcc_lo
	v_cmp_eq_u32_e32 vcc_lo, 6, v112
	s_delay_alu instid0(VALU_DEP_2) | instskip(SKIP_1) | instid1(VALU_DEP_2)
	v_cndmask_b32_e32 v59, v59, v40, vcc_lo
	v_cmp_eq_u32_e32 vcc_lo, 7, v112
	v_cndmask_b32_e32 v59, v59, v41, vcc_lo
	v_cmp_eq_u32_e32 vcc_lo, 8, v112
	s_delay_alu instid0(VALU_DEP_2) | instskip(SKIP_1) | instid1(VALU_DEP_2)
	v_cndmask_b32_e32 v59, v59, v42, vcc_lo
	v_cmp_eq_u32_e32 vcc_lo, 9, v112
	v_cndmask_b32_e32 v59, v59, v43, vcc_lo
	v_cmp_eq_u32_e32 vcc_lo, 10, v112
	s_delay_alu instid0(VALU_DEP_2) | instskip(SKIP_1) | instid1(VALU_DEP_2)
	v_cndmask_b32_e32 v59, v59, v44, vcc_lo
	v_cmp_eq_u32_e32 vcc_lo, 11, v112
	v_cndmask_b32_e32 v59, v59, v45, vcc_lo
	v_cmp_eq_u32_e32 vcc_lo, 12, v112
	s_delay_alu instid0(VALU_DEP_2) | instskip(SKIP_1) | instid1(VALU_DEP_2)
	v_cndmask_b32_e32 v59, v59, v46, vcc_lo
	v_cmp_eq_u32_e32 vcc_lo, 13, v112
	v_cndmask_b32_e32 v59, v59, v47, vcc_lo
	v_cmp_eq_u32_e32 vcc_lo, 14, v112
	s_delay_alu instid0(VALU_DEP_2) | instskip(SKIP_1) | instid1(VALU_DEP_2)
	v_cndmask_b32_e32 v59, v59, v48, vcc_lo
	v_cmp_eq_u32_e32 vcc_lo, 15, v112
	v_cndmask_b32_e32 v59, v59, v49, vcc_lo
	v_cmp_eq_u32_e32 vcc_lo, 16, v112
	s_delay_alu instid0(VALU_DEP_2) | instskip(SKIP_1) | instid1(VALU_DEP_2)
	v_cndmask_b32_e32 v59, v59, v50, vcc_lo
	v_cmp_eq_u32_e32 vcc_lo, 17, v112
	v_cndmask_b32_e32 v59, v59, v51, vcc_lo
	v_cmp_eq_u32_e32 vcc_lo, 18, v112
	s_delay_alu instid0(VALU_DEP_2) | instskip(SKIP_1) | instid1(VALU_DEP_2)
	v_cndmask_b32_e32 v59, v59, v52, vcc_lo
	v_cmp_eq_u32_e32 vcc_lo, 19, v112
	v_cndmask_b32_e32 v59, v59, v53, vcc_lo
	v_cmp_eq_u32_e32 vcc_lo, 20, v112
	s_delay_alu instid0(VALU_DEP_2) | instskip(SKIP_1) | instid1(VALU_DEP_2)
	v_cndmask_b32_e32 v59, v59, v54, vcc_lo
	v_cmp_eq_u32_e32 vcc_lo, 21, v112
	v_cndmask_b32_e32 v59, v59, v55, vcc_lo
	v_cmp_eq_u32_e32 vcc_lo, 22, v112
	v_add_nc_u64_e32 v[112:113], 1, v[112:113]
	s_delay_alu instid0(VALU_DEP_3) | instskip(SKIP_2) | instid1(VALU_DEP_2)
	v_cndmask_b32_e32 v59, v59, v56, vcc_lo
	v_cmp_eq_u32_e32 vcc_lo, 0, v57
	s_wait_dscnt 0x0
	v_fmac_f32_e32 v116, v59, v60
	s_or_b32 s2, vcc_lo, s2
	s_delay_alu instid0(SALU_CYCLE_1)
	s_and_not1_b32 exec_lo, exec_lo, s2
	s_cbranch_execnz .LBB86_93
; %bb.94:
	s_or_b32 exec_lo, exec_lo, s2
.LBB86_95:
	s_delay_alu instid0(SALU_CYCLE_1)
	s_or_b32 exec_lo, exec_lo, s0
.LBB86_96:
	s_delay_alu instid0(SALU_CYCLE_1)
	s_or_b32 exec_lo, exec_lo, s5
	v_mov_b32_e32 v49, 0
	ds_load_b32 v49, v49 offset:60
	s_wait_dscnt 0x0
	v_mul_f32_e32 v49, v116, v49
.LBB86_97:
	s_or_b32 exec_lo, exec_lo, s4
	v_cmp_lt_u32_e64 s0, 14, v0
	ds_store_b32 v115, v48
	s_wait_dscnt 0x0
	s_barrier_signal -1
	s_barrier_wait -1
	s_and_saveexec_b32 s4, s0
	s_cbranch_execz .LBB86_113
; %bb.98:
	s_and_not1_b32 vcc_lo, exec_lo, s23
	s_cbranch_vccnz .LBB86_100
; %bb.99:
	v_cmp_eq_u32_e32 vcc_lo, 1, v0
	ds_load_b32 v113, v115
	v_cndmask_b32_e32 v112, v34, v35, vcc_lo
	v_cmp_eq_u32_e32 vcc_lo, 2, v0
	s_delay_alu instid0(VALU_DEP_2) | instskip(SKIP_1) | instid1(VALU_DEP_2)
	v_cndmask_b32_e32 v112, v112, v36, vcc_lo
	v_cmp_eq_u32_e32 vcc_lo, 3, v0
	v_cndmask_b32_e32 v112, v112, v37, vcc_lo
	v_cmp_eq_u32_e32 vcc_lo, 4, v0
	s_delay_alu instid0(VALU_DEP_2) | instskip(SKIP_1) | instid1(VALU_DEP_2)
	v_cndmask_b32_e32 v112, v112, v38, vcc_lo
	v_cmp_eq_u32_e32 vcc_lo, 5, v0
	;; [unrolled: 5-line block ×10, first 2 shown]
	v_cndmask_b32_e32 v112, v112, v55, vcc_lo
	v_cmp_eq_u32_e32 vcc_lo, 22, v0
	s_delay_alu instid0(VALU_DEP_2) | instskip(SKIP_1) | instid1(VALU_DEP_1)
	v_cndmask_b32_e32 v112, v112, v56, vcc_lo
	s_wait_dscnt 0x0
	v_mul_f32_e32 v116, v112, v113
	s_cbranch_execz .LBB86_101
	s_branch .LBB86_102
.LBB86_100:
                                        ; implicit-def: $vgpr116
.LBB86_101:
	ds_load_b32 v116, v115
.LBB86_102:
	s_and_saveexec_b32 s5, s1
	s_cbranch_execz .LBB86_112
; %bb.103:
	v_dual_add_nc_u32 v112, -16, v0 :: v_dual_add_nc_u32 v113, -15, v0
	s_delay_alu instid0(VALU_DEP_1)
	v_cmp_lt_u32_e32 vcc_lo, 6, v112
	v_mov_b32_e32 v112, 15
	s_and_saveexec_b32 s1, vcc_lo
	s_cbranch_execz .LBB86_107
; %bb.104:
	v_and_b32_e32 v112, -8, v113
	s_mov_b32 s6, 0
	s_mov_b64 s[2:3], 22
	s_movk_i32 s7, 0x9c
	s_delay_alu instid0(VALU_DEP_1)
	v_sub_nc_u32_e32 v114, 0, v112
.LBB86_105:                             ; =>This Inner Loop Header: Depth=1
	s_add_co_i32 m0, s2, -7
	v_movrels_b32_e32 v117, v34
	v_mov_b32_e32 v112, s7
	s_add_co_i32 m0, s2, -6
	s_add_co_i32 s7, s7, 32
	v_movrels_b32_e32 v126, v34
	ds_load_2addr_b32 v[118:119], v112 offset1:1
	ds_load_2addr_b32 v[120:121], v112 offset0:2 offset1:3
	s_add_co_i32 m0, s2, -5
	s_wait_dscnt 0x1
	v_fmac_f32_e32 v116, v117, v118
	ds_load_2addr_b32 v[122:123], v112 offset0:4 offset1:5
	ds_load_2addr_b32 v[124:125], v112 offset0:6 offset1:7
	v_movrels_b32_e32 v112, v34
	s_add_co_i32 m0, s2, -4
	v_fmac_f32_e32 v116, v126, v119
	v_movrels_b32_e32 v117, v34
	s_add_co_i32 m0, s2, -3
	s_wait_dscnt 0x2
	s_delay_alu instid0(VALU_DEP_2) | instskip(SKIP_2) | instid1(VALU_DEP_2)
	v_fmac_f32_e32 v116, v112, v120
	v_movrels_b32_e32 v112, v34
	s_add_co_i32 m0, s2, -2
	v_fmac_f32_e32 v116, v117, v121
	v_movrels_b32_e32 v117, v34
	s_add_co_i32 m0, s2, -1
	s_wait_dscnt 0x1
	s_delay_alu instid0(VALU_DEP_2)
	v_fmac_f32_e32 v116, v112, v122
	v_movrels_b32_e32 v112, v34
	s_mov_b32 m0, s2
	s_add_nc_u64 s[2:3], s[2:3], 8
	v_movrels_b32_e32 v118, v34
	v_dual_fmac_f32 v116, v117, v123 :: v_dual_add_nc_u32 v117, s2, v114
	s_add_co_i32 s8, s2, -7
	s_wait_dscnt 0x0
	s_delay_alu instid0(VALU_DEP_1) | instskip(NEXT) | instid1(VALU_DEP_2)
	v_fmac_f32_e32 v116, v112, v124
	v_cmp_eq_u32_e32 vcc_lo, 22, v117
	s_delay_alu instid0(VALU_DEP_2) | instskip(SKIP_1) | instid1(SALU_CYCLE_1)
	v_dual_mov_b32 v112, s8 :: v_dual_fmac_f32 v116, v118, v125
	s_or_b32 s6, vcc_lo, s6
	s_and_not1_b32 exec_lo, exec_lo, s6
	s_cbranch_execnz .LBB86_105
; %bb.106:
	s_or_b32 exec_lo, exec_lo, s6
.LBB86_107:
	s_delay_alu instid0(SALU_CYCLE_1) | instskip(SKIP_3) | instid1(VALU_DEP_1)
	s_or_b32 exec_lo, exec_lo, s1
	v_and_b32_e32 v57, 7, v113
	s_mov_b32 s2, 0
	s_mov_b32 s1, exec_lo
	v_cmpx_ne_u32_e32 0, v57
	s_cbranch_execz .LBB86_111
; %bb.108:
	v_lshl_add_u32 v58, v112, 2, 0x60
	v_mov_b32_e32 v113, 0
.LBB86_109:                             ; =>This Inner Loop Header: Depth=1
	v_cmp_eq_u32_e32 vcc_lo, 1, v112
	ds_load_b32 v60, v58
	v_dual_add_nc_u32 v57, -1, v57 :: v_dual_add_nc_u32 v58, 4, v58
	v_cndmask_b32_e32 v59, v34, v35, vcc_lo
	v_cmp_eq_u32_e32 vcc_lo, 2, v112
	s_delay_alu instid0(VALU_DEP_2) | instskip(SKIP_1) | instid1(VALU_DEP_2)
	v_cndmask_b32_e32 v59, v59, v36, vcc_lo
	v_cmp_eq_u32_e32 vcc_lo, 3, v112
	v_cndmask_b32_e32 v59, v59, v37, vcc_lo
	v_cmp_eq_u32_e32 vcc_lo, 4, v112
	s_delay_alu instid0(VALU_DEP_2) | instskip(SKIP_1) | instid1(VALU_DEP_2)
	v_cndmask_b32_e32 v59, v59, v38, vcc_lo
	v_cmp_eq_u32_e32 vcc_lo, 5, v112
	;; [unrolled: 5-line block ×10, first 2 shown]
	v_cndmask_b32_e32 v59, v59, v55, vcc_lo
	v_cmp_eq_u32_e32 vcc_lo, 22, v112
	v_add_nc_u64_e32 v[112:113], 1, v[112:113]
	s_delay_alu instid0(VALU_DEP_3) | instskip(SKIP_2) | instid1(VALU_DEP_2)
	v_cndmask_b32_e32 v59, v59, v56, vcc_lo
	v_cmp_eq_u32_e32 vcc_lo, 0, v57
	s_wait_dscnt 0x0
	v_fmac_f32_e32 v116, v59, v60
	s_or_b32 s2, vcc_lo, s2
	s_delay_alu instid0(SALU_CYCLE_1)
	s_and_not1_b32 exec_lo, exec_lo, s2
	s_cbranch_execnz .LBB86_109
; %bb.110:
	s_or_b32 exec_lo, exec_lo, s2
.LBB86_111:
	s_delay_alu instid0(SALU_CYCLE_1)
	s_or_b32 exec_lo, exec_lo, s1
.LBB86_112:
	s_delay_alu instid0(SALU_CYCLE_1)
	s_or_b32 exec_lo, exec_lo, s5
	v_mov_b32_e32 v48, 0
	ds_load_b32 v48, v48 offset:56
	s_wait_dscnt 0x0
	v_mul_f32_e32 v48, v116, v48
.LBB86_113:
	s_or_b32 exec_lo, exec_lo, s4
	v_cmp_lt_u32_e64 s1, 13, v0
	ds_store_b32 v115, v47
	s_wait_dscnt 0x0
	s_barrier_signal -1
	s_barrier_wait -1
	s_and_saveexec_b32 s4, s1
	s_cbranch_execz .LBB86_129
; %bb.114:
	s_and_not1_b32 vcc_lo, exec_lo, s23
	s_cbranch_vccnz .LBB86_116
; %bb.115:
	v_cmp_eq_u32_e32 vcc_lo, 1, v0
	ds_load_b32 v113, v115
	v_cndmask_b32_e32 v112, v34, v35, vcc_lo
	v_cmp_eq_u32_e32 vcc_lo, 2, v0
	s_delay_alu instid0(VALU_DEP_2) | instskip(SKIP_1) | instid1(VALU_DEP_2)
	v_cndmask_b32_e32 v112, v112, v36, vcc_lo
	v_cmp_eq_u32_e32 vcc_lo, 3, v0
	v_cndmask_b32_e32 v112, v112, v37, vcc_lo
	v_cmp_eq_u32_e32 vcc_lo, 4, v0
	s_delay_alu instid0(VALU_DEP_2) | instskip(SKIP_1) | instid1(VALU_DEP_2)
	v_cndmask_b32_e32 v112, v112, v38, vcc_lo
	v_cmp_eq_u32_e32 vcc_lo, 5, v0
	;; [unrolled: 5-line block ×10, first 2 shown]
	v_cndmask_b32_e32 v112, v112, v55, vcc_lo
	v_cmp_eq_u32_e32 vcc_lo, 22, v0
	s_delay_alu instid0(VALU_DEP_2) | instskip(SKIP_1) | instid1(VALU_DEP_1)
	v_cndmask_b32_e32 v112, v112, v56, vcc_lo
	s_wait_dscnt 0x0
	v_mul_f32_e32 v116, v112, v113
	s_cbranch_execz .LBB86_117
	s_branch .LBB86_118
.LBB86_116:
                                        ; implicit-def: $vgpr116
.LBB86_117:
	ds_load_b32 v116, v115
.LBB86_118:
	s_and_saveexec_b32 s5, s0
	s_cbranch_execz .LBB86_128
; %bb.119:
	v_dual_add_nc_u32 v112, -15, v0 :: v_dual_add_nc_u32 v113, -14, v0
	s_delay_alu instid0(VALU_DEP_1)
	v_cmp_lt_u32_e32 vcc_lo, 6, v112
	v_mov_b32_e32 v112, 14
	s_and_saveexec_b32 s0, vcc_lo
	s_cbranch_execz .LBB86_123
; %bb.120:
	v_and_b32_e32 v112, -8, v113
	s_mov_b32 s6, 0
	s_mov_b64 s[2:3], 21
	s_movk_i32 s7, 0x98
	s_delay_alu instid0(VALU_DEP_1)
	v_sub_nc_u32_e32 v114, 0, v112
.LBB86_121:                             ; =>This Inner Loop Header: Depth=1
	s_add_co_i32 m0, s2, -7
	v_movrels_b32_e32 v117, v34
	v_mov_b32_e32 v112, s7
	s_add_co_i32 m0, s2, -6
	s_add_co_i32 s7, s7, 32
	v_movrels_b32_e32 v126, v34
	s_add_co_i32 m0, s2, -5
	ds_load_2addr_b64 v[118:121], v112 offset1:1
	ds_load_2addr_b64 v[122:125], v112 offset0:2 offset1:3
	v_movrels_b32_e32 v112, v34
	s_add_co_i32 m0, s2, -4
	s_wait_dscnt 0x1
	v_fmac_f32_e32 v116, v117, v118
	v_movrels_b32_e32 v117, v34
	s_add_co_i32 m0, s2, -3
	s_delay_alu instid0(VALU_DEP_2) | instskip(NEXT) | instid1(VALU_DEP_1)
	v_fmac_f32_e32 v116, v126, v119
	v_fmac_f32_e32 v116, v112, v120
	v_movrels_b32_e32 v112, v34
	s_add_co_i32 m0, s2, -2
	s_delay_alu instid0(VALU_DEP_2) | instskip(SKIP_3) | instid1(VALU_DEP_2)
	v_fmac_f32_e32 v116, v117, v121
	v_movrels_b32_e32 v117, v34
	s_add_co_i32 m0, s2, -1
	s_wait_dscnt 0x0
	v_fmac_f32_e32 v116, v112, v122
	v_movrels_b32_e32 v112, v34
	s_mov_b32 m0, s2
	s_add_nc_u64 s[2:3], s[2:3], 8
	v_movrels_b32_e32 v118, v34
	v_dual_fmac_f32 v116, v117, v123 :: v_dual_add_nc_u32 v117, s2, v114
	s_add_co_i32 s8, s2, -7
	s_delay_alu instid0(VALU_DEP_1) | instskip(NEXT) | instid1(VALU_DEP_2)
	v_fmac_f32_e32 v116, v112, v124
	v_cmp_eq_u32_e32 vcc_lo, 21, v117
	s_delay_alu instid0(VALU_DEP_2) | instskip(SKIP_1) | instid1(SALU_CYCLE_1)
	v_dual_mov_b32 v112, s8 :: v_dual_fmac_f32 v116, v118, v125
	s_or_b32 s6, vcc_lo, s6
	s_and_not1_b32 exec_lo, exec_lo, s6
	s_cbranch_execnz .LBB86_121
; %bb.122:
	s_or_b32 exec_lo, exec_lo, s6
.LBB86_123:
	s_delay_alu instid0(SALU_CYCLE_1) | instskip(SKIP_3) | instid1(VALU_DEP_1)
	s_or_b32 exec_lo, exec_lo, s0
	v_and_b32_e32 v57, 7, v113
	s_mov_b32 s2, 0
	s_mov_b32 s0, exec_lo
	v_cmpx_ne_u32_e32 0, v57
	s_cbranch_execz .LBB86_127
; %bb.124:
	v_lshl_add_u32 v58, v112, 2, 0x60
	v_mov_b32_e32 v113, 0
.LBB86_125:                             ; =>This Inner Loop Header: Depth=1
	v_cmp_eq_u32_e32 vcc_lo, 1, v112
	ds_load_b32 v60, v58
	v_dual_add_nc_u32 v57, -1, v57 :: v_dual_add_nc_u32 v58, 4, v58
	v_cndmask_b32_e32 v59, v34, v35, vcc_lo
	v_cmp_eq_u32_e32 vcc_lo, 2, v112
	s_delay_alu instid0(VALU_DEP_2) | instskip(SKIP_1) | instid1(VALU_DEP_2)
	v_cndmask_b32_e32 v59, v59, v36, vcc_lo
	v_cmp_eq_u32_e32 vcc_lo, 3, v112
	v_cndmask_b32_e32 v59, v59, v37, vcc_lo
	v_cmp_eq_u32_e32 vcc_lo, 4, v112
	s_delay_alu instid0(VALU_DEP_2) | instskip(SKIP_1) | instid1(VALU_DEP_2)
	v_cndmask_b32_e32 v59, v59, v38, vcc_lo
	v_cmp_eq_u32_e32 vcc_lo, 5, v112
	;; [unrolled: 5-line block ×10, first 2 shown]
	v_cndmask_b32_e32 v59, v59, v55, vcc_lo
	v_cmp_eq_u32_e32 vcc_lo, 22, v112
	v_add_nc_u64_e32 v[112:113], 1, v[112:113]
	s_delay_alu instid0(VALU_DEP_3) | instskip(SKIP_2) | instid1(VALU_DEP_2)
	v_cndmask_b32_e32 v59, v59, v56, vcc_lo
	v_cmp_eq_u32_e32 vcc_lo, 0, v57
	s_wait_dscnt 0x0
	v_fmac_f32_e32 v116, v59, v60
	s_or_b32 s2, vcc_lo, s2
	s_delay_alu instid0(SALU_CYCLE_1)
	s_and_not1_b32 exec_lo, exec_lo, s2
	s_cbranch_execnz .LBB86_125
; %bb.126:
	s_or_b32 exec_lo, exec_lo, s2
.LBB86_127:
	s_delay_alu instid0(SALU_CYCLE_1)
	s_or_b32 exec_lo, exec_lo, s0
.LBB86_128:
	s_delay_alu instid0(SALU_CYCLE_1)
	s_or_b32 exec_lo, exec_lo, s5
	v_mov_b32_e32 v47, 0
	ds_load_b32 v47, v47 offset:52
	s_wait_dscnt 0x0
	v_mul_f32_e32 v47, v116, v47
.LBB86_129:
	s_or_b32 exec_lo, exec_lo, s4
	v_cmp_lt_u32_e64 s0, 12, v0
	ds_store_b32 v115, v46
	s_wait_dscnt 0x0
	s_barrier_signal -1
	s_barrier_wait -1
	s_and_saveexec_b32 s4, s0
	s_cbranch_execz .LBB86_145
; %bb.130:
	s_and_not1_b32 vcc_lo, exec_lo, s23
	s_cbranch_vccnz .LBB86_132
; %bb.131:
	v_cmp_eq_u32_e32 vcc_lo, 1, v0
	ds_load_b32 v113, v115
	v_cndmask_b32_e32 v112, v34, v35, vcc_lo
	v_cmp_eq_u32_e32 vcc_lo, 2, v0
	s_delay_alu instid0(VALU_DEP_2) | instskip(SKIP_1) | instid1(VALU_DEP_2)
	v_cndmask_b32_e32 v112, v112, v36, vcc_lo
	v_cmp_eq_u32_e32 vcc_lo, 3, v0
	v_cndmask_b32_e32 v112, v112, v37, vcc_lo
	v_cmp_eq_u32_e32 vcc_lo, 4, v0
	s_delay_alu instid0(VALU_DEP_2) | instskip(SKIP_1) | instid1(VALU_DEP_2)
	v_cndmask_b32_e32 v112, v112, v38, vcc_lo
	v_cmp_eq_u32_e32 vcc_lo, 5, v0
	;; [unrolled: 5-line block ×10, first 2 shown]
	v_cndmask_b32_e32 v112, v112, v55, vcc_lo
	v_cmp_eq_u32_e32 vcc_lo, 22, v0
	s_delay_alu instid0(VALU_DEP_2) | instskip(SKIP_1) | instid1(VALU_DEP_1)
	v_cndmask_b32_e32 v112, v112, v56, vcc_lo
	s_wait_dscnt 0x0
	v_mul_f32_e32 v116, v112, v113
	s_cbranch_execz .LBB86_133
	s_branch .LBB86_134
.LBB86_132:
                                        ; implicit-def: $vgpr116
.LBB86_133:
	ds_load_b32 v116, v115
.LBB86_134:
	s_and_saveexec_b32 s5, s1
	s_cbranch_execz .LBB86_144
; %bb.135:
	v_dual_add_nc_u32 v112, -14, v0 :: v_dual_add_nc_u32 v113, -13, v0
	s_delay_alu instid0(VALU_DEP_1)
	v_cmp_lt_u32_e32 vcc_lo, 6, v112
	v_mov_b32_e32 v112, 13
	s_and_saveexec_b32 s1, vcc_lo
	s_cbranch_execz .LBB86_139
; %bb.136:
	v_and_b32_e32 v112, -8, v113
	s_mov_b32 s6, 0
	s_mov_b64 s[2:3], 20
	s_movk_i32 s7, 0x94
	s_delay_alu instid0(VALU_DEP_1)
	v_sub_nc_u32_e32 v114, 0, v112
.LBB86_137:                             ; =>This Inner Loop Header: Depth=1
	s_add_co_i32 m0, s2, -7
	v_movrels_b32_e32 v117, v34
	v_mov_b32_e32 v112, s7
	s_add_co_i32 m0, s2, -6
	s_add_co_i32 s7, s7, 32
	v_movrels_b32_e32 v126, v34
	ds_load_2addr_b32 v[118:119], v112 offset1:1
	ds_load_2addr_b32 v[120:121], v112 offset0:2 offset1:3
	s_add_co_i32 m0, s2, -5
	s_wait_dscnt 0x1
	v_fmac_f32_e32 v116, v117, v118
	ds_load_2addr_b32 v[122:123], v112 offset0:4 offset1:5
	ds_load_2addr_b32 v[124:125], v112 offset0:6 offset1:7
	v_movrels_b32_e32 v112, v34
	s_add_co_i32 m0, s2, -4
	v_fmac_f32_e32 v116, v126, v119
	v_movrels_b32_e32 v117, v34
	s_add_co_i32 m0, s2, -3
	s_wait_dscnt 0x2
	s_delay_alu instid0(VALU_DEP_2) | instskip(SKIP_2) | instid1(VALU_DEP_2)
	v_fmac_f32_e32 v116, v112, v120
	v_movrels_b32_e32 v112, v34
	s_add_co_i32 m0, s2, -2
	v_fmac_f32_e32 v116, v117, v121
	v_movrels_b32_e32 v117, v34
	s_add_co_i32 m0, s2, -1
	s_wait_dscnt 0x1
	s_delay_alu instid0(VALU_DEP_2)
	v_fmac_f32_e32 v116, v112, v122
	v_movrels_b32_e32 v112, v34
	s_mov_b32 m0, s2
	s_add_nc_u64 s[2:3], s[2:3], 8
	v_movrels_b32_e32 v118, v34
	v_dual_fmac_f32 v116, v117, v123 :: v_dual_add_nc_u32 v117, s2, v114
	s_add_co_i32 s8, s2, -7
	s_wait_dscnt 0x0
	s_delay_alu instid0(VALU_DEP_1) | instskip(NEXT) | instid1(VALU_DEP_2)
	v_fmac_f32_e32 v116, v112, v124
	v_cmp_eq_u32_e32 vcc_lo, 20, v117
	s_delay_alu instid0(VALU_DEP_2) | instskip(SKIP_1) | instid1(SALU_CYCLE_1)
	v_dual_mov_b32 v112, s8 :: v_dual_fmac_f32 v116, v118, v125
	s_or_b32 s6, vcc_lo, s6
	s_and_not1_b32 exec_lo, exec_lo, s6
	s_cbranch_execnz .LBB86_137
; %bb.138:
	s_or_b32 exec_lo, exec_lo, s6
.LBB86_139:
	s_delay_alu instid0(SALU_CYCLE_1) | instskip(SKIP_3) | instid1(VALU_DEP_1)
	s_or_b32 exec_lo, exec_lo, s1
	v_and_b32_e32 v57, 7, v113
	s_mov_b32 s2, 0
	s_mov_b32 s1, exec_lo
	v_cmpx_ne_u32_e32 0, v57
	s_cbranch_execz .LBB86_143
; %bb.140:
	v_lshl_add_u32 v58, v112, 2, 0x60
	v_mov_b32_e32 v113, 0
.LBB86_141:                             ; =>This Inner Loop Header: Depth=1
	v_cmp_eq_u32_e32 vcc_lo, 1, v112
	ds_load_b32 v60, v58
	v_dual_add_nc_u32 v57, -1, v57 :: v_dual_add_nc_u32 v58, 4, v58
	v_cndmask_b32_e32 v59, v34, v35, vcc_lo
	v_cmp_eq_u32_e32 vcc_lo, 2, v112
	s_delay_alu instid0(VALU_DEP_2) | instskip(SKIP_1) | instid1(VALU_DEP_2)
	v_cndmask_b32_e32 v59, v59, v36, vcc_lo
	v_cmp_eq_u32_e32 vcc_lo, 3, v112
	v_cndmask_b32_e32 v59, v59, v37, vcc_lo
	v_cmp_eq_u32_e32 vcc_lo, 4, v112
	s_delay_alu instid0(VALU_DEP_2) | instskip(SKIP_1) | instid1(VALU_DEP_2)
	v_cndmask_b32_e32 v59, v59, v38, vcc_lo
	v_cmp_eq_u32_e32 vcc_lo, 5, v112
	;; [unrolled: 5-line block ×10, first 2 shown]
	v_cndmask_b32_e32 v59, v59, v55, vcc_lo
	v_cmp_eq_u32_e32 vcc_lo, 22, v112
	v_add_nc_u64_e32 v[112:113], 1, v[112:113]
	s_delay_alu instid0(VALU_DEP_3) | instskip(SKIP_2) | instid1(VALU_DEP_2)
	v_cndmask_b32_e32 v59, v59, v56, vcc_lo
	v_cmp_eq_u32_e32 vcc_lo, 0, v57
	s_wait_dscnt 0x0
	v_fmac_f32_e32 v116, v59, v60
	s_or_b32 s2, vcc_lo, s2
	s_delay_alu instid0(SALU_CYCLE_1)
	s_and_not1_b32 exec_lo, exec_lo, s2
	s_cbranch_execnz .LBB86_141
; %bb.142:
	s_or_b32 exec_lo, exec_lo, s2
.LBB86_143:
	s_delay_alu instid0(SALU_CYCLE_1)
	s_or_b32 exec_lo, exec_lo, s1
.LBB86_144:
	s_delay_alu instid0(SALU_CYCLE_1)
	s_or_b32 exec_lo, exec_lo, s5
	v_mov_b32_e32 v46, 0
	ds_load_b32 v46, v46 offset:48
	s_wait_dscnt 0x0
	v_mul_f32_e32 v46, v116, v46
.LBB86_145:
	s_or_b32 exec_lo, exec_lo, s4
	v_cmp_lt_u32_e64 s1, 11, v0
	ds_store_b32 v115, v45
	s_wait_dscnt 0x0
	s_barrier_signal -1
	s_barrier_wait -1
	s_and_saveexec_b32 s4, s1
	s_cbranch_execz .LBB86_161
; %bb.146:
	s_and_not1_b32 vcc_lo, exec_lo, s23
	s_cbranch_vccnz .LBB86_148
; %bb.147:
	v_cmp_eq_u32_e32 vcc_lo, 1, v0
	ds_load_b32 v113, v115
	v_cndmask_b32_e32 v112, v34, v35, vcc_lo
	v_cmp_eq_u32_e32 vcc_lo, 2, v0
	s_delay_alu instid0(VALU_DEP_2) | instskip(SKIP_1) | instid1(VALU_DEP_2)
	v_cndmask_b32_e32 v112, v112, v36, vcc_lo
	v_cmp_eq_u32_e32 vcc_lo, 3, v0
	v_cndmask_b32_e32 v112, v112, v37, vcc_lo
	v_cmp_eq_u32_e32 vcc_lo, 4, v0
	s_delay_alu instid0(VALU_DEP_2) | instskip(SKIP_1) | instid1(VALU_DEP_2)
	v_cndmask_b32_e32 v112, v112, v38, vcc_lo
	v_cmp_eq_u32_e32 vcc_lo, 5, v0
	;; [unrolled: 5-line block ×10, first 2 shown]
	v_cndmask_b32_e32 v112, v112, v55, vcc_lo
	v_cmp_eq_u32_e32 vcc_lo, 22, v0
	s_delay_alu instid0(VALU_DEP_2) | instskip(SKIP_1) | instid1(VALU_DEP_1)
	v_cndmask_b32_e32 v112, v112, v56, vcc_lo
	s_wait_dscnt 0x0
	v_mul_f32_e32 v116, v112, v113
	s_cbranch_execz .LBB86_149
	s_branch .LBB86_150
.LBB86_148:
                                        ; implicit-def: $vgpr116
.LBB86_149:
	ds_load_b32 v116, v115
.LBB86_150:
	s_and_saveexec_b32 s5, s0
	s_cbranch_execz .LBB86_160
; %bb.151:
	v_dual_add_nc_u32 v112, -13, v0 :: v_dual_add_nc_u32 v113, -12, v0
	s_delay_alu instid0(VALU_DEP_1)
	v_cmp_lt_u32_e32 vcc_lo, 6, v112
	v_mov_b32_e32 v112, 12
	s_and_saveexec_b32 s0, vcc_lo
	s_cbranch_execz .LBB86_155
; %bb.152:
	v_and_b32_e32 v112, -8, v113
	s_mov_b32 s6, 0
	s_mov_b64 s[2:3], 19
	s_movk_i32 s7, 0x90
	s_delay_alu instid0(VALU_DEP_1)
	v_sub_nc_u32_e32 v114, 0, v112
.LBB86_153:                             ; =>This Inner Loop Header: Depth=1
	s_add_co_i32 m0, s2, -7
	v_movrels_b32_e32 v117, v34
	v_mov_b32_e32 v112, s7
	s_add_co_i32 m0, s2, -6
	s_add_co_i32 s7, s7, 32
	v_movrels_b32_e32 v126, v34
	s_add_co_i32 m0, s2, -5
	ds_load_b128 v[118:121], v112
	ds_load_b128 v[122:125], v112 offset:16
	v_movrels_b32_e32 v112, v34
	s_add_co_i32 m0, s2, -4
	s_wait_dscnt 0x1
	v_fmac_f32_e32 v116, v117, v118
	v_movrels_b32_e32 v117, v34
	s_add_co_i32 m0, s2, -3
	s_delay_alu instid0(VALU_DEP_2) | instskip(NEXT) | instid1(VALU_DEP_1)
	v_fmac_f32_e32 v116, v126, v119
	v_fmac_f32_e32 v116, v112, v120
	v_movrels_b32_e32 v112, v34
	s_add_co_i32 m0, s2, -2
	s_delay_alu instid0(VALU_DEP_2) | instskip(SKIP_3) | instid1(VALU_DEP_2)
	v_fmac_f32_e32 v116, v117, v121
	v_movrels_b32_e32 v117, v34
	s_add_co_i32 m0, s2, -1
	s_wait_dscnt 0x0
	v_fmac_f32_e32 v116, v112, v122
	v_movrels_b32_e32 v112, v34
	s_mov_b32 m0, s2
	s_add_nc_u64 s[2:3], s[2:3], 8
	v_movrels_b32_e32 v118, v34
	v_dual_fmac_f32 v116, v117, v123 :: v_dual_add_nc_u32 v117, s2, v114
	s_add_co_i32 s8, s2, -7
	s_delay_alu instid0(VALU_DEP_1) | instskip(NEXT) | instid1(VALU_DEP_2)
	v_fmac_f32_e32 v116, v112, v124
	v_cmp_eq_u32_e32 vcc_lo, 19, v117
	s_delay_alu instid0(VALU_DEP_2) | instskip(SKIP_1) | instid1(SALU_CYCLE_1)
	v_dual_mov_b32 v112, s8 :: v_dual_fmac_f32 v116, v118, v125
	s_or_b32 s6, vcc_lo, s6
	s_and_not1_b32 exec_lo, exec_lo, s6
	s_cbranch_execnz .LBB86_153
; %bb.154:
	s_or_b32 exec_lo, exec_lo, s6
.LBB86_155:
	s_delay_alu instid0(SALU_CYCLE_1) | instskip(SKIP_3) | instid1(VALU_DEP_1)
	s_or_b32 exec_lo, exec_lo, s0
	v_and_b32_e32 v57, 7, v113
	s_mov_b32 s2, 0
	s_mov_b32 s0, exec_lo
	v_cmpx_ne_u32_e32 0, v57
	s_cbranch_execz .LBB86_159
; %bb.156:
	v_lshl_add_u32 v58, v112, 2, 0x60
	v_mov_b32_e32 v113, 0
.LBB86_157:                             ; =>This Inner Loop Header: Depth=1
	v_cmp_eq_u32_e32 vcc_lo, 1, v112
	ds_load_b32 v60, v58
	v_dual_add_nc_u32 v57, -1, v57 :: v_dual_add_nc_u32 v58, 4, v58
	v_cndmask_b32_e32 v59, v34, v35, vcc_lo
	v_cmp_eq_u32_e32 vcc_lo, 2, v112
	s_delay_alu instid0(VALU_DEP_2) | instskip(SKIP_1) | instid1(VALU_DEP_2)
	v_cndmask_b32_e32 v59, v59, v36, vcc_lo
	v_cmp_eq_u32_e32 vcc_lo, 3, v112
	v_cndmask_b32_e32 v59, v59, v37, vcc_lo
	v_cmp_eq_u32_e32 vcc_lo, 4, v112
	s_delay_alu instid0(VALU_DEP_2) | instskip(SKIP_1) | instid1(VALU_DEP_2)
	v_cndmask_b32_e32 v59, v59, v38, vcc_lo
	v_cmp_eq_u32_e32 vcc_lo, 5, v112
	;; [unrolled: 5-line block ×10, first 2 shown]
	v_cndmask_b32_e32 v59, v59, v55, vcc_lo
	v_cmp_eq_u32_e32 vcc_lo, 22, v112
	v_add_nc_u64_e32 v[112:113], 1, v[112:113]
	s_delay_alu instid0(VALU_DEP_3) | instskip(SKIP_2) | instid1(VALU_DEP_2)
	v_cndmask_b32_e32 v59, v59, v56, vcc_lo
	v_cmp_eq_u32_e32 vcc_lo, 0, v57
	s_wait_dscnt 0x0
	v_fmac_f32_e32 v116, v59, v60
	s_or_b32 s2, vcc_lo, s2
	s_delay_alu instid0(SALU_CYCLE_1)
	s_and_not1_b32 exec_lo, exec_lo, s2
	s_cbranch_execnz .LBB86_157
; %bb.158:
	s_or_b32 exec_lo, exec_lo, s2
.LBB86_159:
	s_delay_alu instid0(SALU_CYCLE_1)
	s_or_b32 exec_lo, exec_lo, s0
.LBB86_160:
	s_delay_alu instid0(SALU_CYCLE_1)
	s_or_b32 exec_lo, exec_lo, s5
	v_mov_b32_e32 v45, 0
	ds_load_b32 v45, v45 offset:44
	s_wait_dscnt 0x0
	v_mul_f32_e32 v45, v116, v45
.LBB86_161:
	s_or_b32 exec_lo, exec_lo, s4
	v_cmp_lt_u32_e64 s0, 10, v0
	ds_store_b32 v115, v44
	s_wait_dscnt 0x0
	s_barrier_signal -1
	s_barrier_wait -1
	s_and_saveexec_b32 s4, s0
	s_cbranch_execz .LBB86_177
; %bb.162:
	s_and_not1_b32 vcc_lo, exec_lo, s23
	s_cbranch_vccnz .LBB86_164
; %bb.163:
	v_cmp_eq_u32_e32 vcc_lo, 1, v0
	ds_load_b32 v113, v115
	v_cndmask_b32_e32 v112, v34, v35, vcc_lo
	v_cmp_eq_u32_e32 vcc_lo, 2, v0
	s_delay_alu instid0(VALU_DEP_2) | instskip(SKIP_1) | instid1(VALU_DEP_2)
	v_cndmask_b32_e32 v112, v112, v36, vcc_lo
	v_cmp_eq_u32_e32 vcc_lo, 3, v0
	v_cndmask_b32_e32 v112, v112, v37, vcc_lo
	v_cmp_eq_u32_e32 vcc_lo, 4, v0
	s_delay_alu instid0(VALU_DEP_2) | instskip(SKIP_1) | instid1(VALU_DEP_2)
	v_cndmask_b32_e32 v112, v112, v38, vcc_lo
	v_cmp_eq_u32_e32 vcc_lo, 5, v0
	;; [unrolled: 5-line block ×10, first 2 shown]
	v_cndmask_b32_e32 v112, v112, v55, vcc_lo
	v_cmp_eq_u32_e32 vcc_lo, 22, v0
	s_delay_alu instid0(VALU_DEP_2) | instskip(SKIP_1) | instid1(VALU_DEP_1)
	v_cndmask_b32_e32 v112, v112, v56, vcc_lo
	s_wait_dscnt 0x0
	v_mul_f32_e32 v116, v112, v113
	s_cbranch_execz .LBB86_165
	s_branch .LBB86_166
.LBB86_164:
                                        ; implicit-def: $vgpr116
.LBB86_165:
	ds_load_b32 v116, v115
.LBB86_166:
	s_and_saveexec_b32 s5, s1
	s_cbranch_execz .LBB86_176
; %bb.167:
	v_dual_add_nc_u32 v112, -12, v0 :: v_dual_add_nc_u32 v113, -11, v0
	s_delay_alu instid0(VALU_DEP_1)
	v_cmp_lt_u32_e32 vcc_lo, 6, v112
	v_mov_b32_e32 v112, 11
	s_and_saveexec_b32 s1, vcc_lo
	s_cbranch_execz .LBB86_171
; %bb.168:
	v_and_b32_e32 v112, -8, v113
	s_mov_b32 s6, 0
	s_mov_b64 s[2:3], 18
	s_movk_i32 s7, 0x8c
	s_delay_alu instid0(VALU_DEP_1)
	v_sub_nc_u32_e32 v114, 0, v112
.LBB86_169:                             ; =>This Inner Loop Header: Depth=1
	s_add_co_i32 m0, s2, -7
	v_movrels_b32_e32 v117, v34
	v_mov_b32_e32 v112, s7
	s_add_co_i32 m0, s2, -6
	s_add_co_i32 s7, s7, 32
	v_movrels_b32_e32 v126, v34
	ds_load_2addr_b32 v[118:119], v112 offset1:1
	ds_load_2addr_b32 v[120:121], v112 offset0:2 offset1:3
	s_add_co_i32 m0, s2, -5
	s_wait_dscnt 0x1
	v_fmac_f32_e32 v116, v117, v118
	ds_load_2addr_b32 v[122:123], v112 offset0:4 offset1:5
	ds_load_2addr_b32 v[124:125], v112 offset0:6 offset1:7
	v_movrels_b32_e32 v112, v34
	s_add_co_i32 m0, s2, -4
	v_fmac_f32_e32 v116, v126, v119
	v_movrels_b32_e32 v117, v34
	s_add_co_i32 m0, s2, -3
	s_wait_dscnt 0x2
	s_delay_alu instid0(VALU_DEP_2) | instskip(SKIP_2) | instid1(VALU_DEP_2)
	v_fmac_f32_e32 v116, v112, v120
	v_movrels_b32_e32 v112, v34
	s_add_co_i32 m0, s2, -2
	v_fmac_f32_e32 v116, v117, v121
	v_movrels_b32_e32 v117, v34
	s_add_co_i32 m0, s2, -1
	s_wait_dscnt 0x1
	s_delay_alu instid0(VALU_DEP_2)
	v_fmac_f32_e32 v116, v112, v122
	v_movrels_b32_e32 v112, v34
	s_mov_b32 m0, s2
	s_add_nc_u64 s[2:3], s[2:3], 8
	v_movrels_b32_e32 v118, v34
	v_dual_fmac_f32 v116, v117, v123 :: v_dual_add_nc_u32 v117, s2, v114
	s_add_co_i32 s8, s2, -7
	s_wait_dscnt 0x0
	s_delay_alu instid0(VALU_DEP_1) | instskip(NEXT) | instid1(VALU_DEP_2)
	v_fmac_f32_e32 v116, v112, v124
	v_cmp_eq_u32_e32 vcc_lo, 18, v117
	s_delay_alu instid0(VALU_DEP_2) | instskip(SKIP_1) | instid1(SALU_CYCLE_1)
	v_dual_mov_b32 v112, s8 :: v_dual_fmac_f32 v116, v118, v125
	s_or_b32 s6, vcc_lo, s6
	s_and_not1_b32 exec_lo, exec_lo, s6
	s_cbranch_execnz .LBB86_169
; %bb.170:
	s_or_b32 exec_lo, exec_lo, s6
.LBB86_171:
	s_delay_alu instid0(SALU_CYCLE_1) | instskip(SKIP_3) | instid1(VALU_DEP_1)
	s_or_b32 exec_lo, exec_lo, s1
	v_and_b32_e32 v57, 7, v113
	s_mov_b32 s2, 0
	s_mov_b32 s1, exec_lo
	v_cmpx_ne_u32_e32 0, v57
	s_cbranch_execz .LBB86_175
; %bb.172:
	v_lshl_add_u32 v58, v112, 2, 0x60
	v_mov_b32_e32 v113, 0
.LBB86_173:                             ; =>This Inner Loop Header: Depth=1
	v_cmp_eq_u32_e32 vcc_lo, 1, v112
	ds_load_b32 v60, v58
	v_dual_add_nc_u32 v57, -1, v57 :: v_dual_add_nc_u32 v58, 4, v58
	v_cndmask_b32_e32 v59, v34, v35, vcc_lo
	v_cmp_eq_u32_e32 vcc_lo, 2, v112
	s_delay_alu instid0(VALU_DEP_2) | instskip(SKIP_1) | instid1(VALU_DEP_2)
	v_cndmask_b32_e32 v59, v59, v36, vcc_lo
	v_cmp_eq_u32_e32 vcc_lo, 3, v112
	v_cndmask_b32_e32 v59, v59, v37, vcc_lo
	v_cmp_eq_u32_e32 vcc_lo, 4, v112
	s_delay_alu instid0(VALU_DEP_2) | instskip(SKIP_1) | instid1(VALU_DEP_2)
	v_cndmask_b32_e32 v59, v59, v38, vcc_lo
	v_cmp_eq_u32_e32 vcc_lo, 5, v112
	;; [unrolled: 5-line block ×10, first 2 shown]
	v_cndmask_b32_e32 v59, v59, v55, vcc_lo
	v_cmp_eq_u32_e32 vcc_lo, 22, v112
	v_add_nc_u64_e32 v[112:113], 1, v[112:113]
	s_delay_alu instid0(VALU_DEP_3) | instskip(SKIP_2) | instid1(VALU_DEP_2)
	v_cndmask_b32_e32 v59, v59, v56, vcc_lo
	v_cmp_eq_u32_e32 vcc_lo, 0, v57
	s_wait_dscnt 0x0
	v_fmac_f32_e32 v116, v59, v60
	s_or_b32 s2, vcc_lo, s2
	s_delay_alu instid0(SALU_CYCLE_1)
	s_and_not1_b32 exec_lo, exec_lo, s2
	s_cbranch_execnz .LBB86_173
; %bb.174:
	s_or_b32 exec_lo, exec_lo, s2
.LBB86_175:
	s_delay_alu instid0(SALU_CYCLE_1)
	s_or_b32 exec_lo, exec_lo, s1
.LBB86_176:
	s_delay_alu instid0(SALU_CYCLE_1)
	s_or_b32 exec_lo, exec_lo, s5
	v_mov_b32_e32 v44, 0
	ds_load_b32 v44, v44 offset:40
	s_wait_dscnt 0x0
	v_mul_f32_e32 v44, v116, v44
.LBB86_177:
	s_or_b32 exec_lo, exec_lo, s4
	v_cmp_lt_u32_e64 s1, 9, v0
	ds_store_b32 v115, v43
	s_wait_dscnt 0x0
	s_barrier_signal -1
	s_barrier_wait -1
	s_and_saveexec_b32 s4, s1
	s_cbranch_execz .LBB86_193
; %bb.178:
	s_and_not1_b32 vcc_lo, exec_lo, s23
	s_cbranch_vccnz .LBB86_180
; %bb.179:
	v_cmp_eq_u32_e32 vcc_lo, 1, v0
	ds_load_b32 v113, v115
	v_cndmask_b32_e32 v112, v34, v35, vcc_lo
	v_cmp_eq_u32_e32 vcc_lo, 2, v0
	s_delay_alu instid0(VALU_DEP_2) | instskip(SKIP_1) | instid1(VALU_DEP_2)
	v_cndmask_b32_e32 v112, v112, v36, vcc_lo
	v_cmp_eq_u32_e32 vcc_lo, 3, v0
	v_cndmask_b32_e32 v112, v112, v37, vcc_lo
	v_cmp_eq_u32_e32 vcc_lo, 4, v0
	s_delay_alu instid0(VALU_DEP_2) | instskip(SKIP_1) | instid1(VALU_DEP_2)
	v_cndmask_b32_e32 v112, v112, v38, vcc_lo
	v_cmp_eq_u32_e32 vcc_lo, 5, v0
	;; [unrolled: 5-line block ×10, first 2 shown]
	v_cndmask_b32_e32 v112, v112, v55, vcc_lo
	v_cmp_eq_u32_e32 vcc_lo, 22, v0
	s_delay_alu instid0(VALU_DEP_2) | instskip(SKIP_1) | instid1(VALU_DEP_1)
	v_cndmask_b32_e32 v112, v112, v56, vcc_lo
	s_wait_dscnt 0x0
	v_mul_f32_e32 v116, v112, v113
	s_cbranch_execz .LBB86_181
	s_branch .LBB86_182
.LBB86_180:
                                        ; implicit-def: $vgpr116
.LBB86_181:
	ds_load_b32 v116, v115
.LBB86_182:
	s_and_saveexec_b32 s5, s0
	s_cbranch_execz .LBB86_192
; %bb.183:
	v_dual_add_nc_u32 v112, -11, v0 :: v_dual_add_nc_u32 v113, -10, v0
	s_delay_alu instid0(VALU_DEP_1)
	v_cmp_lt_u32_e32 vcc_lo, 6, v112
	v_mov_b32_e32 v112, 10
	s_and_saveexec_b32 s0, vcc_lo
	s_cbranch_execz .LBB86_187
; %bb.184:
	v_and_b32_e32 v112, -8, v113
	s_mov_b32 s6, 0
	s_mov_b64 s[2:3], 17
	s_movk_i32 s7, 0x88
	s_delay_alu instid0(VALU_DEP_1)
	v_sub_nc_u32_e32 v114, 0, v112
.LBB86_185:                             ; =>This Inner Loop Header: Depth=1
	s_add_co_i32 m0, s2, -7
	v_movrels_b32_e32 v117, v34
	v_mov_b32_e32 v112, s7
	s_add_co_i32 m0, s2, -6
	s_add_co_i32 s7, s7, 32
	v_movrels_b32_e32 v126, v34
	s_add_co_i32 m0, s2, -5
	ds_load_2addr_b64 v[118:121], v112 offset1:1
	ds_load_2addr_b64 v[122:125], v112 offset0:2 offset1:3
	v_movrels_b32_e32 v112, v34
	s_add_co_i32 m0, s2, -4
	s_wait_dscnt 0x1
	v_fmac_f32_e32 v116, v117, v118
	v_movrels_b32_e32 v117, v34
	s_add_co_i32 m0, s2, -3
	s_delay_alu instid0(VALU_DEP_2) | instskip(NEXT) | instid1(VALU_DEP_1)
	v_fmac_f32_e32 v116, v126, v119
	v_fmac_f32_e32 v116, v112, v120
	v_movrels_b32_e32 v112, v34
	s_add_co_i32 m0, s2, -2
	s_delay_alu instid0(VALU_DEP_2) | instskip(SKIP_3) | instid1(VALU_DEP_2)
	v_fmac_f32_e32 v116, v117, v121
	v_movrels_b32_e32 v117, v34
	s_add_co_i32 m0, s2, -1
	s_wait_dscnt 0x0
	v_fmac_f32_e32 v116, v112, v122
	v_movrels_b32_e32 v112, v34
	s_mov_b32 m0, s2
	s_add_nc_u64 s[2:3], s[2:3], 8
	v_movrels_b32_e32 v118, v34
	v_dual_fmac_f32 v116, v117, v123 :: v_dual_add_nc_u32 v117, s2, v114
	s_add_co_i32 s8, s2, -7
	s_delay_alu instid0(VALU_DEP_1) | instskip(NEXT) | instid1(VALU_DEP_2)
	v_fmac_f32_e32 v116, v112, v124
	v_cmp_eq_u32_e32 vcc_lo, 17, v117
	s_delay_alu instid0(VALU_DEP_2) | instskip(SKIP_1) | instid1(SALU_CYCLE_1)
	v_dual_mov_b32 v112, s8 :: v_dual_fmac_f32 v116, v118, v125
	s_or_b32 s6, vcc_lo, s6
	s_and_not1_b32 exec_lo, exec_lo, s6
	s_cbranch_execnz .LBB86_185
; %bb.186:
	s_or_b32 exec_lo, exec_lo, s6
.LBB86_187:
	s_delay_alu instid0(SALU_CYCLE_1) | instskip(SKIP_3) | instid1(VALU_DEP_1)
	s_or_b32 exec_lo, exec_lo, s0
	v_and_b32_e32 v57, 7, v113
	s_mov_b32 s2, 0
	s_mov_b32 s0, exec_lo
	v_cmpx_ne_u32_e32 0, v57
	s_cbranch_execz .LBB86_191
; %bb.188:
	v_lshl_add_u32 v58, v112, 2, 0x60
	v_mov_b32_e32 v113, 0
.LBB86_189:                             ; =>This Inner Loop Header: Depth=1
	v_cmp_eq_u32_e32 vcc_lo, 1, v112
	ds_load_b32 v60, v58
	v_dual_add_nc_u32 v57, -1, v57 :: v_dual_add_nc_u32 v58, 4, v58
	v_cndmask_b32_e32 v59, v34, v35, vcc_lo
	v_cmp_eq_u32_e32 vcc_lo, 2, v112
	s_delay_alu instid0(VALU_DEP_2) | instskip(SKIP_1) | instid1(VALU_DEP_2)
	v_cndmask_b32_e32 v59, v59, v36, vcc_lo
	v_cmp_eq_u32_e32 vcc_lo, 3, v112
	v_cndmask_b32_e32 v59, v59, v37, vcc_lo
	v_cmp_eq_u32_e32 vcc_lo, 4, v112
	s_delay_alu instid0(VALU_DEP_2) | instskip(SKIP_1) | instid1(VALU_DEP_2)
	v_cndmask_b32_e32 v59, v59, v38, vcc_lo
	v_cmp_eq_u32_e32 vcc_lo, 5, v112
	;; [unrolled: 5-line block ×10, first 2 shown]
	v_cndmask_b32_e32 v59, v59, v55, vcc_lo
	v_cmp_eq_u32_e32 vcc_lo, 22, v112
	v_add_nc_u64_e32 v[112:113], 1, v[112:113]
	s_delay_alu instid0(VALU_DEP_3) | instskip(SKIP_2) | instid1(VALU_DEP_2)
	v_cndmask_b32_e32 v59, v59, v56, vcc_lo
	v_cmp_eq_u32_e32 vcc_lo, 0, v57
	s_wait_dscnt 0x0
	v_fmac_f32_e32 v116, v59, v60
	s_or_b32 s2, vcc_lo, s2
	s_delay_alu instid0(SALU_CYCLE_1)
	s_and_not1_b32 exec_lo, exec_lo, s2
	s_cbranch_execnz .LBB86_189
; %bb.190:
	s_or_b32 exec_lo, exec_lo, s2
.LBB86_191:
	s_delay_alu instid0(SALU_CYCLE_1)
	s_or_b32 exec_lo, exec_lo, s0
.LBB86_192:
	s_delay_alu instid0(SALU_CYCLE_1)
	s_or_b32 exec_lo, exec_lo, s5
	v_mov_b32_e32 v43, 0
	ds_load_b32 v43, v43 offset:36
	s_wait_dscnt 0x0
	v_mul_f32_e32 v43, v116, v43
.LBB86_193:
	s_or_b32 exec_lo, exec_lo, s4
	v_cmp_lt_u32_e64 s0, 8, v0
	ds_store_b32 v115, v42
	s_wait_dscnt 0x0
	s_barrier_signal -1
	s_barrier_wait -1
	s_and_saveexec_b32 s4, s0
	s_cbranch_execz .LBB86_209
; %bb.194:
	s_and_not1_b32 vcc_lo, exec_lo, s23
	s_cbranch_vccnz .LBB86_196
; %bb.195:
	v_cmp_eq_u32_e32 vcc_lo, 1, v0
	ds_load_b32 v113, v115
	v_cndmask_b32_e32 v112, v34, v35, vcc_lo
	v_cmp_eq_u32_e32 vcc_lo, 2, v0
	s_delay_alu instid0(VALU_DEP_2) | instskip(SKIP_1) | instid1(VALU_DEP_2)
	v_cndmask_b32_e32 v112, v112, v36, vcc_lo
	v_cmp_eq_u32_e32 vcc_lo, 3, v0
	v_cndmask_b32_e32 v112, v112, v37, vcc_lo
	v_cmp_eq_u32_e32 vcc_lo, 4, v0
	s_delay_alu instid0(VALU_DEP_2) | instskip(SKIP_1) | instid1(VALU_DEP_2)
	v_cndmask_b32_e32 v112, v112, v38, vcc_lo
	v_cmp_eq_u32_e32 vcc_lo, 5, v0
	v_cndmask_b32_e32 v112, v112, v39, vcc_lo
	v_cmp_eq_u32_e32 vcc_lo, 6, v0
	s_delay_alu instid0(VALU_DEP_2) | instskip(SKIP_1) | instid1(VALU_DEP_2)
	v_cndmask_b32_e32 v112, v112, v40, vcc_lo
	v_cmp_eq_u32_e32 vcc_lo, 7, v0
	v_cndmask_b32_e32 v112, v112, v41, vcc_lo
	v_cmp_eq_u32_e32 vcc_lo, 8, v0
	s_delay_alu instid0(VALU_DEP_2) | instskip(SKIP_1) | instid1(VALU_DEP_2)
	v_cndmask_b32_e32 v112, v112, v42, vcc_lo
	v_cmp_eq_u32_e32 vcc_lo, 9, v0
	v_cndmask_b32_e32 v112, v112, v43, vcc_lo
	v_cmp_eq_u32_e32 vcc_lo, 10, v0
	s_delay_alu instid0(VALU_DEP_2) | instskip(SKIP_1) | instid1(VALU_DEP_2)
	v_cndmask_b32_e32 v112, v112, v44, vcc_lo
	v_cmp_eq_u32_e32 vcc_lo, 11, v0
	v_cndmask_b32_e32 v112, v112, v45, vcc_lo
	v_cmp_eq_u32_e32 vcc_lo, 12, v0
	s_delay_alu instid0(VALU_DEP_2) | instskip(SKIP_1) | instid1(VALU_DEP_2)
	v_cndmask_b32_e32 v112, v112, v46, vcc_lo
	v_cmp_eq_u32_e32 vcc_lo, 13, v0
	v_cndmask_b32_e32 v112, v112, v47, vcc_lo
	v_cmp_eq_u32_e32 vcc_lo, 14, v0
	s_delay_alu instid0(VALU_DEP_2) | instskip(SKIP_1) | instid1(VALU_DEP_2)
	v_cndmask_b32_e32 v112, v112, v48, vcc_lo
	v_cmp_eq_u32_e32 vcc_lo, 15, v0
	v_cndmask_b32_e32 v112, v112, v49, vcc_lo
	v_cmp_eq_u32_e32 vcc_lo, 16, v0
	s_delay_alu instid0(VALU_DEP_2) | instskip(SKIP_1) | instid1(VALU_DEP_2)
	v_cndmask_b32_e32 v112, v112, v50, vcc_lo
	v_cmp_eq_u32_e32 vcc_lo, 17, v0
	v_cndmask_b32_e32 v112, v112, v51, vcc_lo
	v_cmp_eq_u32_e32 vcc_lo, 18, v0
	s_delay_alu instid0(VALU_DEP_2) | instskip(SKIP_1) | instid1(VALU_DEP_2)
	v_cndmask_b32_e32 v112, v112, v52, vcc_lo
	v_cmp_eq_u32_e32 vcc_lo, 19, v0
	v_cndmask_b32_e32 v112, v112, v53, vcc_lo
	v_cmp_eq_u32_e32 vcc_lo, 20, v0
	s_delay_alu instid0(VALU_DEP_2) | instskip(SKIP_1) | instid1(VALU_DEP_2)
	v_cndmask_b32_e32 v112, v112, v54, vcc_lo
	v_cmp_eq_u32_e32 vcc_lo, 21, v0
	v_cndmask_b32_e32 v112, v112, v55, vcc_lo
	v_cmp_eq_u32_e32 vcc_lo, 22, v0
	s_delay_alu instid0(VALU_DEP_2) | instskip(SKIP_1) | instid1(VALU_DEP_1)
	v_cndmask_b32_e32 v112, v112, v56, vcc_lo
	s_wait_dscnt 0x0
	v_mul_f32_e32 v116, v112, v113
	s_cbranch_execz .LBB86_197
	s_branch .LBB86_198
.LBB86_196:
                                        ; implicit-def: $vgpr116
.LBB86_197:
	ds_load_b32 v116, v115
.LBB86_198:
	s_and_saveexec_b32 s5, s1
	s_cbranch_execz .LBB86_208
; %bb.199:
	v_dual_add_nc_u32 v112, -10, v0 :: v_dual_add_nc_u32 v113, -9, v0
	s_delay_alu instid0(VALU_DEP_1)
	v_cmp_lt_u32_e32 vcc_lo, 6, v112
	v_mov_b32_e32 v112, 9
	s_and_saveexec_b32 s1, vcc_lo
	s_cbranch_execz .LBB86_203
; %bb.200:
	v_and_b32_e32 v112, -8, v113
	s_mov_b32 s6, 0
	s_mov_b64 s[2:3], 16
	s_movk_i32 s7, 0x84
	s_delay_alu instid0(VALU_DEP_1)
	v_sub_nc_u32_e32 v114, 0, v112
.LBB86_201:                             ; =>This Inner Loop Header: Depth=1
	s_add_co_i32 m0, s2, -7
	v_movrels_b32_e32 v117, v34
	v_mov_b32_e32 v112, s7
	s_add_co_i32 m0, s2, -6
	s_add_co_i32 s7, s7, 32
	v_movrels_b32_e32 v126, v34
	ds_load_2addr_b32 v[118:119], v112 offset1:1
	ds_load_2addr_b32 v[120:121], v112 offset0:2 offset1:3
	s_add_co_i32 m0, s2, -5
	s_wait_dscnt 0x1
	v_fmac_f32_e32 v116, v117, v118
	ds_load_2addr_b32 v[122:123], v112 offset0:4 offset1:5
	ds_load_2addr_b32 v[124:125], v112 offset0:6 offset1:7
	v_movrels_b32_e32 v112, v34
	s_add_co_i32 m0, s2, -4
	v_fmac_f32_e32 v116, v126, v119
	v_movrels_b32_e32 v117, v34
	s_add_co_i32 m0, s2, -3
	s_wait_dscnt 0x2
	s_delay_alu instid0(VALU_DEP_2) | instskip(SKIP_2) | instid1(VALU_DEP_2)
	v_fmac_f32_e32 v116, v112, v120
	v_movrels_b32_e32 v112, v34
	s_add_co_i32 m0, s2, -2
	v_fmac_f32_e32 v116, v117, v121
	v_movrels_b32_e32 v117, v34
	s_add_co_i32 m0, s2, -1
	s_wait_dscnt 0x1
	s_delay_alu instid0(VALU_DEP_2)
	v_fmac_f32_e32 v116, v112, v122
	v_movrels_b32_e32 v112, v34
	s_mov_b32 m0, s2
	s_add_nc_u64 s[2:3], s[2:3], 8
	v_movrels_b32_e32 v118, v34
	v_dual_fmac_f32 v116, v117, v123 :: v_dual_add_nc_u32 v117, s2, v114
	s_add_co_i32 s8, s2, -7
	s_wait_dscnt 0x0
	s_delay_alu instid0(VALU_DEP_1) | instskip(NEXT) | instid1(VALU_DEP_2)
	v_fmac_f32_e32 v116, v112, v124
	v_cmp_eq_u32_e32 vcc_lo, 16, v117
	s_delay_alu instid0(VALU_DEP_2) | instskip(SKIP_1) | instid1(SALU_CYCLE_1)
	v_dual_mov_b32 v112, s8 :: v_dual_fmac_f32 v116, v118, v125
	s_or_b32 s6, vcc_lo, s6
	s_and_not1_b32 exec_lo, exec_lo, s6
	s_cbranch_execnz .LBB86_201
; %bb.202:
	s_or_b32 exec_lo, exec_lo, s6
.LBB86_203:
	s_delay_alu instid0(SALU_CYCLE_1) | instskip(SKIP_3) | instid1(VALU_DEP_1)
	s_or_b32 exec_lo, exec_lo, s1
	v_and_b32_e32 v57, 7, v113
	s_mov_b32 s2, 0
	s_mov_b32 s1, exec_lo
	v_cmpx_ne_u32_e32 0, v57
	s_cbranch_execz .LBB86_207
; %bb.204:
	v_lshl_add_u32 v58, v112, 2, 0x60
	v_mov_b32_e32 v113, 0
.LBB86_205:                             ; =>This Inner Loop Header: Depth=1
	v_cmp_eq_u32_e32 vcc_lo, 1, v112
	ds_load_b32 v60, v58
	v_dual_add_nc_u32 v57, -1, v57 :: v_dual_add_nc_u32 v58, 4, v58
	v_cndmask_b32_e32 v59, v34, v35, vcc_lo
	v_cmp_eq_u32_e32 vcc_lo, 2, v112
	s_delay_alu instid0(VALU_DEP_2) | instskip(SKIP_1) | instid1(VALU_DEP_2)
	v_cndmask_b32_e32 v59, v59, v36, vcc_lo
	v_cmp_eq_u32_e32 vcc_lo, 3, v112
	v_cndmask_b32_e32 v59, v59, v37, vcc_lo
	v_cmp_eq_u32_e32 vcc_lo, 4, v112
	s_delay_alu instid0(VALU_DEP_2) | instskip(SKIP_1) | instid1(VALU_DEP_2)
	v_cndmask_b32_e32 v59, v59, v38, vcc_lo
	v_cmp_eq_u32_e32 vcc_lo, 5, v112
	;; [unrolled: 5-line block ×10, first 2 shown]
	v_cndmask_b32_e32 v59, v59, v55, vcc_lo
	v_cmp_eq_u32_e32 vcc_lo, 22, v112
	v_add_nc_u64_e32 v[112:113], 1, v[112:113]
	s_delay_alu instid0(VALU_DEP_3) | instskip(SKIP_2) | instid1(VALU_DEP_2)
	v_cndmask_b32_e32 v59, v59, v56, vcc_lo
	v_cmp_eq_u32_e32 vcc_lo, 0, v57
	s_wait_dscnt 0x0
	v_fmac_f32_e32 v116, v59, v60
	s_or_b32 s2, vcc_lo, s2
	s_delay_alu instid0(SALU_CYCLE_1)
	s_and_not1_b32 exec_lo, exec_lo, s2
	s_cbranch_execnz .LBB86_205
; %bb.206:
	s_or_b32 exec_lo, exec_lo, s2
.LBB86_207:
	s_delay_alu instid0(SALU_CYCLE_1)
	s_or_b32 exec_lo, exec_lo, s1
.LBB86_208:
	s_delay_alu instid0(SALU_CYCLE_1)
	s_or_b32 exec_lo, exec_lo, s5
	v_mov_b32_e32 v42, 0
	ds_load_b32 v42, v42 offset:32
	s_wait_dscnt 0x0
	v_mul_f32_e32 v42, v116, v42
.LBB86_209:
	s_or_b32 exec_lo, exec_lo, s4
	v_cmp_lt_u32_e64 s1, 7, v0
	ds_store_b32 v115, v41
	s_wait_dscnt 0x0
	s_barrier_signal -1
	s_barrier_wait -1
	s_and_saveexec_b32 s4, s1
	s_cbranch_execz .LBB86_225
; %bb.210:
	s_and_not1_b32 vcc_lo, exec_lo, s23
	s_cbranch_vccnz .LBB86_212
; %bb.211:
	v_cmp_eq_u32_e32 vcc_lo, 1, v0
	ds_load_b32 v113, v115
	v_cndmask_b32_e32 v112, v34, v35, vcc_lo
	v_cmp_eq_u32_e32 vcc_lo, 2, v0
	s_delay_alu instid0(VALU_DEP_2) | instskip(SKIP_1) | instid1(VALU_DEP_2)
	v_cndmask_b32_e32 v112, v112, v36, vcc_lo
	v_cmp_eq_u32_e32 vcc_lo, 3, v0
	v_cndmask_b32_e32 v112, v112, v37, vcc_lo
	v_cmp_eq_u32_e32 vcc_lo, 4, v0
	s_delay_alu instid0(VALU_DEP_2) | instskip(SKIP_1) | instid1(VALU_DEP_2)
	v_cndmask_b32_e32 v112, v112, v38, vcc_lo
	v_cmp_eq_u32_e32 vcc_lo, 5, v0
	;; [unrolled: 5-line block ×10, first 2 shown]
	v_cndmask_b32_e32 v112, v112, v55, vcc_lo
	v_cmp_eq_u32_e32 vcc_lo, 22, v0
	s_delay_alu instid0(VALU_DEP_2) | instskip(SKIP_1) | instid1(VALU_DEP_1)
	v_cndmask_b32_e32 v112, v112, v56, vcc_lo
	s_wait_dscnt 0x0
	v_mul_f32_e32 v116, v112, v113
	s_cbranch_execz .LBB86_213
	s_branch .LBB86_214
.LBB86_212:
                                        ; implicit-def: $vgpr116
.LBB86_213:
	ds_load_b32 v116, v115
.LBB86_214:
	s_and_saveexec_b32 s5, s0
	s_cbranch_execz .LBB86_224
; %bb.215:
	v_add_nc_u32_e32 v112, -9, v0
	s_delay_alu instid0(VALU_DEP_1)
	v_cmp_lt_u32_e32 vcc_lo, 6, v112
	v_mov_b32_e32 v112, 8
	s_and_saveexec_b32 s0, vcc_lo
	s_cbranch_execz .LBB86_219
; %bb.216:
	v_and_b32_e32 v112, 24, v0
	s_mov_b32 s6, 0
	s_mov_b64 s[2:3], 15
	s_movk_i32 s7, 0x80
	s_delay_alu instid0(VALU_DEP_1)
	v_sub_nc_u32_e32 v114, 0, v112
.LBB86_217:                             ; =>This Inner Loop Header: Depth=1
	s_add_co_i32 m0, s2, -7
	v_movrels_b32_e32 v113, v34
	v_mov_b32_e32 v112, s7
	s_add_co_i32 m0, s2, -6
	s_add_co_i32 s7, s7, 32
	v_movrels_b32_e32 v117, v34
	s_add_co_i32 m0, s2, -5
	ds_load_b128 v[118:121], v112
	ds_load_b128 v[122:125], v112 offset:16
	v_movrels_b32_e32 v112, v34
	s_add_co_i32 m0, s2, -4
	s_wait_dscnt 0x1
	v_fmac_f32_e32 v116, v113, v118
	v_movrels_b32_e32 v113, v34
	s_add_co_i32 m0, s2, -3
	s_delay_alu instid0(VALU_DEP_2) | instskip(NEXT) | instid1(VALU_DEP_1)
	v_fmac_f32_e32 v116, v117, v119
	v_fmac_f32_e32 v116, v112, v120
	v_movrels_b32_e32 v112, v34
	s_add_co_i32 m0, s2, -2
	s_delay_alu instid0(VALU_DEP_2) | instskip(SKIP_3) | instid1(VALU_DEP_2)
	v_fmac_f32_e32 v116, v113, v121
	v_movrels_b32_e32 v113, v34
	s_add_co_i32 m0, s2, -1
	s_wait_dscnt 0x0
	v_fmac_f32_e32 v116, v112, v122
	v_movrels_b32_e32 v112, v34
	s_mov_b32 m0, s2
	s_add_nc_u64 s[2:3], s[2:3], 8
	v_movrels_b32_e32 v117, v34
	v_dual_fmac_f32 v116, v113, v123 :: v_dual_add_nc_u32 v113, s2, v114
	s_add_co_i32 s8, s2, -7
	s_delay_alu instid0(VALU_DEP_1) | instskip(NEXT) | instid1(VALU_DEP_2)
	v_fmac_f32_e32 v116, v112, v124
	v_cmp_eq_u32_e32 vcc_lo, 7, v113
	s_delay_alu instid0(VALU_DEP_2) | instskip(SKIP_1) | instid1(SALU_CYCLE_1)
	v_dual_mov_b32 v112, s8 :: v_dual_fmac_f32 v116, v117, v125
	s_or_b32 s6, vcc_lo, s6
	s_and_not1_b32 exec_lo, exec_lo, s6
	s_cbranch_execnz .LBB86_217
; %bb.218:
	s_or_b32 exec_lo, exec_lo, s6
.LBB86_219:
	s_delay_alu instid0(SALU_CYCLE_1) | instskip(SKIP_3) | instid1(VALU_DEP_1)
	s_or_b32 exec_lo, exec_lo, s0
	v_and_b32_e32 v57, 7, v0
	s_mov_b32 s2, 0
	s_mov_b32 s0, exec_lo
	v_cmpx_ne_u32_e32 0, v57
	s_cbranch_execz .LBB86_223
; %bb.220:
	v_lshl_add_u32 v58, v112, 2, 0x60
	v_mov_b32_e32 v113, 0
.LBB86_221:                             ; =>This Inner Loop Header: Depth=1
	v_cmp_eq_u32_e32 vcc_lo, 1, v112
	ds_load_b32 v60, v58
	v_dual_add_nc_u32 v57, -1, v57 :: v_dual_add_nc_u32 v58, 4, v58
	v_cndmask_b32_e32 v59, v34, v35, vcc_lo
	v_cmp_eq_u32_e32 vcc_lo, 2, v112
	s_delay_alu instid0(VALU_DEP_2) | instskip(SKIP_1) | instid1(VALU_DEP_2)
	v_cndmask_b32_e32 v59, v59, v36, vcc_lo
	v_cmp_eq_u32_e32 vcc_lo, 3, v112
	v_cndmask_b32_e32 v59, v59, v37, vcc_lo
	v_cmp_eq_u32_e32 vcc_lo, 4, v112
	s_delay_alu instid0(VALU_DEP_2) | instskip(SKIP_1) | instid1(VALU_DEP_2)
	v_cndmask_b32_e32 v59, v59, v38, vcc_lo
	v_cmp_eq_u32_e32 vcc_lo, 5, v112
	v_cndmask_b32_e32 v59, v59, v39, vcc_lo
	v_cmp_eq_u32_e32 vcc_lo, 6, v112
	s_delay_alu instid0(VALU_DEP_2) | instskip(SKIP_1) | instid1(VALU_DEP_2)
	v_cndmask_b32_e32 v59, v59, v40, vcc_lo
	v_cmp_eq_u32_e32 vcc_lo, 7, v112
	v_cndmask_b32_e32 v59, v59, v41, vcc_lo
	v_cmp_eq_u32_e32 vcc_lo, 8, v112
	s_delay_alu instid0(VALU_DEP_2) | instskip(SKIP_1) | instid1(VALU_DEP_2)
	v_cndmask_b32_e32 v59, v59, v42, vcc_lo
	v_cmp_eq_u32_e32 vcc_lo, 9, v112
	v_cndmask_b32_e32 v59, v59, v43, vcc_lo
	v_cmp_eq_u32_e32 vcc_lo, 10, v112
	s_delay_alu instid0(VALU_DEP_2) | instskip(SKIP_1) | instid1(VALU_DEP_2)
	v_cndmask_b32_e32 v59, v59, v44, vcc_lo
	v_cmp_eq_u32_e32 vcc_lo, 11, v112
	v_cndmask_b32_e32 v59, v59, v45, vcc_lo
	v_cmp_eq_u32_e32 vcc_lo, 12, v112
	s_delay_alu instid0(VALU_DEP_2) | instskip(SKIP_1) | instid1(VALU_DEP_2)
	v_cndmask_b32_e32 v59, v59, v46, vcc_lo
	v_cmp_eq_u32_e32 vcc_lo, 13, v112
	v_cndmask_b32_e32 v59, v59, v47, vcc_lo
	v_cmp_eq_u32_e32 vcc_lo, 14, v112
	s_delay_alu instid0(VALU_DEP_2) | instskip(SKIP_1) | instid1(VALU_DEP_2)
	v_cndmask_b32_e32 v59, v59, v48, vcc_lo
	v_cmp_eq_u32_e32 vcc_lo, 15, v112
	v_cndmask_b32_e32 v59, v59, v49, vcc_lo
	v_cmp_eq_u32_e32 vcc_lo, 16, v112
	s_delay_alu instid0(VALU_DEP_2) | instskip(SKIP_1) | instid1(VALU_DEP_2)
	v_cndmask_b32_e32 v59, v59, v50, vcc_lo
	v_cmp_eq_u32_e32 vcc_lo, 17, v112
	v_cndmask_b32_e32 v59, v59, v51, vcc_lo
	v_cmp_eq_u32_e32 vcc_lo, 18, v112
	s_delay_alu instid0(VALU_DEP_2) | instskip(SKIP_1) | instid1(VALU_DEP_2)
	v_cndmask_b32_e32 v59, v59, v52, vcc_lo
	v_cmp_eq_u32_e32 vcc_lo, 19, v112
	v_cndmask_b32_e32 v59, v59, v53, vcc_lo
	v_cmp_eq_u32_e32 vcc_lo, 20, v112
	s_delay_alu instid0(VALU_DEP_2) | instskip(SKIP_1) | instid1(VALU_DEP_2)
	v_cndmask_b32_e32 v59, v59, v54, vcc_lo
	v_cmp_eq_u32_e32 vcc_lo, 21, v112
	v_cndmask_b32_e32 v59, v59, v55, vcc_lo
	v_cmp_eq_u32_e32 vcc_lo, 22, v112
	v_add_nc_u64_e32 v[112:113], 1, v[112:113]
	s_delay_alu instid0(VALU_DEP_3) | instskip(SKIP_2) | instid1(VALU_DEP_2)
	v_cndmask_b32_e32 v59, v59, v56, vcc_lo
	v_cmp_eq_u32_e32 vcc_lo, 0, v57
	s_wait_dscnt 0x0
	v_fmac_f32_e32 v116, v59, v60
	s_or_b32 s2, vcc_lo, s2
	s_delay_alu instid0(SALU_CYCLE_1)
	s_and_not1_b32 exec_lo, exec_lo, s2
	s_cbranch_execnz .LBB86_221
; %bb.222:
	s_or_b32 exec_lo, exec_lo, s2
.LBB86_223:
	s_delay_alu instid0(SALU_CYCLE_1)
	s_or_b32 exec_lo, exec_lo, s0
.LBB86_224:
	s_delay_alu instid0(SALU_CYCLE_1)
	s_or_b32 exec_lo, exec_lo, s5
	v_mov_b32_e32 v41, 0
	ds_load_b32 v41, v41 offset:28
	s_wait_dscnt 0x0
	v_mul_f32_e32 v41, v116, v41
.LBB86_225:
	s_or_b32 exec_lo, exec_lo, s4
	v_cmp_lt_u32_e64 s0, 6, v0
	ds_store_b32 v115, v40
	s_wait_dscnt 0x0
	s_barrier_signal -1
	s_barrier_wait -1
	s_and_saveexec_b32 s4, s0
	s_cbranch_execz .LBB86_241
; %bb.226:
	s_and_not1_b32 vcc_lo, exec_lo, s23
	s_cbranch_vccnz .LBB86_228
; %bb.227:
	v_cmp_eq_u32_e32 vcc_lo, 1, v0
	ds_load_b32 v113, v115
	v_cndmask_b32_e32 v112, v34, v35, vcc_lo
	v_cmp_eq_u32_e32 vcc_lo, 2, v0
	s_delay_alu instid0(VALU_DEP_2) | instskip(SKIP_1) | instid1(VALU_DEP_2)
	v_cndmask_b32_e32 v112, v112, v36, vcc_lo
	v_cmp_eq_u32_e32 vcc_lo, 3, v0
	v_cndmask_b32_e32 v112, v112, v37, vcc_lo
	v_cmp_eq_u32_e32 vcc_lo, 4, v0
	s_delay_alu instid0(VALU_DEP_2) | instskip(SKIP_1) | instid1(VALU_DEP_2)
	v_cndmask_b32_e32 v112, v112, v38, vcc_lo
	v_cmp_eq_u32_e32 vcc_lo, 5, v0
	;; [unrolled: 5-line block ×10, first 2 shown]
	v_cndmask_b32_e32 v112, v112, v55, vcc_lo
	v_cmp_eq_u32_e32 vcc_lo, 22, v0
	s_delay_alu instid0(VALU_DEP_2) | instskip(SKIP_1) | instid1(VALU_DEP_1)
	v_cndmask_b32_e32 v112, v112, v56, vcc_lo
	s_wait_dscnt 0x0
	v_mul_f32_e32 v116, v112, v113
	s_cbranch_execz .LBB86_229
	s_branch .LBB86_230
.LBB86_228:
                                        ; implicit-def: $vgpr116
.LBB86_229:
	ds_load_b32 v116, v115
.LBB86_230:
	s_and_saveexec_b32 s5, s1
	s_cbranch_execz .LBB86_240
; %bb.231:
	v_dual_add_nc_u32 v112, -8, v0 :: v_dual_add_nc_u32 v113, -7, v0
	s_delay_alu instid0(VALU_DEP_1)
	v_cmp_lt_u32_e32 vcc_lo, 6, v112
	v_mov_b32_e32 v112, 7
	s_and_saveexec_b32 s1, vcc_lo
	s_cbranch_execz .LBB86_235
; %bb.232:
	v_and_b32_e32 v112, -8, v113
	s_mov_b32 s6, 0
	s_mov_b64 s[2:3], 14
	s_movk_i32 s7, 0x7c
	s_delay_alu instid0(VALU_DEP_1)
	v_sub_nc_u32_e32 v114, 0, v112
.LBB86_233:                             ; =>This Inner Loop Header: Depth=1
	s_add_co_i32 m0, s2, -7
	v_movrels_b32_e32 v117, v34
	v_mov_b32_e32 v112, s7
	s_add_co_i32 m0, s2, -6
	s_add_co_i32 s7, s7, 32
	v_movrels_b32_e32 v126, v34
	ds_load_2addr_b32 v[118:119], v112 offset1:1
	ds_load_2addr_b32 v[120:121], v112 offset0:2 offset1:3
	s_add_co_i32 m0, s2, -5
	s_wait_dscnt 0x1
	v_fmac_f32_e32 v116, v117, v118
	ds_load_2addr_b32 v[122:123], v112 offset0:4 offset1:5
	ds_load_2addr_b32 v[124:125], v112 offset0:6 offset1:7
	v_movrels_b32_e32 v112, v34
	s_add_co_i32 m0, s2, -4
	v_fmac_f32_e32 v116, v126, v119
	v_movrels_b32_e32 v117, v34
	s_add_co_i32 m0, s2, -3
	s_wait_dscnt 0x2
	s_delay_alu instid0(VALU_DEP_2) | instskip(SKIP_2) | instid1(VALU_DEP_2)
	v_fmac_f32_e32 v116, v112, v120
	v_movrels_b32_e32 v112, v34
	s_add_co_i32 m0, s2, -2
	v_fmac_f32_e32 v116, v117, v121
	v_movrels_b32_e32 v117, v34
	s_add_co_i32 m0, s2, -1
	s_wait_dscnt 0x1
	s_delay_alu instid0(VALU_DEP_2)
	v_fmac_f32_e32 v116, v112, v122
	v_movrels_b32_e32 v112, v34
	s_mov_b32 m0, s2
	s_add_nc_u64 s[2:3], s[2:3], 8
	v_movrels_b32_e32 v118, v34
	v_dual_fmac_f32 v116, v117, v123 :: v_dual_add_nc_u32 v117, s2, v114
	s_add_co_i32 s8, s2, -7
	s_wait_dscnt 0x0
	s_delay_alu instid0(VALU_DEP_1) | instskip(NEXT) | instid1(VALU_DEP_2)
	v_fmac_f32_e32 v116, v112, v124
	v_cmp_eq_u32_e32 vcc_lo, 14, v117
	s_delay_alu instid0(VALU_DEP_2) | instskip(SKIP_1) | instid1(SALU_CYCLE_1)
	v_dual_mov_b32 v112, s8 :: v_dual_fmac_f32 v116, v118, v125
	s_or_b32 s6, vcc_lo, s6
	s_and_not1_b32 exec_lo, exec_lo, s6
	s_cbranch_execnz .LBB86_233
; %bb.234:
	s_or_b32 exec_lo, exec_lo, s6
.LBB86_235:
	s_delay_alu instid0(SALU_CYCLE_1) | instskip(SKIP_3) | instid1(VALU_DEP_1)
	s_or_b32 exec_lo, exec_lo, s1
	v_and_b32_e32 v57, 7, v113
	s_mov_b32 s2, 0
	s_mov_b32 s1, exec_lo
	v_cmpx_ne_u32_e32 0, v57
	s_cbranch_execz .LBB86_239
; %bb.236:
	v_lshl_add_u32 v58, v112, 2, 0x60
	v_mov_b32_e32 v113, 0
.LBB86_237:                             ; =>This Inner Loop Header: Depth=1
	v_cmp_eq_u32_e32 vcc_lo, 1, v112
	ds_load_b32 v60, v58
	v_dual_add_nc_u32 v57, -1, v57 :: v_dual_add_nc_u32 v58, 4, v58
	v_cndmask_b32_e32 v59, v34, v35, vcc_lo
	v_cmp_eq_u32_e32 vcc_lo, 2, v112
	s_delay_alu instid0(VALU_DEP_2) | instskip(SKIP_1) | instid1(VALU_DEP_2)
	v_cndmask_b32_e32 v59, v59, v36, vcc_lo
	v_cmp_eq_u32_e32 vcc_lo, 3, v112
	v_cndmask_b32_e32 v59, v59, v37, vcc_lo
	v_cmp_eq_u32_e32 vcc_lo, 4, v112
	s_delay_alu instid0(VALU_DEP_2) | instskip(SKIP_1) | instid1(VALU_DEP_2)
	v_cndmask_b32_e32 v59, v59, v38, vcc_lo
	v_cmp_eq_u32_e32 vcc_lo, 5, v112
	;; [unrolled: 5-line block ×10, first 2 shown]
	v_cndmask_b32_e32 v59, v59, v55, vcc_lo
	v_cmp_eq_u32_e32 vcc_lo, 22, v112
	v_add_nc_u64_e32 v[112:113], 1, v[112:113]
	s_delay_alu instid0(VALU_DEP_3) | instskip(SKIP_2) | instid1(VALU_DEP_2)
	v_cndmask_b32_e32 v59, v59, v56, vcc_lo
	v_cmp_eq_u32_e32 vcc_lo, 0, v57
	s_wait_dscnt 0x0
	v_fmac_f32_e32 v116, v59, v60
	s_or_b32 s2, vcc_lo, s2
	s_delay_alu instid0(SALU_CYCLE_1)
	s_and_not1_b32 exec_lo, exec_lo, s2
	s_cbranch_execnz .LBB86_237
; %bb.238:
	s_or_b32 exec_lo, exec_lo, s2
.LBB86_239:
	s_delay_alu instid0(SALU_CYCLE_1)
	s_or_b32 exec_lo, exec_lo, s1
.LBB86_240:
	s_delay_alu instid0(SALU_CYCLE_1)
	s_or_b32 exec_lo, exec_lo, s5
	v_mov_b32_e32 v40, 0
	ds_load_b32 v40, v40 offset:24
	s_wait_dscnt 0x0
	v_mul_f32_e32 v40, v116, v40
.LBB86_241:
	s_or_b32 exec_lo, exec_lo, s4
	v_cmp_lt_u32_e64 s1, 5, v0
	ds_store_b32 v115, v39
	s_wait_dscnt 0x0
	s_barrier_signal -1
	s_barrier_wait -1
	s_and_saveexec_b32 s4, s1
	s_cbranch_execz .LBB86_257
; %bb.242:
	s_and_not1_b32 vcc_lo, exec_lo, s23
	s_cbranch_vccnz .LBB86_244
; %bb.243:
	v_cmp_eq_u32_e32 vcc_lo, 1, v0
	ds_load_b32 v113, v115
	v_cndmask_b32_e32 v112, v34, v35, vcc_lo
	v_cmp_eq_u32_e32 vcc_lo, 2, v0
	s_delay_alu instid0(VALU_DEP_2) | instskip(SKIP_1) | instid1(VALU_DEP_2)
	v_cndmask_b32_e32 v112, v112, v36, vcc_lo
	v_cmp_eq_u32_e32 vcc_lo, 3, v0
	v_cndmask_b32_e32 v112, v112, v37, vcc_lo
	v_cmp_eq_u32_e32 vcc_lo, 4, v0
	s_delay_alu instid0(VALU_DEP_2) | instskip(SKIP_1) | instid1(VALU_DEP_2)
	v_cndmask_b32_e32 v112, v112, v38, vcc_lo
	v_cmp_eq_u32_e32 vcc_lo, 5, v0
	;; [unrolled: 5-line block ×10, first 2 shown]
	v_cndmask_b32_e32 v112, v112, v55, vcc_lo
	v_cmp_eq_u32_e32 vcc_lo, 22, v0
	s_delay_alu instid0(VALU_DEP_2) | instskip(SKIP_1) | instid1(VALU_DEP_1)
	v_cndmask_b32_e32 v112, v112, v56, vcc_lo
	s_wait_dscnt 0x0
	v_mul_f32_e32 v116, v112, v113
	s_cbranch_execz .LBB86_245
	s_branch .LBB86_246
.LBB86_244:
                                        ; implicit-def: $vgpr116
.LBB86_245:
	ds_load_b32 v116, v115
.LBB86_246:
	s_and_saveexec_b32 s5, s0
	s_cbranch_execz .LBB86_256
; %bb.247:
	v_dual_add_nc_u32 v114, -7, v0 :: v_dual_add_nc_u32 v113, -6, v0
	v_mov_b32_e32 v112, 6
	s_mov_b32 s0, exec_lo
	s_delay_alu instid0(VALU_DEP_2)
	v_cmpx_lt_u32_e32 6, v114
	s_cbranch_execz .LBB86_251
; %bb.248:
	v_and_b32_e32 v112, -8, v113
	s_mov_b32 s6, 0
	s_mov_b64 s[2:3], 13
	s_movk_i32 s7, 0x78
	s_delay_alu instid0(VALU_DEP_1)
	v_sub_nc_u32_e32 v114, 0, v112
.LBB86_249:                             ; =>This Inner Loop Header: Depth=1
	s_add_co_i32 m0, s2, -7
	v_movrels_b32_e32 v117, v34
	v_mov_b32_e32 v112, s7
	s_add_co_i32 m0, s2, -6
	s_add_co_i32 s7, s7, 32
	v_movrels_b32_e32 v126, v34
	s_add_co_i32 m0, s2, -5
	ds_load_2addr_b64 v[118:121], v112 offset1:1
	ds_load_2addr_b64 v[122:125], v112 offset0:2 offset1:3
	v_movrels_b32_e32 v112, v34
	s_add_co_i32 m0, s2, -4
	s_wait_dscnt 0x1
	v_fmac_f32_e32 v116, v117, v118
	v_movrels_b32_e32 v117, v34
	s_add_co_i32 m0, s2, -3
	s_delay_alu instid0(VALU_DEP_2) | instskip(NEXT) | instid1(VALU_DEP_1)
	v_fmac_f32_e32 v116, v126, v119
	v_fmac_f32_e32 v116, v112, v120
	v_movrels_b32_e32 v112, v34
	s_add_co_i32 m0, s2, -2
	s_delay_alu instid0(VALU_DEP_2) | instskip(SKIP_3) | instid1(VALU_DEP_2)
	v_fmac_f32_e32 v116, v117, v121
	v_movrels_b32_e32 v117, v34
	s_add_co_i32 m0, s2, -1
	s_wait_dscnt 0x0
	v_fmac_f32_e32 v116, v112, v122
	v_movrels_b32_e32 v112, v34
	s_mov_b32 m0, s2
	s_add_nc_u64 s[2:3], s[2:3], 8
	v_movrels_b32_e32 v118, v34
	v_dual_fmac_f32 v116, v117, v123 :: v_dual_add_nc_u32 v117, s2, v114
	s_add_co_i32 s8, s2, -7
	s_delay_alu instid0(VALU_DEP_1) | instskip(NEXT) | instid1(VALU_DEP_2)
	v_fmac_f32_e32 v116, v112, v124
	v_cmp_eq_u32_e32 vcc_lo, 13, v117
	s_delay_alu instid0(VALU_DEP_2) | instskip(SKIP_1) | instid1(SALU_CYCLE_1)
	v_dual_mov_b32 v112, s8 :: v_dual_fmac_f32 v116, v118, v125
	s_or_b32 s6, vcc_lo, s6
	s_and_not1_b32 exec_lo, exec_lo, s6
	s_cbranch_execnz .LBB86_249
; %bb.250:
	s_or_b32 exec_lo, exec_lo, s6
.LBB86_251:
	s_delay_alu instid0(SALU_CYCLE_1) | instskip(SKIP_3) | instid1(VALU_DEP_1)
	s_or_b32 exec_lo, exec_lo, s0
	v_and_b32_e32 v57, 7, v113
	s_mov_b32 s2, 0
	s_mov_b32 s0, exec_lo
	v_cmpx_ne_u32_e32 0, v57
	s_cbranch_execz .LBB86_255
; %bb.252:
	v_lshl_add_u32 v58, v112, 2, 0x60
	v_mov_b32_e32 v113, 0
.LBB86_253:                             ; =>This Inner Loop Header: Depth=1
	v_cmp_eq_u32_e32 vcc_lo, 1, v112
	ds_load_b32 v60, v58
	v_dual_add_nc_u32 v57, -1, v57 :: v_dual_add_nc_u32 v58, 4, v58
	v_cndmask_b32_e32 v59, v34, v35, vcc_lo
	v_cmp_eq_u32_e32 vcc_lo, 2, v112
	s_delay_alu instid0(VALU_DEP_2) | instskip(SKIP_1) | instid1(VALU_DEP_2)
	v_cndmask_b32_e32 v59, v59, v36, vcc_lo
	v_cmp_eq_u32_e32 vcc_lo, 3, v112
	v_cndmask_b32_e32 v59, v59, v37, vcc_lo
	v_cmp_eq_u32_e32 vcc_lo, 4, v112
	s_delay_alu instid0(VALU_DEP_2) | instskip(SKIP_1) | instid1(VALU_DEP_2)
	v_cndmask_b32_e32 v59, v59, v38, vcc_lo
	v_cmp_eq_u32_e32 vcc_lo, 5, v112
	;; [unrolled: 5-line block ×10, first 2 shown]
	v_cndmask_b32_e32 v59, v59, v55, vcc_lo
	v_cmp_eq_u32_e32 vcc_lo, 22, v112
	v_add_nc_u64_e32 v[112:113], 1, v[112:113]
	s_delay_alu instid0(VALU_DEP_3) | instskip(SKIP_2) | instid1(VALU_DEP_2)
	v_cndmask_b32_e32 v59, v59, v56, vcc_lo
	v_cmp_eq_u32_e32 vcc_lo, 0, v57
	s_wait_dscnt 0x0
	v_fmac_f32_e32 v116, v59, v60
	s_or_b32 s2, vcc_lo, s2
	s_delay_alu instid0(SALU_CYCLE_1)
	s_and_not1_b32 exec_lo, exec_lo, s2
	s_cbranch_execnz .LBB86_253
; %bb.254:
	s_or_b32 exec_lo, exec_lo, s2
.LBB86_255:
	s_delay_alu instid0(SALU_CYCLE_1)
	s_or_b32 exec_lo, exec_lo, s0
.LBB86_256:
	s_delay_alu instid0(SALU_CYCLE_1)
	s_or_b32 exec_lo, exec_lo, s5
	v_mov_b32_e32 v39, 0
	ds_load_b32 v39, v39 offset:20
	s_wait_dscnt 0x0
	v_mul_f32_e32 v39, v116, v39
.LBB86_257:
	s_or_b32 exec_lo, exec_lo, s4
	v_cmp_lt_u32_e64 s0, 4, v0
	ds_store_b32 v115, v38
	s_wait_dscnt 0x0
	s_barrier_signal -1
	s_barrier_wait -1
	s_and_saveexec_b32 s4, s0
	s_cbranch_execz .LBB86_273
; %bb.258:
	s_and_not1_b32 vcc_lo, exec_lo, s23
	s_cbranch_vccnz .LBB86_260
; %bb.259:
	v_cmp_eq_u32_e32 vcc_lo, 1, v0
	ds_load_b32 v113, v115
	v_cndmask_b32_e32 v112, v34, v35, vcc_lo
	v_cmp_eq_u32_e32 vcc_lo, 2, v0
	s_delay_alu instid0(VALU_DEP_2) | instskip(SKIP_1) | instid1(VALU_DEP_2)
	v_cndmask_b32_e32 v112, v112, v36, vcc_lo
	v_cmp_eq_u32_e32 vcc_lo, 3, v0
	v_cndmask_b32_e32 v112, v112, v37, vcc_lo
	v_cmp_eq_u32_e32 vcc_lo, 4, v0
	s_delay_alu instid0(VALU_DEP_2) | instskip(SKIP_1) | instid1(VALU_DEP_2)
	v_cndmask_b32_e32 v112, v112, v38, vcc_lo
	v_cmp_eq_u32_e32 vcc_lo, 5, v0
	;; [unrolled: 5-line block ×10, first 2 shown]
	v_cndmask_b32_e32 v112, v112, v55, vcc_lo
	v_cmp_eq_u32_e32 vcc_lo, 22, v0
	s_delay_alu instid0(VALU_DEP_2) | instskip(SKIP_1) | instid1(VALU_DEP_1)
	v_cndmask_b32_e32 v112, v112, v56, vcc_lo
	s_wait_dscnt 0x0
	v_mul_f32_e32 v116, v112, v113
	s_cbranch_execz .LBB86_261
	s_branch .LBB86_262
.LBB86_260:
                                        ; implicit-def: $vgpr116
.LBB86_261:
	ds_load_b32 v116, v115
.LBB86_262:
	s_and_saveexec_b32 s5, s1
	s_cbranch_execz .LBB86_272
; %bb.263:
	v_dual_add_nc_u32 v112, -6, v0 :: v_dual_add_nc_u32 v113, -5, v0
	s_delay_alu instid0(VALU_DEP_1)
	v_cmp_lt_u32_e32 vcc_lo, 6, v112
	v_mov_b32_e32 v112, 5
	s_and_saveexec_b32 s1, vcc_lo
	s_cbranch_execz .LBB86_267
; %bb.264:
	v_and_b32_e32 v112, -8, v113
	s_mov_b32 s6, 0
	s_mov_b64 s[2:3], 12
	s_movk_i32 s7, 0x74
	s_delay_alu instid0(VALU_DEP_1)
	v_sub_nc_u32_e32 v114, 0, v112
.LBB86_265:                             ; =>This Inner Loop Header: Depth=1
	s_add_co_i32 m0, s2, -7
	v_movrels_b32_e32 v117, v34
	v_mov_b32_e32 v112, s7
	s_add_co_i32 m0, s2, -6
	s_add_co_i32 s7, s7, 32
	v_movrels_b32_e32 v126, v34
	ds_load_2addr_b32 v[118:119], v112 offset1:1
	ds_load_2addr_b32 v[120:121], v112 offset0:2 offset1:3
	s_add_co_i32 m0, s2, -5
	s_wait_dscnt 0x1
	v_fmac_f32_e32 v116, v117, v118
	ds_load_2addr_b32 v[122:123], v112 offset0:4 offset1:5
	ds_load_2addr_b32 v[124:125], v112 offset0:6 offset1:7
	v_movrels_b32_e32 v112, v34
	s_add_co_i32 m0, s2, -4
	v_fmac_f32_e32 v116, v126, v119
	v_movrels_b32_e32 v117, v34
	s_add_co_i32 m0, s2, -3
	s_wait_dscnt 0x2
	s_delay_alu instid0(VALU_DEP_2) | instskip(SKIP_2) | instid1(VALU_DEP_2)
	v_fmac_f32_e32 v116, v112, v120
	v_movrels_b32_e32 v112, v34
	s_add_co_i32 m0, s2, -2
	v_fmac_f32_e32 v116, v117, v121
	v_movrels_b32_e32 v117, v34
	s_add_co_i32 m0, s2, -1
	s_wait_dscnt 0x1
	s_delay_alu instid0(VALU_DEP_2)
	v_fmac_f32_e32 v116, v112, v122
	v_movrels_b32_e32 v112, v34
	s_mov_b32 m0, s2
	s_add_nc_u64 s[2:3], s[2:3], 8
	v_movrels_b32_e32 v118, v34
	v_dual_fmac_f32 v116, v117, v123 :: v_dual_add_nc_u32 v117, s2, v114
	s_add_co_i32 s8, s2, -7
	s_wait_dscnt 0x0
	s_delay_alu instid0(VALU_DEP_1) | instskip(NEXT) | instid1(VALU_DEP_2)
	v_fmac_f32_e32 v116, v112, v124
	v_cmp_eq_u32_e32 vcc_lo, 12, v117
	s_delay_alu instid0(VALU_DEP_2) | instskip(SKIP_1) | instid1(SALU_CYCLE_1)
	v_dual_mov_b32 v112, s8 :: v_dual_fmac_f32 v116, v118, v125
	s_or_b32 s6, vcc_lo, s6
	s_and_not1_b32 exec_lo, exec_lo, s6
	s_cbranch_execnz .LBB86_265
; %bb.266:
	s_or_b32 exec_lo, exec_lo, s6
.LBB86_267:
	s_delay_alu instid0(SALU_CYCLE_1) | instskip(SKIP_3) | instid1(VALU_DEP_1)
	s_or_b32 exec_lo, exec_lo, s1
	v_and_b32_e32 v57, 7, v113
	s_mov_b32 s2, 0
	s_mov_b32 s1, exec_lo
	v_cmpx_ne_u32_e32 0, v57
	s_cbranch_execz .LBB86_271
; %bb.268:
	v_lshl_add_u32 v58, v112, 2, 0x60
	v_mov_b32_e32 v113, 0
.LBB86_269:                             ; =>This Inner Loop Header: Depth=1
	v_cmp_eq_u32_e32 vcc_lo, 1, v112
	ds_load_b32 v60, v58
	v_dual_add_nc_u32 v57, -1, v57 :: v_dual_add_nc_u32 v58, 4, v58
	v_cndmask_b32_e32 v59, v34, v35, vcc_lo
	v_cmp_eq_u32_e32 vcc_lo, 2, v112
	s_delay_alu instid0(VALU_DEP_2) | instskip(SKIP_1) | instid1(VALU_DEP_2)
	v_cndmask_b32_e32 v59, v59, v36, vcc_lo
	v_cmp_eq_u32_e32 vcc_lo, 3, v112
	v_cndmask_b32_e32 v59, v59, v37, vcc_lo
	v_cmp_eq_u32_e32 vcc_lo, 4, v112
	s_delay_alu instid0(VALU_DEP_2) | instskip(SKIP_1) | instid1(VALU_DEP_2)
	v_cndmask_b32_e32 v59, v59, v38, vcc_lo
	v_cmp_eq_u32_e32 vcc_lo, 5, v112
	;; [unrolled: 5-line block ×10, first 2 shown]
	v_cndmask_b32_e32 v59, v59, v55, vcc_lo
	v_cmp_eq_u32_e32 vcc_lo, 22, v112
	v_add_nc_u64_e32 v[112:113], 1, v[112:113]
	s_delay_alu instid0(VALU_DEP_3) | instskip(SKIP_2) | instid1(VALU_DEP_2)
	v_cndmask_b32_e32 v59, v59, v56, vcc_lo
	v_cmp_eq_u32_e32 vcc_lo, 0, v57
	s_wait_dscnt 0x0
	v_fmac_f32_e32 v116, v59, v60
	s_or_b32 s2, vcc_lo, s2
	s_delay_alu instid0(SALU_CYCLE_1)
	s_and_not1_b32 exec_lo, exec_lo, s2
	s_cbranch_execnz .LBB86_269
; %bb.270:
	s_or_b32 exec_lo, exec_lo, s2
.LBB86_271:
	s_delay_alu instid0(SALU_CYCLE_1)
	s_or_b32 exec_lo, exec_lo, s1
.LBB86_272:
	s_delay_alu instid0(SALU_CYCLE_1)
	s_or_b32 exec_lo, exec_lo, s5
	v_mov_b32_e32 v38, 0
	ds_load_b32 v38, v38 offset:16
	s_wait_dscnt 0x0
	v_mul_f32_e32 v38, v116, v38
.LBB86_273:
	s_or_b32 exec_lo, exec_lo, s4
	v_cmp_lt_u32_e64 s1, 3, v0
	ds_store_b32 v115, v37
	s_wait_dscnt 0x0
	s_barrier_signal -1
	s_barrier_wait -1
	s_and_saveexec_b32 s4, s1
	s_cbranch_execz .LBB86_289
; %bb.274:
	s_and_not1_b32 vcc_lo, exec_lo, s23
	s_cbranch_vccnz .LBB86_276
; %bb.275:
	v_cmp_eq_u32_e32 vcc_lo, 1, v0
	ds_load_b32 v113, v115
	v_cndmask_b32_e32 v112, v34, v35, vcc_lo
	v_cmp_eq_u32_e32 vcc_lo, 2, v0
	s_delay_alu instid0(VALU_DEP_2) | instskip(SKIP_1) | instid1(VALU_DEP_2)
	v_cndmask_b32_e32 v112, v112, v36, vcc_lo
	v_cmp_eq_u32_e32 vcc_lo, 3, v0
	v_cndmask_b32_e32 v112, v112, v37, vcc_lo
	v_cmp_eq_u32_e32 vcc_lo, 4, v0
	s_delay_alu instid0(VALU_DEP_2) | instskip(SKIP_1) | instid1(VALU_DEP_2)
	v_cndmask_b32_e32 v112, v112, v38, vcc_lo
	v_cmp_eq_u32_e32 vcc_lo, 5, v0
	;; [unrolled: 5-line block ×10, first 2 shown]
	v_cndmask_b32_e32 v112, v112, v55, vcc_lo
	v_cmp_eq_u32_e32 vcc_lo, 22, v0
	s_delay_alu instid0(VALU_DEP_2) | instskip(SKIP_1) | instid1(VALU_DEP_1)
	v_cndmask_b32_e32 v112, v112, v56, vcc_lo
	s_wait_dscnt 0x0
	v_mul_f32_e32 v116, v112, v113
	s_cbranch_execz .LBB86_277
	s_branch .LBB86_278
.LBB86_276:
                                        ; implicit-def: $vgpr116
.LBB86_277:
	ds_load_b32 v116, v115
.LBB86_278:
	s_and_saveexec_b32 s5, s0
	s_cbranch_execz .LBB86_288
; %bb.279:
	v_dual_add_nc_u32 v112, -5, v0 :: v_dual_add_nc_u32 v113, -4, v0
	s_delay_alu instid0(VALU_DEP_1)
	v_cmp_lt_u32_e32 vcc_lo, 6, v112
	v_mov_b32_e32 v112, 4
	s_and_saveexec_b32 s0, vcc_lo
	s_cbranch_execz .LBB86_283
; %bb.280:
	v_and_b32_e32 v112, -8, v113
	s_mov_b32 s6, 0
	s_mov_b64 s[2:3], 5
	s_movk_i32 s7, 0x70
	s_delay_alu instid0(VALU_DEP_1)
	v_sub_nc_u32_e32 v114, 0, v112
.LBB86_281:                             ; =>This Inner Loop Header: Depth=1
	s_add_co_i32 m0, s2, -1
	v_movrels_b32_e32 v117, v34
	v_mov_b32_e32 v112, s7
	s_mov_b32 m0, s2
	s_add_co_i32 s7, s7, 32
	v_movrels_b32_e32 v126, v34
	s_add_co_i32 m0, s2, 1
	ds_load_b128 v[118:121], v112
	ds_load_b128 v[122:125], v112 offset:16
	v_movrels_b32_e32 v112, v34
	s_add_co_i32 m0, s2, 2
	s_wait_dscnt 0x1
	v_fmac_f32_e32 v116, v117, v118
	v_movrels_b32_e32 v117, v34
	s_add_co_i32 m0, s2, 3
	s_delay_alu instid0(VALU_DEP_2) | instskip(NEXT) | instid1(VALU_DEP_1)
	v_fmac_f32_e32 v116, v126, v119
	v_fmac_f32_e32 v116, v112, v120
	v_movrels_b32_e32 v112, v34
	s_add_co_i32 m0, s2, 4
	s_delay_alu instid0(VALU_DEP_2) | instskip(SKIP_3) | instid1(VALU_DEP_2)
	v_fmac_f32_e32 v116, v117, v121
	v_movrels_b32_e32 v117, v34
	s_add_co_i32 m0, s2, 5
	s_wait_dscnt 0x0
	v_fmac_f32_e32 v116, v112, v122
	v_movrels_b32_e32 v112, v34
	s_add_co_i32 m0, s2, 6
	s_add_nc_u64 s[2:3], s[2:3], 8
	v_movrels_b32_e32 v118, v34
	v_dual_fmac_f32 v116, v117, v123 :: v_dual_add_nc_u32 v117, s2, v114
	s_add_co_i32 s8, s2, -1
	s_delay_alu instid0(VALU_DEP_1) | instskip(NEXT) | instid1(VALU_DEP_2)
	v_fmac_f32_e32 v116, v112, v124
	v_cmp_eq_u32_e32 vcc_lo, 5, v117
	s_delay_alu instid0(VALU_DEP_2) | instskip(SKIP_1) | instid1(SALU_CYCLE_1)
	v_dual_mov_b32 v112, s8 :: v_dual_fmac_f32 v116, v118, v125
	s_or_b32 s6, vcc_lo, s6
	s_and_not1_b32 exec_lo, exec_lo, s6
	s_cbranch_execnz .LBB86_281
; %bb.282:
	s_or_b32 exec_lo, exec_lo, s6
.LBB86_283:
	s_delay_alu instid0(SALU_CYCLE_1) | instskip(SKIP_3) | instid1(VALU_DEP_1)
	s_or_b32 exec_lo, exec_lo, s0
	v_and_b32_e32 v57, 7, v113
	s_mov_b32 s2, 0
	s_mov_b32 s0, exec_lo
	v_cmpx_ne_u32_e32 0, v57
	s_cbranch_execz .LBB86_287
; %bb.284:
	v_lshl_add_u32 v58, v112, 2, 0x60
	v_mov_b32_e32 v113, 0
.LBB86_285:                             ; =>This Inner Loop Header: Depth=1
	v_cmp_eq_u32_e32 vcc_lo, 1, v112
	ds_load_b32 v60, v58
	v_dual_add_nc_u32 v57, -1, v57 :: v_dual_add_nc_u32 v58, 4, v58
	v_cndmask_b32_e32 v59, v34, v35, vcc_lo
	v_cmp_eq_u32_e32 vcc_lo, 2, v112
	s_delay_alu instid0(VALU_DEP_2) | instskip(SKIP_1) | instid1(VALU_DEP_2)
	v_cndmask_b32_e32 v59, v59, v36, vcc_lo
	v_cmp_eq_u32_e32 vcc_lo, 3, v112
	v_cndmask_b32_e32 v59, v59, v37, vcc_lo
	v_cmp_eq_u32_e32 vcc_lo, 4, v112
	s_delay_alu instid0(VALU_DEP_2) | instskip(SKIP_1) | instid1(VALU_DEP_2)
	v_cndmask_b32_e32 v59, v59, v38, vcc_lo
	v_cmp_eq_u32_e32 vcc_lo, 5, v112
	;; [unrolled: 5-line block ×10, first 2 shown]
	v_cndmask_b32_e32 v59, v59, v55, vcc_lo
	v_cmp_eq_u32_e32 vcc_lo, 22, v112
	v_add_nc_u64_e32 v[112:113], 1, v[112:113]
	s_delay_alu instid0(VALU_DEP_3) | instskip(SKIP_2) | instid1(VALU_DEP_2)
	v_cndmask_b32_e32 v59, v59, v56, vcc_lo
	v_cmp_eq_u32_e32 vcc_lo, 0, v57
	s_wait_dscnt 0x0
	v_fmac_f32_e32 v116, v59, v60
	s_or_b32 s2, vcc_lo, s2
	s_delay_alu instid0(SALU_CYCLE_1)
	s_and_not1_b32 exec_lo, exec_lo, s2
	s_cbranch_execnz .LBB86_285
; %bb.286:
	s_or_b32 exec_lo, exec_lo, s2
.LBB86_287:
	s_delay_alu instid0(SALU_CYCLE_1)
	s_or_b32 exec_lo, exec_lo, s0
.LBB86_288:
	s_delay_alu instid0(SALU_CYCLE_1)
	s_or_b32 exec_lo, exec_lo, s5
	v_mov_b32_e32 v37, 0
	ds_load_b32 v37, v37 offset:12
	s_wait_dscnt 0x0
	v_mul_f32_e32 v37, v116, v37
.LBB86_289:
	s_or_b32 exec_lo, exec_lo, s4
	v_cmp_lt_u32_e64 s0, 2, v0
	ds_store_b32 v115, v36
	s_wait_dscnt 0x0
	s_barrier_signal -1
	s_barrier_wait -1
	s_and_saveexec_b32 s4, s0
	s_cbranch_execz .LBB86_305
; %bb.290:
	s_and_not1_b32 vcc_lo, exec_lo, s23
	s_cbranch_vccnz .LBB86_292
; %bb.291:
	v_cmp_eq_u32_e32 vcc_lo, 1, v0
	ds_load_b32 v113, v115
	v_cndmask_b32_e32 v112, v34, v35, vcc_lo
	v_cmp_eq_u32_e32 vcc_lo, 2, v0
	s_delay_alu instid0(VALU_DEP_2) | instskip(SKIP_1) | instid1(VALU_DEP_2)
	v_cndmask_b32_e32 v112, v112, v36, vcc_lo
	v_cmp_eq_u32_e32 vcc_lo, 3, v0
	v_cndmask_b32_e32 v112, v112, v37, vcc_lo
	v_cmp_eq_u32_e32 vcc_lo, 4, v0
	s_delay_alu instid0(VALU_DEP_2) | instskip(SKIP_1) | instid1(VALU_DEP_2)
	v_cndmask_b32_e32 v112, v112, v38, vcc_lo
	v_cmp_eq_u32_e32 vcc_lo, 5, v0
	;; [unrolled: 5-line block ×10, first 2 shown]
	v_cndmask_b32_e32 v112, v112, v55, vcc_lo
	v_cmp_eq_u32_e32 vcc_lo, 22, v0
	s_delay_alu instid0(VALU_DEP_2) | instskip(SKIP_1) | instid1(VALU_DEP_1)
	v_cndmask_b32_e32 v112, v112, v56, vcc_lo
	s_wait_dscnt 0x0
	v_mul_f32_e32 v116, v112, v113
	s_cbranch_execz .LBB86_293
	s_branch .LBB86_294
.LBB86_292:
                                        ; implicit-def: $vgpr116
.LBB86_293:
	ds_load_b32 v116, v115
.LBB86_294:
	s_and_saveexec_b32 s5, s1
	s_cbranch_execz .LBB86_304
; %bb.295:
	v_dual_add_nc_u32 v112, -4, v0 :: v_dual_add_nc_u32 v113, -3, v0
	s_delay_alu instid0(VALU_DEP_1)
	v_cmp_lt_u32_e32 vcc_lo, 6, v112
	v_mov_b32_e32 v112, 3
	s_and_saveexec_b32 s1, vcc_lo
	s_cbranch_execz .LBB86_299
; %bb.296:
	v_and_b32_e32 v112, -8, v113
	s_mov_b32 s6, 0
	s_mov_b64 s[2:3], 10
	s_movk_i32 s7, 0x6c
	s_delay_alu instid0(VALU_DEP_1)
	v_sub_nc_u32_e32 v114, 0, v112
.LBB86_297:                             ; =>This Inner Loop Header: Depth=1
	s_add_co_i32 m0, s2, -7
	v_movrels_b32_e32 v117, v34
	v_mov_b32_e32 v112, s7
	s_add_co_i32 m0, s2, -6
	s_add_co_i32 s7, s7, 32
	v_movrels_b32_e32 v126, v34
	ds_load_2addr_b32 v[118:119], v112 offset1:1
	ds_load_2addr_b32 v[120:121], v112 offset0:2 offset1:3
	s_add_co_i32 m0, s2, -5
	s_wait_dscnt 0x1
	v_fmac_f32_e32 v116, v117, v118
	ds_load_2addr_b32 v[122:123], v112 offset0:4 offset1:5
	ds_load_2addr_b32 v[124:125], v112 offset0:6 offset1:7
	v_movrels_b32_e32 v112, v34
	s_add_co_i32 m0, s2, -4
	v_fmac_f32_e32 v116, v126, v119
	v_movrels_b32_e32 v117, v34
	s_add_co_i32 m0, s2, -3
	s_wait_dscnt 0x2
	s_delay_alu instid0(VALU_DEP_2) | instskip(SKIP_2) | instid1(VALU_DEP_2)
	v_fmac_f32_e32 v116, v112, v120
	v_movrels_b32_e32 v112, v34
	s_add_co_i32 m0, s2, -2
	v_fmac_f32_e32 v116, v117, v121
	v_movrels_b32_e32 v117, v34
	s_add_co_i32 m0, s2, -1
	s_wait_dscnt 0x1
	s_delay_alu instid0(VALU_DEP_2)
	v_fmac_f32_e32 v116, v112, v122
	v_movrels_b32_e32 v112, v34
	s_mov_b32 m0, s2
	s_add_nc_u64 s[2:3], s[2:3], 8
	v_movrels_b32_e32 v118, v34
	v_dual_fmac_f32 v116, v117, v123 :: v_dual_add_nc_u32 v117, s2, v114
	s_add_co_i32 s8, s2, -7
	s_wait_dscnt 0x0
	s_delay_alu instid0(VALU_DEP_1) | instskip(NEXT) | instid1(VALU_DEP_2)
	v_fmac_f32_e32 v116, v112, v124
	v_cmp_eq_u32_e32 vcc_lo, 10, v117
	s_delay_alu instid0(VALU_DEP_2) | instskip(SKIP_1) | instid1(SALU_CYCLE_1)
	v_dual_mov_b32 v112, s8 :: v_dual_fmac_f32 v116, v118, v125
	s_or_b32 s6, vcc_lo, s6
	s_and_not1_b32 exec_lo, exec_lo, s6
	s_cbranch_execnz .LBB86_297
; %bb.298:
	s_or_b32 exec_lo, exec_lo, s6
.LBB86_299:
	s_delay_alu instid0(SALU_CYCLE_1) | instskip(SKIP_3) | instid1(VALU_DEP_1)
	s_or_b32 exec_lo, exec_lo, s1
	v_and_b32_e32 v57, 7, v113
	s_mov_b32 s2, 0
	s_mov_b32 s1, exec_lo
	v_cmpx_ne_u32_e32 0, v57
	s_cbranch_execz .LBB86_303
; %bb.300:
	v_lshl_add_u32 v58, v112, 2, 0x60
	v_mov_b32_e32 v113, 0
.LBB86_301:                             ; =>This Inner Loop Header: Depth=1
	v_cmp_eq_u32_e32 vcc_lo, 1, v112
	ds_load_b32 v60, v58
	v_dual_add_nc_u32 v57, -1, v57 :: v_dual_add_nc_u32 v58, 4, v58
	v_cndmask_b32_e32 v59, v34, v35, vcc_lo
	v_cmp_eq_u32_e32 vcc_lo, 2, v112
	s_delay_alu instid0(VALU_DEP_2) | instskip(SKIP_1) | instid1(VALU_DEP_2)
	v_cndmask_b32_e32 v59, v59, v36, vcc_lo
	v_cmp_eq_u32_e32 vcc_lo, 3, v112
	v_cndmask_b32_e32 v59, v59, v37, vcc_lo
	v_cmp_eq_u32_e32 vcc_lo, 4, v112
	s_delay_alu instid0(VALU_DEP_2) | instskip(SKIP_1) | instid1(VALU_DEP_2)
	v_cndmask_b32_e32 v59, v59, v38, vcc_lo
	v_cmp_eq_u32_e32 vcc_lo, 5, v112
	;; [unrolled: 5-line block ×10, first 2 shown]
	v_cndmask_b32_e32 v59, v59, v55, vcc_lo
	v_cmp_eq_u32_e32 vcc_lo, 22, v112
	v_add_nc_u64_e32 v[112:113], 1, v[112:113]
	s_delay_alu instid0(VALU_DEP_3) | instskip(SKIP_2) | instid1(VALU_DEP_2)
	v_cndmask_b32_e32 v59, v59, v56, vcc_lo
	v_cmp_eq_u32_e32 vcc_lo, 0, v57
	s_wait_dscnt 0x0
	v_fmac_f32_e32 v116, v59, v60
	s_or_b32 s2, vcc_lo, s2
	s_delay_alu instid0(SALU_CYCLE_1)
	s_and_not1_b32 exec_lo, exec_lo, s2
	s_cbranch_execnz .LBB86_301
; %bb.302:
	s_or_b32 exec_lo, exec_lo, s2
.LBB86_303:
	s_delay_alu instid0(SALU_CYCLE_1)
	s_or_b32 exec_lo, exec_lo, s1
.LBB86_304:
	s_delay_alu instid0(SALU_CYCLE_1)
	s_or_b32 exec_lo, exec_lo, s5
	v_mov_b32_e32 v36, 0
	ds_load_b32 v36, v36 offset:8
	s_wait_dscnt 0x0
	v_mul_f32_e32 v36, v116, v36
.LBB86_305:
	s_or_b32 exec_lo, exec_lo, s4
	v_cmp_lt_u32_e64 s1, 1, v0
	ds_store_b32 v115, v35
	s_wait_dscnt 0x0
	s_barrier_signal -1
	s_barrier_wait -1
	s_and_saveexec_b32 s4, s1
	s_cbranch_execz .LBB86_321
; %bb.306:
	s_and_not1_b32 vcc_lo, exec_lo, s23
	s_cbranch_vccnz .LBB86_308
; %bb.307:
	v_cmp_eq_u32_e32 vcc_lo, 1, v0
	ds_load_b32 v113, v115
	v_cndmask_b32_e32 v112, v34, v35, vcc_lo
	v_cmp_eq_u32_e32 vcc_lo, 2, v0
	s_delay_alu instid0(VALU_DEP_2) | instskip(SKIP_1) | instid1(VALU_DEP_2)
	v_cndmask_b32_e32 v112, v112, v36, vcc_lo
	v_cmp_eq_u32_e32 vcc_lo, 3, v0
	v_cndmask_b32_e32 v112, v112, v37, vcc_lo
	v_cmp_eq_u32_e32 vcc_lo, 4, v0
	s_delay_alu instid0(VALU_DEP_2) | instskip(SKIP_1) | instid1(VALU_DEP_2)
	v_cndmask_b32_e32 v112, v112, v38, vcc_lo
	v_cmp_eq_u32_e32 vcc_lo, 5, v0
	;; [unrolled: 5-line block ×10, first 2 shown]
	v_cndmask_b32_e32 v112, v112, v55, vcc_lo
	v_cmp_eq_u32_e32 vcc_lo, 22, v0
	s_delay_alu instid0(VALU_DEP_2) | instskip(SKIP_1) | instid1(VALU_DEP_1)
	v_cndmask_b32_e32 v112, v112, v56, vcc_lo
	s_wait_dscnt 0x0
	v_mul_f32_e32 v116, v112, v113
	s_cbranch_execz .LBB86_309
	s_branch .LBB86_310
.LBB86_308:
                                        ; implicit-def: $vgpr116
.LBB86_309:
	ds_load_b32 v116, v115
.LBB86_310:
	s_and_saveexec_b32 s5, s0
	s_cbranch_execz .LBB86_320
; %bb.311:
	v_dual_add_nc_u32 v112, -3, v0 :: v_dual_add_nc_u32 v113, -2, v0
	s_delay_alu instid0(VALU_DEP_1)
	v_cmp_lt_u32_e32 vcc_lo, 6, v112
	v_mov_b32_e32 v112, 2
	s_and_saveexec_b32 s0, vcc_lo
	s_cbranch_execz .LBB86_315
; %bb.312:
	v_and_b32_e32 v112, -8, v113
	s_mov_b32 s6, 0
	s_mov_b64 s[2:3], 9
	s_movk_i32 s7, 0x68
	s_delay_alu instid0(VALU_DEP_1)
	v_sub_nc_u32_e32 v114, 0, v112
.LBB86_313:                             ; =>This Inner Loop Header: Depth=1
	s_add_co_i32 m0, s2, -7
	v_movrels_b32_e32 v117, v34
	v_mov_b32_e32 v112, s7
	s_add_co_i32 m0, s2, -6
	s_add_co_i32 s7, s7, 32
	v_movrels_b32_e32 v126, v34
	s_add_co_i32 m0, s2, -5
	ds_load_2addr_b64 v[118:121], v112 offset1:1
	ds_load_2addr_b64 v[122:125], v112 offset0:2 offset1:3
	v_movrels_b32_e32 v112, v34
	s_add_co_i32 m0, s2, -4
	s_wait_dscnt 0x1
	v_fmac_f32_e32 v116, v117, v118
	v_movrels_b32_e32 v117, v34
	s_add_co_i32 m0, s2, -3
	s_delay_alu instid0(VALU_DEP_2) | instskip(NEXT) | instid1(VALU_DEP_1)
	v_fmac_f32_e32 v116, v126, v119
	v_fmac_f32_e32 v116, v112, v120
	v_movrels_b32_e32 v112, v34
	s_add_co_i32 m0, s2, -2
	s_delay_alu instid0(VALU_DEP_2) | instskip(SKIP_3) | instid1(VALU_DEP_2)
	v_fmac_f32_e32 v116, v117, v121
	v_movrels_b32_e32 v117, v34
	s_add_co_i32 m0, s2, -1
	s_wait_dscnt 0x0
	v_fmac_f32_e32 v116, v112, v122
	v_movrels_b32_e32 v112, v34
	s_mov_b32 m0, s2
	s_add_nc_u64 s[2:3], s[2:3], 8
	v_movrels_b32_e32 v118, v34
	v_dual_fmac_f32 v116, v117, v123 :: v_dual_add_nc_u32 v117, s2, v114
	s_add_co_i32 s8, s2, -7
	s_delay_alu instid0(VALU_DEP_1) | instskip(NEXT) | instid1(VALU_DEP_2)
	v_fmac_f32_e32 v116, v112, v124
	v_cmp_eq_u32_e32 vcc_lo, 9, v117
	s_delay_alu instid0(VALU_DEP_2) | instskip(SKIP_1) | instid1(SALU_CYCLE_1)
	v_dual_mov_b32 v112, s8 :: v_dual_fmac_f32 v116, v118, v125
	s_or_b32 s6, vcc_lo, s6
	s_and_not1_b32 exec_lo, exec_lo, s6
	s_cbranch_execnz .LBB86_313
; %bb.314:
	s_or_b32 exec_lo, exec_lo, s6
.LBB86_315:
	s_delay_alu instid0(SALU_CYCLE_1) | instskip(SKIP_3) | instid1(VALU_DEP_1)
	s_or_b32 exec_lo, exec_lo, s0
	v_and_b32_e32 v57, 7, v113
	s_mov_b32 s2, 0
	s_mov_b32 s0, exec_lo
	v_cmpx_ne_u32_e32 0, v57
	s_cbranch_execz .LBB86_319
; %bb.316:
	v_lshl_add_u32 v58, v112, 2, 0x60
	v_mov_b32_e32 v113, 0
.LBB86_317:                             ; =>This Inner Loop Header: Depth=1
	v_cmp_eq_u32_e32 vcc_lo, 1, v112
	ds_load_b32 v60, v58
	v_dual_add_nc_u32 v57, -1, v57 :: v_dual_add_nc_u32 v58, 4, v58
	v_cndmask_b32_e32 v59, v34, v35, vcc_lo
	v_cmp_eq_u32_e32 vcc_lo, 2, v112
	s_delay_alu instid0(VALU_DEP_2) | instskip(SKIP_1) | instid1(VALU_DEP_2)
	v_cndmask_b32_e32 v59, v59, v36, vcc_lo
	v_cmp_eq_u32_e32 vcc_lo, 3, v112
	v_cndmask_b32_e32 v59, v59, v37, vcc_lo
	v_cmp_eq_u32_e32 vcc_lo, 4, v112
	s_delay_alu instid0(VALU_DEP_2) | instskip(SKIP_1) | instid1(VALU_DEP_2)
	v_cndmask_b32_e32 v59, v59, v38, vcc_lo
	v_cmp_eq_u32_e32 vcc_lo, 5, v112
	;; [unrolled: 5-line block ×10, first 2 shown]
	v_cndmask_b32_e32 v59, v59, v55, vcc_lo
	v_cmp_eq_u32_e32 vcc_lo, 22, v112
	v_add_nc_u64_e32 v[112:113], 1, v[112:113]
	s_delay_alu instid0(VALU_DEP_3) | instskip(SKIP_2) | instid1(VALU_DEP_2)
	v_cndmask_b32_e32 v59, v59, v56, vcc_lo
	v_cmp_eq_u32_e32 vcc_lo, 0, v57
	s_wait_dscnt 0x0
	v_fmac_f32_e32 v116, v59, v60
	s_or_b32 s2, vcc_lo, s2
	s_delay_alu instid0(SALU_CYCLE_1)
	s_and_not1_b32 exec_lo, exec_lo, s2
	s_cbranch_execnz .LBB86_317
; %bb.318:
	s_or_b32 exec_lo, exec_lo, s2
.LBB86_319:
	s_delay_alu instid0(SALU_CYCLE_1)
	s_or_b32 exec_lo, exec_lo, s0
.LBB86_320:
	s_delay_alu instid0(SALU_CYCLE_1)
	s_or_b32 exec_lo, exec_lo, s5
	v_mov_b32_e32 v35, 0
	ds_load_b32 v35, v35 offset:4
	s_wait_dscnt 0x0
	v_mul_f32_e32 v35, v116, v35
.LBB86_321:
	s_or_b32 exec_lo, exec_lo, s4
	s_mov_b32 s2, 0
	s_mov_b32 s3, exec_lo
	ds_store_b32 v115, v34
	s_wait_dscnt 0x0
	s_barrier_signal -1
	s_barrier_wait -1
	v_cmpx_ne_u32_e32 0, v0
	s_cbranch_execz .LBB86_337
; %bb.322:
	s_and_not1_b32 vcc_lo, exec_lo, s23
	s_cbranch_vccnz .LBB86_324
; %bb.323:
	v_cmp_eq_u32_e32 vcc_lo, 1, v0
	ds_load_b32 v113, v115
	v_cndmask_b32_e32 v112, v34, v35, vcc_lo
	v_cmp_eq_u32_e32 vcc_lo, 2, v0
	s_delay_alu instid0(VALU_DEP_2) | instskip(SKIP_1) | instid1(VALU_DEP_2)
	v_cndmask_b32_e32 v112, v112, v36, vcc_lo
	v_cmp_eq_u32_e32 vcc_lo, 3, v0
	v_cndmask_b32_e32 v112, v112, v37, vcc_lo
	v_cmp_eq_u32_e32 vcc_lo, 4, v0
	s_delay_alu instid0(VALU_DEP_2) | instskip(SKIP_1) | instid1(VALU_DEP_2)
	v_cndmask_b32_e32 v112, v112, v38, vcc_lo
	v_cmp_eq_u32_e32 vcc_lo, 5, v0
	;; [unrolled: 5-line block ×10, first 2 shown]
	v_cndmask_b32_e32 v112, v112, v55, vcc_lo
	v_cmp_eq_u32_e32 vcc_lo, 22, v0
	s_delay_alu instid0(VALU_DEP_2) | instskip(SKIP_1) | instid1(VALU_DEP_1)
	v_cndmask_b32_e32 v112, v112, v56, vcc_lo
	s_wait_dscnt 0x0
	v_mul_f32_e32 v116, v112, v113
	s_cbranch_execz .LBB86_325
	s_branch .LBB86_326
.LBB86_324:
                                        ; implicit-def: $vgpr116
.LBB86_325:
	ds_load_b32 v116, v115
.LBB86_326:
	s_and_saveexec_b32 s4, s1
	s_cbranch_execz .LBB86_336
; %bb.327:
	v_dual_add_nc_u32 v112, -2, v0 :: v_dual_add_nc_u32 v113, -1, v0
	s_delay_alu instid0(VALU_DEP_1)
	v_cmp_lt_u32_e32 vcc_lo, 6, v112
	v_mov_b32_e32 v112, 1
	s_and_saveexec_b32 s5, vcc_lo
	s_cbranch_execz .LBB86_331
; %bb.328:
	v_and_b32_e32 v112, -8, v113
	s_mov_b32 s6, 0
	s_mov_b64 s[0:1], 8
	s_movk_i32 s7, 0x64
	s_delay_alu instid0(VALU_DEP_1)
	v_sub_nc_u32_e32 v114, 0, v112
.LBB86_329:                             ; =>This Inner Loop Header: Depth=1
	s_add_co_i32 m0, s0, -7
	v_movrels_b32_e32 v117, v34
	v_mov_b32_e32 v112, s7
	s_add_co_i32 m0, s0, -6
	s_add_co_i32 s7, s7, 32
	v_movrels_b32_e32 v126, v34
	ds_load_2addr_b32 v[118:119], v112 offset1:1
	ds_load_2addr_b32 v[120:121], v112 offset0:2 offset1:3
	s_add_co_i32 m0, s0, -5
	s_wait_dscnt 0x1
	v_fmac_f32_e32 v116, v117, v118
	ds_load_2addr_b32 v[122:123], v112 offset0:4 offset1:5
	ds_load_2addr_b32 v[124:125], v112 offset0:6 offset1:7
	v_movrels_b32_e32 v112, v34
	s_add_co_i32 m0, s0, -4
	v_fmac_f32_e32 v116, v126, v119
	v_movrels_b32_e32 v117, v34
	s_add_co_i32 m0, s0, -3
	s_wait_dscnt 0x2
	s_delay_alu instid0(VALU_DEP_2) | instskip(SKIP_2) | instid1(VALU_DEP_2)
	v_fmac_f32_e32 v116, v112, v120
	v_movrels_b32_e32 v112, v34
	s_add_co_i32 m0, s0, -2
	v_fmac_f32_e32 v116, v117, v121
	v_movrels_b32_e32 v117, v34
	s_add_co_i32 m0, s0, -1
	s_wait_dscnt 0x1
	s_delay_alu instid0(VALU_DEP_2)
	v_fmac_f32_e32 v116, v112, v122
	v_movrels_b32_e32 v112, v34
	s_mov_b32 m0, s0
	s_add_nc_u64 s[0:1], s[0:1], 8
	v_movrels_b32_e32 v118, v34
	v_dual_fmac_f32 v116, v117, v123 :: v_dual_add_nc_u32 v117, s0, v114
	s_add_co_i32 s8, s0, -7
	s_wait_dscnt 0x0
	s_delay_alu instid0(VALU_DEP_1) | instskip(NEXT) | instid1(VALU_DEP_2)
	v_fmac_f32_e32 v116, v112, v124
	v_cmp_eq_u32_e32 vcc_lo, 8, v117
	s_delay_alu instid0(VALU_DEP_2) | instskip(SKIP_1) | instid1(SALU_CYCLE_1)
	v_dual_mov_b32 v112, s8 :: v_dual_fmac_f32 v116, v118, v125
	s_or_b32 s6, vcc_lo, s6
	s_and_not1_b32 exec_lo, exec_lo, s6
	s_cbranch_execnz .LBB86_329
; %bb.330:
	s_or_b32 exec_lo, exec_lo, s6
.LBB86_331:
	s_delay_alu instid0(SALU_CYCLE_1) | instskip(SKIP_3) | instid1(VALU_DEP_1)
	s_or_b32 exec_lo, exec_lo, s5
	v_and_b32_e32 v57, 7, v113
	s_mov_b32 s1, 0
	s_mov_b32 s0, exec_lo
	v_cmpx_ne_u32_e32 0, v57
	s_cbranch_execz .LBB86_335
; %bb.332:
	v_lshl_add_u32 v58, v112, 2, 0x60
	v_mov_b32_e32 v113, 0
.LBB86_333:                             ; =>This Inner Loop Header: Depth=1
	v_cmp_eq_u32_e32 vcc_lo, 1, v112
	ds_load_b32 v60, v58
	v_dual_add_nc_u32 v57, -1, v57 :: v_dual_add_nc_u32 v58, 4, v58
	v_cndmask_b32_e32 v59, v34, v35, vcc_lo
	v_cmp_eq_u32_e32 vcc_lo, 2, v112
	s_delay_alu instid0(VALU_DEP_2) | instskip(SKIP_1) | instid1(VALU_DEP_2)
	v_cndmask_b32_e32 v59, v59, v36, vcc_lo
	v_cmp_eq_u32_e32 vcc_lo, 3, v112
	v_cndmask_b32_e32 v59, v59, v37, vcc_lo
	v_cmp_eq_u32_e32 vcc_lo, 4, v112
	s_delay_alu instid0(VALU_DEP_2) | instskip(SKIP_1) | instid1(VALU_DEP_2)
	v_cndmask_b32_e32 v59, v59, v38, vcc_lo
	v_cmp_eq_u32_e32 vcc_lo, 5, v112
	;; [unrolled: 5-line block ×10, first 2 shown]
	v_cndmask_b32_e32 v59, v59, v55, vcc_lo
	v_cmp_eq_u32_e32 vcc_lo, 22, v112
	v_add_nc_u64_e32 v[112:113], 1, v[112:113]
	s_delay_alu instid0(VALU_DEP_3) | instskip(SKIP_2) | instid1(VALU_DEP_2)
	v_cndmask_b32_e32 v59, v59, v56, vcc_lo
	v_cmp_eq_u32_e32 vcc_lo, 0, v57
	s_wait_dscnt 0x0
	v_fmac_f32_e32 v116, v59, v60
	s_or_b32 s1, vcc_lo, s1
	s_delay_alu instid0(SALU_CYCLE_1)
	s_and_not1_b32 exec_lo, exec_lo, s1
	s_cbranch_execnz .LBB86_333
; %bb.334:
	s_or_b32 exec_lo, exec_lo, s1
.LBB86_335:
	s_delay_alu instid0(SALU_CYCLE_1)
	s_or_b32 exec_lo, exec_lo, s0
.LBB86_336:
	s_delay_alu instid0(SALU_CYCLE_1)
	s_or_b32 exec_lo, exec_lo, s4
	v_mov_b32_e32 v34, 0
	ds_load_b32 v34, v34
	s_wait_dscnt 0x0
	v_mul_f32_e32 v34, v116, v34
.LBB86_337:
	s_or_b32 exec_lo, exec_lo, s3
	s_delay_alu instid0(SALU_CYCLE_1)
	s_and_b32 vcc_lo, exec_lo, s2
	s_cbranch_vccz .LBB86_561
.LBB86_338:
	v_cmp_eq_u32_e64 s0, 0, v0
	s_wait_loadcnt_dscnt 0x1617
	ds_store_b32 v115, v3
	s_wait_loadcnt_dscnt 0x0
	s_barrier_signal -1
	s_barrier_wait -1
	s_and_saveexec_b32 s1, s0
	s_cbranch_execz .LBB86_344
; %bb.339:
	s_and_b32 vcc_lo, exec_lo, s23
	s_cbranch_vccz .LBB86_341
; %bb.340:
	v_cmp_eq_u32_e32 vcc_lo, 1, v0
	ds_load_b32 v25, v115
	v_cndmask_b32_e32 v3, v2, v3, vcc_lo
	v_cmp_eq_u32_e32 vcc_lo, 2, v0
	s_delay_alu instid0(VALU_DEP_2) | instskip(SKIP_1) | instid1(VALU_DEP_2)
	v_cndmask_b32_e32 v3, v3, v4, vcc_lo
	v_cmp_eq_u32_e32 vcc_lo, 3, v0
	v_cndmask_b32_e32 v3, v3, v5, vcc_lo
	v_cmp_eq_u32_e32 vcc_lo, 4, v0
	s_delay_alu instid0(VALU_DEP_2) | instskip(SKIP_1) | instid1(VALU_DEP_2)
	v_cndmask_b32_e32 v3, v3, v6, vcc_lo
	v_cmp_eq_u32_e32 vcc_lo, 5, v0
	v_cndmask_b32_e32 v3, v3, v7, vcc_lo
	v_cmp_eq_u32_e32 vcc_lo, 6, v0
	s_delay_alu instid0(VALU_DEP_2) | instskip(SKIP_1) | instid1(VALU_DEP_2)
	v_cndmask_b32_e32 v3, v3, v8, vcc_lo
	v_cmp_eq_u32_e32 vcc_lo, 7, v0
	v_cndmask_b32_e32 v3, v3, v9, vcc_lo
	v_cmp_eq_u32_e32 vcc_lo, 8, v0
	s_delay_alu instid0(VALU_DEP_2) | instskip(SKIP_1) | instid1(VALU_DEP_2)
	v_cndmask_b32_e32 v3, v3, v10, vcc_lo
	v_cmp_eq_u32_e32 vcc_lo, 9, v0
	v_cndmask_b32_e32 v3, v3, v11, vcc_lo
	v_cmp_eq_u32_e32 vcc_lo, 10, v0
	s_delay_alu instid0(VALU_DEP_2) | instskip(SKIP_1) | instid1(VALU_DEP_2)
	v_cndmask_b32_e32 v3, v3, v12, vcc_lo
	v_cmp_eq_u32_e32 vcc_lo, 11, v0
	v_cndmask_b32_e32 v3, v3, v13, vcc_lo
	v_cmp_eq_u32_e32 vcc_lo, 12, v0
	s_delay_alu instid0(VALU_DEP_2) | instskip(SKIP_1) | instid1(VALU_DEP_2)
	v_cndmask_b32_e32 v3, v3, v14, vcc_lo
	v_cmp_eq_u32_e32 vcc_lo, 13, v0
	v_cndmask_b32_e32 v3, v3, v15, vcc_lo
	v_cmp_eq_u32_e32 vcc_lo, 14, v0
	s_delay_alu instid0(VALU_DEP_2) | instskip(SKIP_1) | instid1(VALU_DEP_2)
	v_cndmask_b32_e32 v3, v3, v16, vcc_lo
	v_cmp_eq_u32_e32 vcc_lo, 15, v0
	v_cndmask_b32_e32 v3, v3, v17, vcc_lo
	v_cmp_eq_u32_e32 vcc_lo, 16, v0
	s_delay_alu instid0(VALU_DEP_2) | instskip(SKIP_1) | instid1(VALU_DEP_2)
	v_cndmask_b32_e32 v3, v3, v18, vcc_lo
	v_cmp_eq_u32_e32 vcc_lo, 17, v0
	v_cndmask_b32_e32 v3, v3, v19, vcc_lo
	v_cmp_eq_u32_e32 vcc_lo, 18, v0
	s_delay_alu instid0(VALU_DEP_2) | instskip(SKIP_1) | instid1(VALU_DEP_2)
	v_cndmask_b32_e32 v3, v3, v20, vcc_lo
	v_cmp_eq_u32_e32 vcc_lo, 19, v0
	v_cndmask_b32_e32 v3, v3, v21, vcc_lo
	v_cmp_eq_u32_e32 vcc_lo, 20, v0
	s_delay_alu instid0(VALU_DEP_2) | instskip(SKIP_1) | instid1(VALU_DEP_2)
	v_cndmask_b32_e32 v3, v3, v22, vcc_lo
	v_cmp_eq_u32_e32 vcc_lo, 21, v0
	v_cndmask_b32_e32 v3, v3, v23, vcc_lo
	v_cmp_eq_u32_e32 vcc_lo, 22, v0
	s_delay_alu instid0(VALU_DEP_2) | instskip(SKIP_1) | instid1(VALU_DEP_1)
	v_cndmask_b32_e32 v3, v3, v24, vcc_lo
	s_wait_dscnt 0x0
	v_mul_f32_e32 v3, v3, v25
	s_cbranch_execz .LBB86_342
	s_branch .LBB86_343
.LBB86_341:
                                        ; implicit-def: $vgpr3
.LBB86_342:
	ds_load_b32 v3, v115
.LBB86_343:
	v_mov_b32_e32 v25, 0
	ds_load_b32 v25, v25 offset:4
	s_wait_dscnt 0x0
	v_mul_f32_e32 v3, v3, v25
.LBB86_344:
	s_or_b32 exec_lo, exec_lo, s1
	v_cndmask_b32_e64 v34, 0, 1, s23
	s_mov_b32 s1, exec_lo
	ds_store_b32 v115, v4
	s_wait_dscnt 0x0
	s_barrier_signal -1
	s_barrier_wait -1
	v_cmpx_gt_u32_e32 2, v0
	s_cbranch_execz .LBB86_350
; %bb.345:
	s_and_not1_b32 vcc_lo, exec_lo, s23
	s_cbranch_vccnz .LBB86_347
; %bb.346:
	v_cmp_eq_u32_e32 vcc_lo, 1, v0
	v_cndmask_b32_e32 v25, v2, v3, vcc_lo
	v_cmp_eq_u32_e32 vcc_lo, 2, v0
	s_delay_alu instid0(VALU_DEP_2) | instskip(SKIP_4) | instid1(VALU_DEP_2)
	v_cndmask_b32_e32 v4, v25, v4, vcc_lo
	v_cmp_eq_u32_e32 vcc_lo, 3, v0
	ds_load_b32 v25, v115
	v_cndmask_b32_e32 v4, v4, v5, vcc_lo
	v_cmp_eq_u32_e32 vcc_lo, 4, v0
	v_cndmask_b32_e32 v4, v4, v6, vcc_lo
	v_cmp_eq_u32_e32 vcc_lo, 5, v0
	s_delay_alu instid0(VALU_DEP_2) | instskip(SKIP_1) | instid1(VALU_DEP_2)
	v_cndmask_b32_e32 v4, v4, v7, vcc_lo
	v_cmp_eq_u32_e32 vcc_lo, 6, v0
	v_cndmask_b32_e32 v4, v4, v8, vcc_lo
	v_cmp_eq_u32_e32 vcc_lo, 7, v0
	s_delay_alu instid0(VALU_DEP_2) | instskip(SKIP_1) | instid1(VALU_DEP_2)
	v_cndmask_b32_e32 v4, v4, v9, vcc_lo
	v_cmp_eq_u32_e32 vcc_lo, 8, v0
	v_cndmask_b32_e32 v4, v4, v10, vcc_lo
	v_cmp_eq_u32_e32 vcc_lo, 9, v0
	s_delay_alu instid0(VALU_DEP_2) | instskip(SKIP_1) | instid1(VALU_DEP_2)
	v_cndmask_b32_e32 v4, v4, v11, vcc_lo
	v_cmp_eq_u32_e32 vcc_lo, 10, v0
	v_cndmask_b32_e32 v4, v4, v12, vcc_lo
	v_cmp_eq_u32_e32 vcc_lo, 11, v0
	s_delay_alu instid0(VALU_DEP_2) | instskip(SKIP_1) | instid1(VALU_DEP_2)
	v_cndmask_b32_e32 v4, v4, v13, vcc_lo
	v_cmp_eq_u32_e32 vcc_lo, 12, v0
	v_cndmask_b32_e32 v4, v4, v14, vcc_lo
	v_cmp_eq_u32_e32 vcc_lo, 13, v0
	s_delay_alu instid0(VALU_DEP_2) | instskip(SKIP_1) | instid1(VALU_DEP_2)
	v_cndmask_b32_e32 v4, v4, v15, vcc_lo
	v_cmp_eq_u32_e32 vcc_lo, 14, v0
	v_cndmask_b32_e32 v4, v4, v16, vcc_lo
	v_cmp_eq_u32_e32 vcc_lo, 15, v0
	s_delay_alu instid0(VALU_DEP_2) | instskip(SKIP_1) | instid1(VALU_DEP_2)
	v_cndmask_b32_e32 v4, v4, v17, vcc_lo
	v_cmp_eq_u32_e32 vcc_lo, 16, v0
	v_cndmask_b32_e32 v4, v4, v18, vcc_lo
	v_cmp_eq_u32_e32 vcc_lo, 17, v0
	s_delay_alu instid0(VALU_DEP_2) | instskip(SKIP_1) | instid1(VALU_DEP_2)
	v_cndmask_b32_e32 v4, v4, v19, vcc_lo
	v_cmp_eq_u32_e32 vcc_lo, 18, v0
	v_cndmask_b32_e32 v4, v4, v20, vcc_lo
	v_cmp_eq_u32_e32 vcc_lo, 19, v0
	s_delay_alu instid0(VALU_DEP_2) | instskip(SKIP_1) | instid1(VALU_DEP_2)
	v_cndmask_b32_e32 v4, v4, v21, vcc_lo
	v_cmp_eq_u32_e32 vcc_lo, 20, v0
	v_cndmask_b32_e32 v4, v4, v22, vcc_lo
	v_cmp_eq_u32_e32 vcc_lo, 21, v0
	s_delay_alu instid0(VALU_DEP_2) | instskip(SKIP_1) | instid1(VALU_DEP_2)
	v_cndmask_b32_e32 v4, v4, v23, vcc_lo
	v_cmp_eq_u32_e32 vcc_lo, 22, v0
	v_cndmask_b32_e32 v4, v4, v24, vcc_lo
	s_wait_dscnt 0x0
	s_delay_alu instid0(VALU_DEP_1)
	v_mul_f32_e32 v4, v4, v25
	s_cbranch_execz .LBB86_348
	s_branch .LBB86_349
.LBB86_347:
                                        ; implicit-def: $vgpr4
.LBB86_348:
	ds_load_b32 v4, v115
.LBB86_349:
	v_mov_b32_e32 v25, 0
	ds_load_2addr_b32 v[26:27], v25 offset0:2 offset1:25
	s_wait_dscnt 0x0
	v_fma_f32 v25, v3, v27, v4
	s_delay_alu instid0(VALU_DEP_1) | instskip(NEXT) | instid1(VALU_DEP_1)
	v_cndmask_b32_e64 v4, v4, v25, s0
	v_mul_f32_e32 v4, v4, v26
.LBB86_350:
	s_or_b32 exec_lo, exec_lo, s1
	v_add_nc_u32_e32 v35, 1, v0
	v_cmp_gt_u32_e64 s1, 3, v0
	ds_store_b32 v115, v5
	s_wait_dscnt 0x0
	s_barrier_signal -1
	s_barrier_wait -1
	s_and_saveexec_b32 s2, s1
	s_cbranch_execz .LBB86_358
; %bb.351:
	v_cmp_ne_u32_e32 vcc_lo, 1, v34
	s_cbranch_vccnz .LBB86_353
; %bb.352:
	v_cmp_eq_u32_e32 vcc_lo, 1, v0
	ds_load_b32 v26, v115
	v_cndmask_b32_e32 v25, v2, v3, vcc_lo
	v_cmp_eq_u32_e32 vcc_lo, 2, v0
	s_delay_alu instid0(VALU_DEP_2) | instskip(SKIP_1) | instid1(VALU_DEP_2)
	v_cndmask_b32_e32 v25, v25, v4, vcc_lo
	v_cmp_eq_u32_e32 vcc_lo, 3, v0
	v_cndmask_b32_e32 v25, v25, v5, vcc_lo
	v_cmp_eq_u32_e32 vcc_lo, 4, v0
	s_delay_alu instid0(VALU_DEP_2) | instskip(SKIP_1) | instid1(VALU_DEP_2)
	v_cndmask_b32_e32 v25, v25, v6, vcc_lo
	v_cmp_eq_u32_e32 vcc_lo, 5, v0
	;; [unrolled: 5-line block ×10, first 2 shown]
	v_cndmask_b32_e32 v25, v25, v23, vcc_lo
	v_cmp_eq_u32_e32 vcc_lo, 22, v0
	s_delay_alu instid0(VALU_DEP_2) | instskip(SKIP_1) | instid1(VALU_DEP_1)
	v_cndmask_b32_e32 v25, v25, v24, vcc_lo
	s_wait_dscnt 0x0
	v_mul_f32_e32 v25, v25, v26
	s_cbranch_execz .LBB86_354
	s_branch .LBB86_355
.LBB86_353:
                                        ; implicit-def: $vgpr25
.LBB86_354:
	ds_load_b32 v25, v115
.LBB86_355:
	s_mov_b32 s3, exec_lo
	v_cmpx_ne_u32_e32 2, v0
	s_cbranch_execz .LBB86_357
; %bb.356:
	v_cmp_eq_u32_e32 vcc_lo, 1, v35
	v_dual_mov_b32 v27, 0 :: v_dual_cndmask_b32 v26, v2, v3
	v_cmp_eq_u32_e32 vcc_lo, 2, v35
	ds_load_b32 v27, v27 offset:104
	v_cndmask_b32_e32 v26, v26, v4, vcc_lo
	v_cmp_eq_u32_e32 vcc_lo, 3, v35
	s_delay_alu instid0(VALU_DEP_2) | instskip(SKIP_4) | instid1(VALU_DEP_2)
	v_cndmask_b32_e32 v5, v26, v5, vcc_lo
	v_cmp_eq_u32_e32 vcc_lo, 4, v35
	ds_load_b32 v26, v115 offset:4
	v_cndmask_b32_e32 v5, v5, v6, vcc_lo
	v_cmp_eq_u32_e32 vcc_lo, 5, v35
	v_cndmask_b32_e32 v5, v5, v7, vcc_lo
	v_cmp_eq_u32_e32 vcc_lo, 6, v35
	s_delay_alu instid0(VALU_DEP_2) | instskip(SKIP_1) | instid1(VALU_DEP_2)
	v_cndmask_b32_e32 v5, v5, v8, vcc_lo
	v_cmp_eq_u32_e32 vcc_lo, 7, v35
	v_cndmask_b32_e32 v5, v5, v9, vcc_lo
	v_cmp_eq_u32_e32 vcc_lo, 8, v35
	s_delay_alu instid0(VALU_DEP_2) | instskip(SKIP_1) | instid1(VALU_DEP_2)
	;; [unrolled: 5-line block ×8, first 2 shown]
	v_cndmask_b32_e32 v5, v5, v22, vcc_lo
	v_cmp_eq_u32_e32 vcc_lo, 21, v35
	v_cndmask_b32_e32 v5, v5, v23, vcc_lo
	v_cmp_eq_u32_e32 vcc_lo, 22, v35
	s_delay_alu instid0(VALU_DEP_2) | instskip(SKIP_1) | instid1(VALU_DEP_1)
	v_cndmask_b32_e32 v5, v5, v24, vcc_lo
	s_wait_dscnt 0x0
	v_fmac_f32_e32 v25, v5, v26
	s_delay_alu instid0(VALU_DEP_1) | instskip(NEXT) | instid1(VALU_DEP_1)
	v_fma_f32 v5, v4, v27, v25
	v_cndmask_b32_e64 v25, v25, v5, s0
.LBB86_357:
	s_or_b32 exec_lo, exec_lo, s3
	v_mov_b32_e32 v5, 0
	ds_load_b32 v5, v5 offset:12
	s_wait_dscnt 0x0
	v_mul_f32_e32 v5, v25, v5
.LBB86_358:
	s_or_b32 exec_lo, exec_lo, s2
	s_delay_alu instid0(SALU_CYCLE_1)
	s_mov_b32 s2, exec_lo
	ds_store_b32 v115, v6
	s_wait_dscnt 0x0
	s_barrier_signal -1
	s_barrier_wait -1
	v_cmpx_gt_u32_e32 4, v0
	s_cbranch_execz .LBB86_368
; %bb.359:
	v_cmp_ne_u32_e32 vcc_lo, 1, v34
	s_cbranch_vccnz .LBB86_361
; %bb.360:
	v_cmp_eq_u32_e32 vcc_lo, 1, v0
	ds_load_b32 v26, v115
	v_cndmask_b32_e32 v25, v2, v3, vcc_lo
	v_cmp_eq_u32_e32 vcc_lo, 2, v0
	s_delay_alu instid0(VALU_DEP_2) | instskip(SKIP_1) | instid1(VALU_DEP_2)
	v_cndmask_b32_e32 v25, v25, v4, vcc_lo
	v_cmp_eq_u32_e32 vcc_lo, 3, v0
	v_cndmask_b32_e32 v25, v25, v5, vcc_lo
	v_cmp_eq_u32_e32 vcc_lo, 4, v0
	s_delay_alu instid0(VALU_DEP_2) | instskip(SKIP_1) | instid1(VALU_DEP_2)
	v_cndmask_b32_e32 v25, v25, v6, vcc_lo
	v_cmp_eq_u32_e32 vcc_lo, 5, v0
	;; [unrolled: 5-line block ×10, first 2 shown]
	v_cndmask_b32_e32 v25, v25, v23, vcc_lo
	v_cmp_eq_u32_e32 vcc_lo, 22, v0
	s_delay_alu instid0(VALU_DEP_2) | instskip(SKIP_1) | instid1(VALU_DEP_1)
	v_cndmask_b32_e32 v25, v25, v24, vcc_lo
	s_wait_dscnt 0x0
	v_mul_f32_e32 v25, v25, v26
	s_cbranch_execz .LBB86_362
	s_branch .LBB86_363
.LBB86_361:
                                        ; implicit-def: $vgpr25
.LBB86_362:
	ds_load_b32 v25, v115
.LBB86_363:
	s_mov_b32 s3, exec_lo
	v_cmpx_ne_u32_e32 3, v0
	s_cbranch_execz .LBB86_367
; %bb.364:
	v_mov_b64_e32 v[26:27], v[0:1]
	v_lshl_add_u32 v28, v0, 2, 0x64
	s_mov_b32 s4, 0
.LBB86_365:                             ; =>This Inner Loop Header: Depth=1
	s_delay_alu instid0(VALU_DEP_2)
	v_add_nc_u64_e32 v[26:27], 1, v[26:27]
	ds_load_b32 v30, v28
	v_add_nc_u32_e32 v28, 4, v28
	v_cmp_eq_u32_e32 vcc_lo, 1, v26
	v_cndmask_b32_e32 v29, v2, v3, vcc_lo
	v_cmp_eq_u32_e32 vcc_lo, 2, v26
	s_delay_alu instid0(VALU_DEP_2) | instskip(SKIP_1) | instid1(VALU_DEP_2)
	v_cndmask_b32_e32 v29, v29, v4, vcc_lo
	v_cmp_eq_u32_e32 vcc_lo, 3, v26
	v_cndmask_b32_e32 v29, v29, v5, vcc_lo
	v_cmp_eq_u32_e32 vcc_lo, 4, v26
	s_delay_alu instid0(VALU_DEP_2) | instskip(SKIP_1) | instid1(VALU_DEP_2)
	v_cndmask_b32_e32 v29, v29, v6, vcc_lo
	;; [unrolled: 5-line block ×10, first 2 shown]
	v_cmp_eq_u32_e32 vcc_lo, 21, v26
	v_cndmask_b32_e32 v29, v29, v23, vcc_lo
	v_cmp_eq_u32_e32 vcc_lo, 22, v26
	s_delay_alu instid0(VALU_DEP_2) | instskip(SKIP_2) | instid1(VALU_DEP_2)
	v_cndmask_b32_e32 v29, v29, v24, vcc_lo
	v_cmp_lt_u32_e32 vcc_lo, 2, v26
	s_wait_dscnt 0x0
	v_fmac_f32_e32 v25, v29, v30
	s_or_b32 s4, vcc_lo, s4
	s_delay_alu instid0(SALU_CYCLE_1)
	s_and_not1_b32 exec_lo, exec_lo, s4
	s_cbranch_execnz .LBB86_365
; %bb.366:
	s_or_b32 exec_lo, exec_lo, s4
.LBB86_367:
	s_delay_alu instid0(SALU_CYCLE_1)
	s_or_b32 exec_lo, exec_lo, s3
	v_mov_b32_e32 v6, 0
	ds_load_b32 v6, v6 offset:16
	s_wait_dscnt 0x0
	v_mul_f32_e32 v6, v25, v6
.LBB86_368:
	s_or_b32 exec_lo, exec_lo, s2
	v_cmp_gt_u32_e64 s2, 5, v0
	ds_store_b32 v115, v7
	s_wait_dscnt 0x0
	s_barrier_signal -1
	s_barrier_wait -1
	s_and_saveexec_b32 s3, s2
	s_cbranch_execz .LBB86_378
; %bb.369:
	v_cmp_ne_u32_e32 vcc_lo, 1, v34
	s_cbranch_vccnz .LBB86_371
; %bb.370:
	v_cmp_eq_u32_e32 vcc_lo, 1, v0
	ds_load_b32 v26, v115
	v_cndmask_b32_e32 v25, v2, v3, vcc_lo
	v_cmp_eq_u32_e32 vcc_lo, 2, v0
	s_delay_alu instid0(VALU_DEP_2) | instskip(SKIP_1) | instid1(VALU_DEP_2)
	v_cndmask_b32_e32 v25, v25, v4, vcc_lo
	v_cmp_eq_u32_e32 vcc_lo, 3, v0
	v_cndmask_b32_e32 v25, v25, v5, vcc_lo
	v_cmp_eq_u32_e32 vcc_lo, 4, v0
	s_delay_alu instid0(VALU_DEP_2) | instskip(SKIP_1) | instid1(VALU_DEP_2)
	v_cndmask_b32_e32 v25, v25, v6, vcc_lo
	v_cmp_eq_u32_e32 vcc_lo, 5, v0
	;; [unrolled: 5-line block ×10, first 2 shown]
	v_cndmask_b32_e32 v25, v25, v23, vcc_lo
	v_cmp_eq_u32_e32 vcc_lo, 22, v0
	s_delay_alu instid0(VALU_DEP_2) | instskip(SKIP_1) | instid1(VALU_DEP_1)
	v_cndmask_b32_e32 v25, v25, v24, vcc_lo
	s_wait_dscnt 0x0
	v_mul_f32_e32 v25, v25, v26
	s_cbranch_execz .LBB86_372
	s_branch .LBB86_373
.LBB86_371:
                                        ; implicit-def: $vgpr25
.LBB86_372:
	ds_load_b32 v25, v115
.LBB86_373:
	s_mov_b32 s4, exec_lo
	v_cmpx_ne_u32_e32 4, v0
	s_cbranch_execz .LBB86_377
; %bb.374:
	v_mov_b64_e32 v[26:27], v[0:1]
	v_lshl_add_u32 v28, v0, 2, 0x64
	s_mov_b32 s5, 0
.LBB86_375:                             ; =>This Inner Loop Header: Depth=1
	s_delay_alu instid0(VALU_DEP_2)
	v_add_nc_u64_e32 v[26:27], 1, v[26:27]
	ds_load_b32 v30, v28
	v_add_nc_u32_e32 v28, 4, v28
	v_cmp_eq_u32_e32 vcc_lo, 1, v26
	v_cndmask_b32_e32 v29, v2, v3, vcc_lo
	v_cmp_eq_u32_e32 vcc_lo, 2, v26
	s_delay_alu instid0(VALU_DEP_2) | instskip(SKIP_1) | instid1(VALU_DEP_2)
	v_cndmask_b32_e32 v29, v29, v4, vcc_lo
	v_cmp_eq_u32_e32 vcc_lo, 3, v26
	v_cndmask_b32_e32 v29, v29, v5, vcc_lo
	v_cmp_eq_u32_e32 vcc_lo, 4, v26
	s_delay_alu instid0(VALU_DEP_2) | instskip(SKIP_1) | instid1(VALU_DEP_2)
	v_cndmask_b32_e32 v29, v29, v6, vcc_lo
	;; [unrolled: 5-line block ×10, first 2 shown]
	v_cmp_eq_u32_e32 vcc_lo, 21, v26
	v_cndmask_b32_e32 v29, v29, v23, vcc_lo
	v_cmp_eq_u32_e32 vcc_lo, 22, v26
	s_delay_alu instid0(VALU_DEP_2) | instskip(SKIP_2) | instid1(VALU_DEP_2)
	v_cndmask_b32_e32 v29, v29, v24, vcc_lo
	v_cmp_lt_u32_e32 vcc_lo, 3, v26
	s_wait_dscnt 0x0
	v_fmac_f32_e32 v25, v29, v30
	s_or_b32 s5, vcc_lo, s5
	s_delay_alu instid0(SALU_CYCLE_1)
	s_and_not1_b32 exec_lo, exec_lo, s5
	s_cbranch_execnz .LBB86_375
; %bb.376:
	s_or_b32 exec_lo, exec_lo, s5
.LBB86_377:
	s_delay_alu instid0(SALU_CYCLE_1)
	s_or_b32 exec_lo, exec_lo, s4
	v_mov_b32_e32 v7, 0
	ds_load_b32 v7, v7 offset:20
	s_wait_dscnt 0x0
	v_mul_f32_e32 v7, v25, v7
.LBB86_378:
	s_or_b32 exec_lo, exec_lo, s3
	s_delay_alu instid0(SALU_CYCLE_1)
	s_mov_b32 s3, exec_lo
	ds_store_b32 v115, v8
	s_wait_dscnt 0x0
	s_barrier_signal -1
	s_barrier_wait -1
	v_cmpx_gt_u32_e32 6, v0
	s_cbranch_execz .LBB86_388
; %bb.379:
	v_cmp_ne_u32_e32 vcc_lo, 1, v34
	s_cbranch_vccnz .LBB86_381
; %bb.380:
	v_cmp_eq_u32_e32 vcc_lo, 1, v0
	ds_load_b32 v26, v115
	v_cndmask_b32_e32 v25, v2, v3, vcc_lo
	v_cmp_eq_u32_e32 vcc_lo, 2, v0
	s_delay_alu instid0(VALU_DEP_2) | instskip(SKIP_1) | instid1(VALU_DEP_2)
	v_cndmask_b32_e32 v25, v25, v4, vcc_lo
	v_cmp_eq_u32_e32 vcc_lo, 3, v0
	v_cndmask_b32_e32 v25, v25, v5, vcc_lo
	v_cmp_eq_u32_e32 vcc_lo, 4, v0
	s_delay_alu instid0(VALU_DEP_2) | instskip(SKIP_1) | instid1(VALU_DEP_2)
	v_cndmask_b32_e32 v25, v25, v6, vcc_lo
	v_cmp_eq_u32_e32 vcc_lo, 5, v0
	;; [unrolled: 5-line block ×10, first 2 shown]
	v_cndmask_b32_e32 v25, v25, v23, vcc_lo
	v_cmp_eq_u32_e32 vcc_lo, 22, v0
	s_delay_alu instid0(VALU_DEP_2) | instskip(SKIP_1) | instid1(VALU_DEP_1)
	v_cndmask_b32_e32 v25, v25, v24, vcc_lo
	s_wait_dscnt 0x0
	v_mul_f32_e32 v25, v25, v26
	s_cbranch_execz .LBB86_382
	s_branch .LBB86_383
.LBB86_381:
                                        ; implicit-def: $vgpr25
.LBB86_382:
	ds_load_b32 v25, v115
.LBB86_383:
	s_mov_b32 s4, exec_lo
	v_cmpx_ne_u32_e32 5, v0
	s_cbranch_execz .LBB86_387
; %bb.384:
	v_mov_b64_e32 v[26:27], v[0:1]
	v_lshl_add_u32 v28, v0, 2, 0x64
	s_mov_b32 s5, 0
.LBB86_385:                             ; =>This Inner Loop Header: Depth=1
	s_delay_alu instid0(VALU_DEP_2)
	v_add_nc_u64_e32 v[26:27], 1, v[26:27]
	ds_load_b32 v30, v28
	v_add_nc_u32_e32 v28, 4, v28
	v_cmp_eq_u32_e32 vcc_lo, 1, v26
	v_cndmask_b32_e32 v29, v2, v3, vcc_lo
	v_cmp_eq_u32_e32 vcc_lo, 2, v26
	s_delay_alu instid0(VALU_DEP_2) | instskip(SKIP_1) | instid1(VALU_DEP_2)
	v_cndmask_b32_e32 v29, v29, v4, vcc_lo
	v_cmp_eq_u32_e32 vcc_lo, 3, v26
	v_cndmask_b32_e32 v29, v29, v5, vcc_lo
	v_cmp_eq_u32_e32 vcc_lo, 4, v26
	s_delay_alu instid0(VALU_DEP_2) | instskip(SKIP_1) | instid1(VALU_DEP_2)
	v_cndmask_b32_e32 v29, v29, v6, vcc_lo
	;; [unrolled: 5-line block ×10, first 2 shown]
	v_cmp_eq_u32_e32 vcc_lo, 21, v26
	v_cndmask_b32_e32 v29, v29, v23, vcc_lo
	v_cmp_eq_u32_e32 vcc_lo, 22, v26
	s_delay_alu instid0(VALU_DEP_2) | instskip(SKIP_2) | instid1(VALU_DEP_2)
	v_cndmask_b32_e32 v29, v29, v24, vcc_lo
	v_cmp_lt_u32_e32 vcc_lo, 4, v26
	s_wait_dscnt 0x0
	v_fmac_f32_e32 v25, v29, v30
	s_or_b32 s5, vcc_lo, s5
	s_delay_alu instid0(SALU_CYCLE_1)
	s_and_not1_b32 exec_lo, exec_lo, s5
	s_cbranch_execnz .LBB86_385
; %bb.386:
	s_or_b32 exec_lo, exec_lo, s5
.LBB86_387:
	s_delay_alu instid0(SALU_CYCLE_1)
	s_or_b32 exec_lo, exec_lo, s4
	v_mov_b32_e32 v8, 0
	ds_load_b32 v8, v8 offset:24
	s_wait_dscnt 0x0
	v_mul_f32_e32 v8, v25, v8
.LBB86_388:
	s_or_b32 exec_lo, exec_lo, s3
	v_cmp_gt_u32_e64 s3, 7, v0
	ds_store_b32 v115, v9
	s_wait_dscnt 0x0
	s_barrier_signal -1
	s_barrier_wait -1
	s_and_saveexec_b32 s4, s3
	s_cbranch_execz .LBB86_398
; %bb.389:
	v_cmp_ne_u32_e32 vcc_lo, 1, v34
	s_cbranch_vccnz .LBB86_391
; %bb.390:
	v_cmp_eq_u32_e32 vcc_lo, 1, v0
	ds_load_b32 v26, v115
	v_cndmask_b32_e32 v25, v2, v3, vcc_lo
	v_cmp_eq_u32_e32 vcc_lo, 2, v0
	s_delay_alu instid0(VALU_DEP_2) | instskip(SKIP_1) | instid1(VALU_DEP_2)
	v_cndmask_b32_e32 v25, v25, v4, vcc_lo
	v_cmp_eq_u32_e32 vcc_lo, 3, v0
	v_cndmask_b32_e32 v25, v25, v5, vcc_lo
	v_cmp_eq_u32_e32 vcc_lo, 4, v0
	s_delay_alu instid0(VALU_DEP_2) | instskip(SKIP_1) | instid1(VALU_DEP_2)
	v_cndmask_b32_e32 v25, v25, v6, vcc_lo
	v_cmp_eq_u32_e32 vcc_lo, 5, v0
	;; [unrolled: 5-line block ×10, first 2 shown]
	v_cndmask_b32_e32 v25, v25, v23, vcc_lo
	v_cmp_eq_u32_e32 vcc_lo, 22, v0
	s_delay_alu instid0(VALU_DEP_2) | instskip(SKIP_1) | instid1(VALU_DEP_1)
	v_cndmask_b32_e32 v25, v25, v24, vcc_lo
	s_wait_dscnt 0x0
	v_mul_f32_e32 v25, v25, v26
	s_cbranch_execz .LBB86_392
	s_branch .LBB86_393
.LBB86_391:
                                        ; implicit-def: $vgpr25
.LBB86_392:
	ds_load_b32 v25, v115
.LBB86_393:
	s_mov_b32 s5, exec_lo
	v_cmpx_ne_u32_e32 6, v0
	s_cbranch_execz .LBB86_397
; %bb.394:
	v_mov_b64_e32 v[26:27], v[0:1]
	v_lshl_add_u32 v28, v0, 2, 0x64
	s_mov_b32 s6, 0
.LBB86_395:                             ; =>This Inner Loop Header: Depth=1
	s_delay_alu instid0(VALU_DEP_2)
	v_add_nc_u64_e32 v[26:27], 1, v[26:27]
	ds_load_b32 v30, v28
	v_add_nc_u32_e32 v28, 4, v28
	v_cmp_eq_u32_e32 vcc_lo, 1, v26
	v_cndmask_b32_e32 v29, v2, v3, vcc_lo
	v_cmp_eq_u32_e32 vcc_lo, 2, v26
	s_delay_alu instid0(VALU_DEP_2) | instskip(SKIP_1) | instid1(VALU_DEP_2)
	v_cndmask_b32_e32 v29, v29, v4, vcc_lo
	v_cmp_eq_u32_e32 vcc_lo, 3, v26
	v_cndmask_b32_e32 v29, v29, v5, vcc_lo
	v_cmp_eq_u32_e32 vcc_lo, 4, v26
	s_delay_alu instid0(VALU_DEP_2) | instskip(SKIP_1) | instid1(VALU_DEP_2)
	v_cndmask_b32_e32 v29, v29, v6, vcc_lo
	;; [unrolled: 5-line block ×10, first 2 shown]
	v_cmp_eq_u32_e32 vcc_lo, 21, v26
	v_cndmask_b32_e32 v29, v29, v23, vcc_lo
	v_cmp_eq_u32_e32 vcc_lo, 22, v26
	s_delay_alu instid0(VALU_DEP_2) | instskip(SKIP_2) | instid1(VALU_DEP_2)
	v_cndmask_b32_e32 v29, v29, v24, vcc_lo
	v_cmp_lt_u32_e32 vcc_lo, 5, v26
	s_wait_dscnt 0x0
	v_fmac_f32_e32 v25, v29, v30
	s_or_b32 s6, vcc_lo, s6
	s_delay_alu instid0(SALU_CYCLE_1)
	s_and_not1_b32 exec_lo, exec_lo, s6
	s_cbranch_execnz .LBB86_395
; %bb.396:
	s_or_b32 exec_lo, exec_lo, s6
.LBB86_397:
	s_delay_alu instid0(SALU_CYCLE_1)
	s_or_b32 exec_lo, exec_lo, s5
	v_mov_b32_e32 v9, 0
	ds_load_b32 v9, v9 offset:28
	s_wait_dscnt 0x0
	v_mul_f32_e32 v9, v25, v9
.LBB86_398:
	s_or_b32 exec_lo, exec_lo, s4
	s_delay_alu instid0(SALU_CYCLE_1)
	s_mov_b32 s4, exec_lo
	ds_store_b32 v115, v10
	s_wait_dscnt 0x0
	s_barrier_signal -1
	s_barrier_wait -1
	v_cmpx_gt_u32_e32 8, v0
	s_cbranch_execz .LBB86_408
; %bb.399:
	v_cmp_ne_u32_e32 vcc_lo, 1, v34
	s_cbranch_vccnz .LBB86_401
; %bb.400:
	v_cmp_eq_u32_e32 vcc_lo, 1, v0
	ds_load_b32 v26, v115
	v_cndmask_b32_e32 v25, v2, v3, vcc_lo
	v_cmp_eq_u32_e32 vcc_lo, 2, v0
	s_delay_alu instid0(VALU_DEP_2) | instskip(SKIP_1) | instid1(VALU_DEP_2)
	v_cndmask_b32_e32 v25, v25, v4, vcc_lo
	v_cmp_eq_u32_e32 vcc_lo, 3, v0
	v_cndmask_b32_e32 v25, v25, v5, vcc_lo
	v_cmp_eq_u32_e32 vcc_lo, 4, v0
	s_delay_alu instid0(VALU_DEP_2) | instskip(SKIP_1) | instid1(VALU_DEP_2)
	v_cndmask_b32_e32 v25, v25, v6, vcc_lo
	v_cmp_eq_u32_e32 vcc_lo, 5, v0
	;; [unrolled: 5-line block ×10, first 2 shown]
	v_cndmask_b32_e32 v25, v25, v23, vcc_lo
	v_cmp_eq_u32_e32 vcc_lo, 22, v0
	s_delay_alu instid0(VALU_DEP_2) | instskip(SKIP_1) | instid1(VALU_DEP_1)
	v_cndmask_b32_e32 v25, v25, v24, vcc_lo
	s_wait_dscnt 0x0
	v_mul_f32_e32 v25, v25, v26
	s_cbranch_execz .LBB86_402
	s_branch .LBB86_403
.LBB86_401:
                                        ; implicit-def: $vgpr25
.LBB86_402:
	ds_load_b32 v25, v115
.LBB86_403:
	s_mov_b32 s5, exec_lo
	v_cmpx_ne_u32_e32 7, v0
	s_cbranch_execz .LBB86_407
; %bb.404:
	v_mov_b64_e32 v[26:27], v[0:1]
	v_lshl_add_u32 v28, v0, 2, 0x64
	s_mov_b32 s6, 0
.LBB86_405:                             ; =>This Inner Loop Header: Depth=1
	s_delay_alu instid0(VALU_DEP_2)
	v_add_nc_u64_e32 v[26:27], 1, v[26:27]
	ds_load_b32 v30, v28
	v_add_nc_u32_e32 v28, 4, v28
	v_cmp_eq_u32_e32 vcc_lo, 1, v26
	v_cndmask_b32_e32 v29, v2, v3, vcc_lo
	v_cmp_eq_u32_e32 vcc_lo, 2, v26
	s_delay_alu instid0(VALU_DEP_2) | instskip(SKIP_1) | instid1(VALU_DEP_2)
	v_cndmask_b32_e32 v29, v29, v4, vcc_lo
	v_cmp_eq_u32_e32 vcc_lo, 3, v26
	v_cndmask_b32_e32 v29, v29, v5, vcc_lo
	v_cmp_eq_u32_e32 vcc_lo, 4, v26
	s_delay_alu instid0(VALU_DEP_2) | instskip(SKIP_1) | instid1(VALU_DEP_2)
	v_cndmask_b32_e32 v29, v29, v6, vcc_lo
	;; [unrolled: 5-line block ×10, first 2 shown]
	v_cmp_eq_u32_e32 vcc_lo, 21, v26
	v_cndmask_b32_e32 v29, v29, v23, vcc_lo
	v_cmp_eq_u32_e32 vcc_lo, 22, v26
	s_delay_alu instid0(VALU_DEP_2) | instskip(SKIP_2) | instid1(VALU_DEP_2)
	v_cndmask_b32_e32 v29, v29, v24, vcc_lo
	v_cmp_lt_u32_e32 vcc_lo, 6, v26
	s_wait_dscnt 0x0
	v_fmac_f32_e32 v25, v29, v30
	s_or_b32 s6, vcc_lo, s6
	s_delay_alu instid0(SALU_CYCLE_1)
	s_and_not1_b32 exec_lo, exec_lo, s6
	s_cbranch_execnz .LBB86_405
; %bb.406:
	s_or_b32 exec_lo, exec_lo, s6
.LBB86_407:
	s_delay_alu instid0(SALU_CYCLE_1)
	s_or_b32 exec_lo, exec_lo, s5
	v_mov_b32_e32 v10, 0
	ds_load_b32 v10, v10 offset:32
	s_wait_dscnt 0x0
	v_mul_f32_e32 v10, v25, v10
.LBB86_408:
	s_or_b32 exec_lo, exec_lo, s4
	s_delay_alu instid0(SALU_CYCLE_1)
	s_mov_b32 s4, exec_lo
	ds_store_b32 v115, v11
	s_wait_dscnt 0x0
	s_barrier_signal -1
	s_barrier_wait -1
	v_cmpx_gt_u32_e32 9, v0
	s_cbranch_execz .LBB86_430
; %bb.409:
	v_cmp_ne_u32_e32 vcc_lo, 1, v34
	s_cbranch_vccnz .LBB86_411
; %bb.410:
	v_cmp_eq_u32_e32 vcc_lo, 1, v0
	ds_load_b32 v26, v115
	v_cndmask_b32_e32 v25, v2, v3, vcc_lo
	v_cmp_eq_u32_e32 vcc_lo, 2, v0
	s_delay_alu instid0(VALU_DEP_2) | instskip(SKIP_1) | instid1(VALU_DEP_2)
	v_cndmask_b32_e32 v25, v25, v4, vcc_lo
	v_cmp_eq_u32_e32 vcc_lo, 3, v0
	v_cndmask_b32_e32 v25, v25, v5, vcc_lo
	v_cmp_eq_u32_e32 vcc_lo, 4, v0
	s_delay_alu instid0(VALU_DEP_2) | instskip(SKIP_1) | instid1(VALU_DEP_2)
	v_cndmask_b32_e32 v25, v25, v6, vcc_lo
	v_cmp_eq_u32_e32 vcc_lo, 5, v0
	;; [unrolled: 5-line block ×10, first 2 shown]
	v_cndmask_b32_e32 v25, v25, v23, vcc_lo
	v_cmp_eq_u32_e32 vcc_lo, 22, v0
	s_delay_alu instid0(VALU_DEP_2) | instskip(SKIP_1) | instid1(VALU_DEP_1)
	v_cndmask_b32_e32 v25, v25, v24, vcc_lo
	s_wait_dscnt 0x0
	v_mul_f32_e32 v25, v25, v26
	s_cbranch_execz .LBB86_412
	s_branch .LBB86_413
.LBB86_411:
                                        ; implicit-def: $vgpr25
.LBB86_412:
	ds_load_b32 v25, v115
.LBB86_413:
	s_mov_b32 s5, exec_lo
	v_cmpx_ne_u32_e32 8, v0
	s_cbranch_execz .LBB86_429
; %bb.414:
	v_cmp_eq_u32_e32 vcc_lo, 1, v35
	ds_load_b32 v27, v115 offset:4
	v_cndmask_b32_e32 v26, v2, v3, vcc_lo
	v_cmp_eq_u32_e32 vcc_lo, 2, v35
	s_delay_alu instid0(VALU_DEP_2) | instskip(SKIP_1) | instid1(VALU_DEP_2)
	v_cndmask_b32_e32 v26, v26, v4, vcc_lo
	v_cmp_eq_u32_e32 vcc_lo, 3, v35
	v_cndmask_b32_e32 v26, v26, v5, vcc_lo
	v_cmp_eq_u32_e32 vcc_lo, 4, v35
	s_delay_alu instid0(VALU_DEP_2) | instskip(SKIP_1) | instid1(VALU_DEP_2)
	v_cndmask_b32_e32 v26, v26, v6, vcc_lo
	v_cmp_eq_u32_e32 vcc_lo, 5, v35
	v_cndmask_b32_e32 v26, v26, v7, vcc_lo
	v_cmp_eq_u32_e32 vcc_lo, 6, v35
	s_delay_alu instid0(VALU_DEP_2) | instskip(SKIP_1) | instid1(VALU_DEP_2)
	v_cndmask_b32_e32 v26, v26, v8, vcc_lo
	v_cmp_eq_u32_e32 vcc_lo, 7, v35
	v_cndmask_b32_e32 v26, v26, v9, vcc_lo
	v_cmp_eq_u32_e32 vcc_lo, 8, v35
	s_delay_alu instid0(VALU_DEP_2) | instskip(SKIP_1) | instid1(VALU_DEP_2)
	v_cndmask_b32_e32 v26, v26, v10, vcc_lo
	v_cmp_eq_u32_e32 vcc_lo, 9, v35
	v_cndmask_b32_e32 v26, v26, v11, vcc_lo
	v_cmp_eq_u32_e32 vcc_lo, 10, v35
	s_delay_alu instid0(VALU_DEP_2) | instskip(SKIP_1) | instid1(VALU_DEP_2)
	v_cndmask_b32_e32 v26, v26, v12, vcc_lo
	v_cmp_eq_u32_e32 vcc_lo, 11, v35
	v_cndmask_b32_e32 v26, v26, v13, vcc_lo
	v_cmp_eq_u32_e32 vcc_lo, 12, v35
	s_delay_alu instid0(VALU_DEP_2) | instskip(SKIP_1) | instid1(VALU_DEP_2)
	v_cndmask_b32_e32 v26, v26, v14, vcc_lo
	v_cmp_eq_u32_e32 vcc_lo, 13, v35
	v_cndmask_b32_e32 v26, v26, v15, vcc_lo
	v_cmp_eq_u32_e32 vcc_lo, 14, v35
	s_delay_alu instid0(VALU_DEP_2) | instskip(SKIP_1) | instid1(VALU_DEP_2)
	v_cndmask_b32_e32 v26, v26, v16, vcc_lo
	v_cmp_eq_u32_e32 vcc_lo, 15, v35
	v_cndmask_b32_e32 v26, v26, v17, vcc_lo
	v_cmp_eq_u32_e32 vcc_lo, 16, v35
	s_delay_alu instid0(VALU_DEP_2) | instskip(SKIP_1) | instid1(VALU_DEP_2)
	v_cndmask_b32_e32 v26, v26, v18, vcc_lo
	v_cmp_eq_u32_e32 vcc_lo, 17, v35
	v_cndmask_b32_e32 v26, v26, v19, vcc_lo
	v_cmp_eq_u32_e32 vcc_lo, 18, v35
	s_delay_alu instid0(VALU_DEP_2) | instskip(SKIP_1) | instid1(VALU_DEP_2)
	v_cndmask_b32_e32 v26, v26, v20, vcc_lo
	v_cmp_eq_u32_e32 vcc_lo, 19, v35
	v_cndmask_b32_e32 v26, v26, v21, vcc_lo
	v_cmp_eq_u32_e32 vcc_lo, 20, v35
	s_delay_alu instid0(VALU_DEP_2) | instskip(SKIP_1) | instid1(VALU_DEP_2)
	v_cndmask_b32_e32 v26, v26, v22, vcc_lo
	v_cmp_eq_u32_e32 vcc_lo, 21, v35
	v_cndmask_b32_e32 v26, v26, v23, vcc_lo
	v_cmp_eq_u32_e32 vcc_lo, 22, v35
	s_delay_alu instid0(VALU_DEP_2) | instskip(SKIP_1) | instid1(VALU_DEP_1)
	v_cndmask_b32_e32 v26, v26, v24, vcc_lo
	s_wait_dscnt 0x0
	v_fmac_f32_e32 v25, v26, v27
	s_and_saveexec_b32 s6, s3
	s_cbranch_execz .LBB86_428
; %bb.415:
	v_add_nc_u32_e32 v26, 2, v0
	ds_load_b32 v28, v115 offset:8
	s_mov_b32 s3, exec_lo
	v_cmp_eq_u32_e32 vcc_lo, 1, v26
	v_cndmask_b32_e32 v27, v2, v3, vcc_lo
	v_cmp_eq_u32_e32 vcc_lo, 2, v26
	s_delay_alu instid0(VALU_DEP_2) | instskip(SKIP_1) | instid1(VALU_DEP_2)
	v_cndmask_b32_e32 v27, v27, v4, vcc_lo
	v_cmp_eq_u32_e32 vcc_lo, 3, v26
	v_cndmask_b32_e32 v27, v27, v5, vcc_lo
	v_cmp_eq_u32_e32 vcc_lo, 4, v26
	s_delay_alu instid0(VALU_DEP_2) | instskip(SKIP_1) | instid1(VALU_DEP_2)
	v_cndmask_b32_e32 v27, v27, v6, vcc_lo
	;; [unrolled: 5-line block ×10, first 2 shown]
	v_cmp_eq_u32_e32 vcc_lo, 21, v26
	v_cndmask_b32_e32 v27, v27, v23, vcc_lo
	v_cmp_eq_u32_e32 vcc_lo, 22, v26
	s_delay_alu instid0(VALU_DEP_2) | instskip(SKIP_1) | instid1(VALU_DEP_1)
	v_cndmask_b32_e32 v26, v27, v24, vcc_lo
	s_wait_dscnt 0x0
	v_fmac_f32_e32 v25, v26, v28
	v_cmpx_ne_u32_e32 6, v0
	s_cbranch_execz .LBB86_427
; %bb.416:
	v_add_nc_u32_e32 v26, 3, v0
	ds_load_b32 v28, v115 offset:12
	v_cmp_eq_u32_e32 vcc_lo, 1, v26
	v_cndmask_b32_e32 v27, v2, v3, vcc_lo
	v_cmp_eq_u32_e32 vcc_lo, 2, v26
	s_delay_alu instid0(VALU_DEP_2) | instskip(SKIP_1) | instid1(VALU_DEP_2)
	v_cndmask_b32_e32 v27, v27, v4, vcc_lo
	v_cmp_eq_u32_e32 vcc_lo, 3, v26
	v_cndmask_b32_e32 v27, v27, v5, vcc_lo
	v_cmp_eq_u32_e32 vcc_lo, 4, v26
	s_delay_alu instid0(VALU_DEP_2) | instskip(SKIP_1) | instid1(VALU_DEP_2)
	v_cndmask_b32_e32 v27, v27, v6, vcc_lo
	;; [unrolled: 5-line block ×10, first 2 shown]
	v_cmp_eq_u32_e32 vcc_lo, 21, v26
	v_cndmask_b32_e32 v27, v27, v23, vcc_lo
	v_cmp_eq_u32_e32 vcc_lo, 22, v26
	s_delay_alu instid0(VALU_DEP_2) | instskip(SKIP_1) | instid1(VALU_DEP_1)
	v_cndmask_b32_e32 v26, v27, v24, vcc_lo
	s_wait_dscnt 0x0
	v_fmac_f32_e32 v25, v26, v28
	s_and_saveexec_b32 s7, s2
	s_cbranch_execz .LBB86_426
; %bb.417:
	v_add_nc_u32_e32 v26, 4, v0
	ds_load_b32 v28, v115 offset:16
	s_mov_b32 s2, exec_lo
	v_cmp_eq_u32_e32 vcc_lo, 1, v26
	v_cndmask_b32_e32 v27, v2, v3, vcc_lo
	v_cmp_eq_u32_e32 vcc_lo, 2, v26
	s_delay_alu instid0(VALU_DEP_2) | instskip(SKIP_1) | instid1(VALU_DEP_2)
	v_cndmask_b32_e32 v27, v27, v4, vcc_lo
	v_cmp_eq_u32_e32 vcc_lo, 3, v26
	v_cndmask_b32_e32 v27, v27, v5, vcc_lo
	v_cmp_eq_u32_e32 vcc_lo, 4, v26
	s_delay_alu instid0(VALU_DEP_2) | instskip(SKIP_1) | instid1(VALU_DEP_2)
	v_cndmask_b32_e32 v27, v27, v6, vcc_lo
	;; [unrolled: 5-line block ×10, first 2 shown]
	v_cmp_eq_u32_e32 vcc_lo, 21, v26
	v_cndmask_b32_e32 v27, v27, v23, vcc_lo
	v_cmp_eq_u32_e32 vcc_lo, 22, v26
	s_delay_alu instid0(VALU_DEP_2) | instskip(SKIP_1) | instid1(VALU_DEP_1)
	v_cndmask_b32_e32 v26, v27, v24, vcc_lo
	s_wait_dscnt 0x0
	v_fmac_f32_e32 v25, v26, v28
	v_cmpx_ne_u32_e32 4, v0
	s_cbranch_execz .LBB86_425
; %bb.418:
	v_add_nc_u32_e32 v26, 5, v0
	ds_load_b32 v28, v115 offset:20
	v_cmp_eq_u32_e32 vcc_lo, 1, v26
	v_cndmask_b32_e32 v27, v2, v3, vcc_lo
	v_cmp_eq_u32_e32 vcc_lo, 2, v26
	s_delay_alu instid0(VALU_DEP_2) | instskip(SKIP_1) | instid1(VALU_DEP_2)
	v_cndmask_b32_e32 v27, v27, v4, vcc_lo
	v_cmp_eq_u32_e32 vcc_lo, 3, v26
	v_cndmask_b32_e32 v27, v27, v5, vcc_lo
	v_cmp_eq_u32_e32 vcc_lo, 4, v26
	s_delay_alu instid0(VALU_DEP_2) | instskip(SKIP_1) | instid1(VALU_DEP_2)
	v_cndmask_b32_e32 v27, v27, v6, vcc_lo
	;; [unrolled: 5-line block ×10, first 2 shown]
	v_cmp_eq_u32_e32 vcc_lo, 21, v26
	v_cndmask_b32_e32 v27, v27, v23, vcc_lo
	v_cmp_eq_u32_e32 vcc_lo, 22, v26
	s_delay_alu instid0(VALU_DEP_2) | instskip(SKIP_1) | instid1(VALU_DEP_1)
	v_cndmask_b32_e32 v26, v27, v24, vcc_lo
	s_wait_dscnt 0x0
	v_fmac_f32_e32 v25, v26, v28
	s_and_saveexec_b32 s8, s1
	s_cbranch_execz .LBB86_424
; %bb.419:
	v_add_nc_u32_e32 v26, 6, v0
	ds_load_b32 v28, v115 offset:24
	s_mov_b32 s1, exec_lo
	v_cmp_eq_u32_e32 vcc_lo, 1, v26
	v_cndmask_b32_e32 v27, v2, v3, vcc_lo
	v_cmp_eq_u32_e32 vcc_lo, 2, v26
	s_delay_alu instid0(VALU_DEP_2) | instskip(SKIP_1) | instid1(VALU_DEP_2)
	v_cndmask_b32_e32 v27, v27, v4, vcc_lo
	v_cmp_eq_u32_e32 vcc_lo, 3, v26
	v_cndmask_b32_e32 v27, v27, v5, vcc_lo
	v_cmp_eq_u32_e32 vcc_lo, 4, v26
	s_delay_alu instid0(VALU_DEP_2) | instskip(SKIP_1) | instid1(VALU_DEP_2)
	v_cndmask_b32_e32 v27, v27, v6, vcc_lo
	;; [unrolled: 5-line block ×10, first 2 shown]
	v_cmp_eq_u32_e32 vcc_lo, 21, v26
	v_cndmask_b32_e32 v27, v27, v23, vcc_lo
	v_cmp_eq_u32_e32 vcc_lo, 22, v26
	s_delay_alu instid0(VALU_DEP_2) | instskip(SKIP_1) | instid1(VALU_DEP_1)
	v_cndmask_b32_e32 v26, v27, v24, vcc_lo
	s_wait_dscnt 0x0
	v_fmac_f32_e32 v25, v26, v28
	v_cmpx_ne_u32_e32 2, v0
	s_cbranch_execz .LBB86_423
; %bb.420:
	v_add_nc_u32_e32 v26, 7, v0
	s_delay_alu instid0(VALU_DEP_1) | instskip(SKIP_2) | instid1(VALU_DEP_2)
	v_cmp_eq_u32_e32 vcc_lo, 1, v26
	v_cndmask_b32_e32 v27, v2, v3, vcc_lo
	v_cmp_eq_u32_e32 vcc_lo, 2, v26
	v_cndmask_b32_e32 v27, v27, v4, vcc_lo
	v_cmp_eq_u32_e32 vcc_lo, 3, v26
	s_delay_alu instid0(VALU_DEP_2) | instskip(SKIP_1) | instid1(VALU_DEP_2)
	v_cndmask_b32_e32 v27, v27, v5, vcc_lo
	v_cmp_eq_u32_e32 vcc_lo, 4, v26
	v_cndmask_b32_e32 v27, v27, v6, vcc_lo
	v_cmp_eq_u32_e32 vcc_lo, 5, v26
	s_delay_alu instid0(VALU_DEP_2) | instskip(SKIP_1) | instid1(VALU_DEP_2)
	;; [unrolled: 5-line block ×3, first 2 shown]
	v_cndmask_b32_e32 v27, v27, v9, vcc_lo
	v_cmp_eq_u32_e32 vcc_lo, 8, v26
	v_cndmask_b32_e32 v27, v27, v10, vcc_lo
	v_cmp_eq_u32_e32 vcc_lo, 9, v26
	s_delay_alu instid0(VALU_DEP_2) | instskip(SKIP_4) | instid1(VALU_DEP_2)
	v_cndmask_b32_e32 v11, v27, v11, vcc_lo
	v_cmp_eq_u32_e32 vcc_lo, 10, v26
	ds_load_b32 v27, v115 offset:28
	v_cndmask_b32_e32 v11, v11, v12, vcc_lo
	v_cmp_eq_u32_e32 vcc_lo, 11, v26
	v_cndmask_b32_e32 v11, v11, v13, vcc_lo
	v_cmp_eq_u32_e32 vcc_lo, 12, v26
	s_delay_alu instid0(VALU_DEP_2) | instskip(SKIP_1) | instid1(VALU_DEP_2)
	v_cndmask_b32_e32 v11, v11, v14, vcc_lo
	v_cmp_eq_u32_e32 vcc_lo, 13, v26
	v_cndmask_b32_e32 v11, v11, v15, vcc_lo
	v_cmp_eq_u32_e32 vcc_lo, 14, v26
	s_delay_alu instid0(VALU_DEP_2) | instskip(SKIP_1) | instid1(VALU_DEP_2)
	;; [unrolled: 5-line block ×5, first 2 shown]
	v_cndmask_b32_e32 v11, v11, v22, vcc_lo
	v_cmp_eq_u32_e32 vcc_lo, 21, v26
	v_cndmask_b32_e32 v11, v11, v23, vcc_lo
	v_cmp_eq_u32_e32 vcc_lo, 22, v26
	s_delay_alu instid0(VALU_DEP_2) | instskip(SKIP_1) | instid1(VALU_DEP_1)
	v_cndmask_b32_e32 v11, v11, v24, vcc_lo
	s_wait_dscnt 0x0
	v_fmac_f32_e32 v25, v11, v27
	s_and_saveexec_b32 s9, s0
	s_cbranch_execz .LBB86_422
; %bb.421:
	ds_load_b32 v11, v115 offset:32
	s_wait_dscnt 0x0
	v_fmac_f32_e32 v25, v10, v11
.LBB86_422:
	s_or_b32 exec_lo, exec_lo, s9
.LBB86_423:
	s_delay_alu instid0(SALU_CYCLE_1)
	s_or_b32 exec_lo, exec_lo, s1
.LBB86_424:
	s_delay_alu instid0(SALU_CYCLE_1)
	s_or_b32 exec_lo, exec_lo, s8
.LBB86_425:
	s_delay_alu instid0(SALU_CYCLE_1)
	s_or_b32 exec_lo, exec_lo, s2
.LBB86_426:
	s_delay_alu instid0(SALU_CYCLE_1)
	s_or_b32 exec_lo, exec_lo, s7
.LBB86_427:
	s_delay_alu instid0(SALU_CYCLE_1)
	s_or_b32 exec_lo, exec_lo, s3
.LBB86_428:
	s_delay_alu instid0(SALU_CYCLE_1)
	s_or_b32 exec_lo, exec_lo, s6
.LBB86_429:
	s_delay_alu instid0(SALU_CYCLE_1)
	s_or_b32 exec_lo, exec_lo, s5
	v_mov_b32_e32 v11, 0
	ds_load_b32 v11, v11 offset:36
	s_wait_dscnt 0x0
	v_mul_f32_e32 v11, v25, v11
.LBB86_430:
	s_or_b32 exec_lo, exec_lo, s4
	s_delay_alu instid0(SALU_CYCLE_1)
	s_mov_b32 s0, exec_lo
	ds_store_b32 v115, v12
	s_wait_dscnt 0x0
	s_barrier_signal -1
	s_barrier_wait -1
	v_cmpx_gt_u32_e32 10, v0
	s_cbranch_execz .LBB86_440
; %bb.431:
	v_cmp_ne_u32_e32 vcc_lo, 1, v34
	s_cbranch_vccnz .LBB86_433
; %bb.432:
	v_cmp_eq_u32_e32 vcc_lo, 1, v0
	ds_load_b32 v26, v115
	v_cndmask_b32_e32 v25, v2, v3, vcc_lo
	v_cmp_eq_u32_e32 vcc_lo, 2, v0
	s_delay_alu instid0(VALU_DEP_2) | instskip(SKIP_1) | instid1(VALU_DEP_2)
	v_cndmask_b32_e32 v25, v25, v4, vcc_lo
	v_cmp_eq_u32_e32 vcc_lo, 3, v0
	v_cndmask_b32_e32 v25, v25, v5, vcc_lo
	v_cmp_eq_u32_e32 vcc_lo, 4, v0
	s_delay_alu instid0(VALU_DEP_2) | instskip(SKIP_1) | instid1(VALU_DEP_2)
	v_cndmask_b32_e32 v25, v25, v6, vcc_lo
	v_cmp_eq_u32_e32 vcc_lo, 5, v0
	;; [unrolled: 5-line block ×10, first 2 shown]
	v_cndmask_b32_e32 v25, v25, v23, vcc_lo
	v_cmp_eq_u32_e32 vcc_lo, 22, v0
	s_delay_alu instid0(VALU_DEP_2) | instskip(SKIP_1) | instid1(VALU_DEP_1)
	v_cndmask_b32_e32 v25, v25, v24, vcc_lo
	s_wait_dscnt 0x0
	v_mul_f32_e32 v25, v25, v26
	s_cbranch_execz .LBB86_434
	s_branch .LBB86_435
.LBB86_433:
                                        ; implicit-def: $vgpr25
.LBB86_434:
	ds_load_b32 v25, v115
.LBB86_435:
	s_mov_b32 s1, exec_lo
	v_cmpx_ne_u32_e32 9, v0
	s_cbranch_execz .LBB86_439
; %bb.436:
	v_mov_b64_e32 v[26:27], v[0:1]
	v_lshl_add_u32 v28, v0, 2, 0x64
	s_mov_b32 s2, 0
.LBB86_437:                             ; =>This Inner Loop Header: Depth=1
	s_delay_alu instid0(VALU_DEP_2)
	v_add_nc_u64_e32 v[26:27], 1, v[26:27]
	ds_load_b32 v30, v28
	v_add_nc_u32_e32 v28, 4, v28
	v_cmp_eq_u32_e32 vcc_lo, 1, v26
	v_cndmask_b32_e32 v29, v2, v3, vcc_lo
	v_cmp_eq_u32_e32 vcc_lo, 2, v26
	s_delay_alu instid0(VALU_DEP_2) | instskip(SKIP_1) | instid1(VALU_DEP_2)
	v_cndmask_b32_e32 v29, v29, v4, vcc_lo
	v_cmp_eq_u32_e32 vcc_lo, 3, v26
	v_cndmask_b32_e32 v29, v29, v5, vcc_lo
	v_cmp_eq_u32_e32 vcc_lo, 4, v26
	s_delay_alu instid0(VALU_DEP_2) | instskip(SKIP_1) | instid1(VALU_DEP_2)
	v_cndmask_b32_e32 v29, v29, v6, vcc_lo
	;; [unrolled: 5-line block ×10, first 2 shown]
	v_cmp_eq_u32_e32 vcc_lo, 21, v26
	v_cndmask_b32_e32 v29, v29, v23, vcc_lo
	v_cmp_eq_u32_e32 vcc_lo, 22, v26
	s_delay_alu instid0(VALU_DEP_2) | instskip(SKIP_2) | instid1(VALU_DEP_2)
	v_cndmask_b32_e32 v29, v29, v24, vcc_lo
	v_cmp_lt_u32_e32 vcc_lo, 8, v26
	s_wait_dscnt 0x0
	v_fmac_f32_e32 v25, v29, v30
	s_or_b32 s2, vcc_lo, s2
	s_delay_alu instid0(SALU_CYCLE_1)
	s_and_not1_b32 exec_lo, exec_lo, s2
	s_cbranch_execnz .LBB86_437
; %bb.438:
	s_or_b32 exec_lo, exec_lo, s2
.LBB86_439:
	s_delay_alu instid0(SALU_CYCLE_1)
	s_or_b32 exec_lo, exec_lo, s1
	v_mov_b32_e32 v12, 0
	ds_load_b32 v12, v12 offset:40
	s_wait_dscnt 0x0
	v_mul_f32_e32 v12, v25, v12
.LBB86_440:
	s_or_b32 exec_lo, exec_lo, s0
	s_delay_alu instid0(SALU_CYCLE_1)
	s_mov_b32 s0, exec_lo
	ds_store_b32 v115, v13
	s_wait_dscnt 0x0
	s_barrier_signal -1
	s_barrier_wait -1
	v_cmpx_gt_u32_e32 11, v0
	s_cbranch_execz .LBB86_450
; %bb.441:
	v_cmp_ne_u32_e32 vcc_lo, 1, v34
	s_cbranch_vccnz .LBB86_443
; %bb.442:
	v_cmp_eq_u32_e32 vcc_lo, 1, v0
	ds_load_b32 v26, v115
	v_cndmask_b32_e32 v25, v2, v3, vcc_lo
	v_cmp_eq_u32_e32 vcc_lo, 2, v0
	s_delay_alu instid0(VALU_DEP_2) | instskip(SKIP_1) | instid1(VALU_DEP_2)
	v_cndmask_b32_e32 v25, v25, v4, vcc_lo
	v_cmp_eq_u32_e32 vcc_lo, 3, v0
	v_cndmask_b32_e32 v25, v25, v5, vcc_lo
	v_cmp_eq_u32_e32 vcc_lo, 4, v0
	s_delay_alu instid0(VALU_DEP_2) | instskip(SKIP_1) | instid1(VALU_DEP_2)
	v_cndmask_b32_e32 v25, v25, v6, vcc_lo
	v_cmp_eq_u32_e32 vcc_lo, 5, v0
	;; [unrolled: 5-line block ×10, first 2 shown]
	v_cndmask_b32_e32 v25, v25, v23, vcc_lo
	v_cmp_eq_u32_e32 vcc_lo, 22, v0
	s_delay_alu instid0(VALU_DEP_2) | instskip(SKIP_1) | instid1(VALU_DEP_1)
	v_cndmask_b32_e32 v25, v25, v24, vcc_lo
	s_wait_dscnt 0x0
	v_mul_f32_e32 v25, v25, v26
	s_cbranch_execz .LBB86_444
	s_branch .LBB86_445
.LBB86_443:
                                        ; implicit-def: $vgpr25
.LBB86_444:
	ds_load_b32 v25, v115
.LBB86_445:
	s_mov_b32 s1, exec_lo
	v_cmpx_ne_u32_e32 10, v0
	s_cbranch_execz .LBB86_449
; %bb.446:
	v_mov_b64_e32 v[26:27], v[0:1]
	v_lshl_add_u32 v28, v0, 2, 0x64
	s_mov_b32 s2, 0
.LBB86_447:                             ; =>This Inner Loop Header: Depth=1
	s_delay_alu instid0(VALU_DEP_2)
	v_add_nc_u64_e32 v[26:27], 1, v[26:27]
	ds_load_b32 v30, v28
	v_add_nc_u32_e32 v28, 4, v28
	v_cmp_eq_u32_e32 vcc_lo, 1, v26
	v_cndmask_b32_e32 v29, v2, v3, vcc_lo
	v_cmp_eq_u32_e32 vcc_lo, 2, v26
	s_delay_alu instid0(VALU_DEP_2) | instskip(SKIP_1) | instid1(VALU_DEP_2)
	v_cndmask_b32_e32 v29, v29, v4, vcc_lo
	v_cmp_eq_u32_e32 vcc_lo, 3, v26
	v_cndmask_b32_e32 v29, v29, v5, vcc_lo
	v_cmp_eq_u32_e32 vcc_lo, 4, v26
	s_delay_alu instid0(VALU_DEP_2) | instskip(SKIP_1) | instid1(VALU_DEP_2)
	v_cndmask_b32_e32 v29, v29, v6, vcc_lo
	;; [unrolled: 5-line block ×10, first 2 shown]
	v_cmp_eq_u32_e32 vcc_lo, 21, v26
	v_cndmask_b32_e32 v29, v29, v23, vcc_lo
	v_cmp_eq_u32_e32 vcc_lo, 22, v26
	s_delay_alu instid0(VALU_DEP_2) | instskip(SKIP_2) | instid1(VALU_DEP_2)
	v_cndmask_b32_e32 v29, v29, v24, vcc_lo
	v_cmp_lt_u32_e32 vcc_lo, 9, v26
	s_wait_dscnt 0x0
	v_fmac_f32_e32 v25, v29, v30
	s_or_b32 s2, vcc_lo, s2
	s_delay_alu instid0(SALU_CYCLE_1)
	s_and_not1_b32 exec_lo, exec_lo, s2
	s_cbranch_execnz .LBB86_447
; %bb.448:
	s_or_b32 exec_lo, exec_lo, s2
.LBB86_449:
	s_delay_alu instid0(SALU_CYCLE_1)
	s_or_b32 exec_lo, exec_lo, s1
	v_mov_b32_e32 v13, 0
	ds_load_b32 v13, v13 offset:44
	s_wait_dscnt 0x0
	v_mul_f32_e32 v13, v25, v13
.LBB86_450:
	s_or_b32 exec_lo, exec_lo, s0
	s_delay_alu instid0(SALU_CYCLE_1)
	s_mov_b32 s0, exec_lo
	ds_store_b32 v115, v14
	s_wait_dscnt 0x0
	s_barrier_signal -1
	s_barrier_wait -1
	v_cmpx_gt_u32_e32 12, v0
	s_cbranch_execz .LBB86_460
; %bb.451:
	v_cmp_ne_u32_e32 vcc_lo, 1, v34
	s_cbranch_vccnz .LBB86_453
; %bb.452:
	v_cmp_eq_u32_e32 vcc_lo, 1, v0
	ds_load_b32 v26, v115
	v_cndmask_b32_e32 v25, v2, v3, vcc_lo
	v_cmp_eq_u32_e32 vcc_lo, 2, v0
	s_delay_alu instid0(VALU_DEP_2) | instskip(SKIP_1) | instid1(VALU_DEP_2)
	v_cndmask_b32_e32 v25, v25, v4, vcc_lo
	v_cmp_eq_u32_e32 vcc_lo, 3, v0
	v_cndmask_b32_e32 v25, v25, v5, vcc_lo
	v_cmp_eq_u32_e32 vcc_lo, 4, v0
	s_delay_alu instid0(VALU_DEP_2) | instskip(SKIP_1) | instid1(VALU_DEP_2)
	v_cndmask_b32_e32 v25, v25, v6, vcc_lo
	v_cmp_eq_u32_e32 vcc_lo, 5, v0
	;; [unrolled: 5-line block ×10, first 2 shown]
	v_cndmask_b32_e32 v25, v25, v23, vcc_lo
	v_cmp_eq_u32_e32 vcc_lo, 22, v0
	s_delay_alu instid0(VALU_DEP_2) | instskip(SKIP_1) | instid1(VALU_DEP_1)
	v_cndmask_b32_e32 v25, v25, v24, vcc_lo
	s_wait_dscnt 0x0
	v_mul_f32_e32 v25, v25, v26
	s_cbranch_execz .LBB86_454
	s_branch .LBB86_455
.LBB86_453:
                                        ; implicit-def: $vgpr25
.LBB86_454:
	ds_load_b32 v25, v115
.LBB86_455:
	s_mov_b32 s1, exec_lo
	v_cmpx_ne_u32_e32 11, v0
	s_cbranch_execz .LBB86_459
; %bb.456:
	v_mov_b64_e32 v[26:27], v[0:1]
	v_lshl_add_u32 v28, v0, 2, 0x64
	s_mov_b32 s2, 0
.LBB86_457:                             ; =>This Inner Loop Header: Depth=1
	s_delay_alu instid0(VALU_DEP_2)
	v_add_nc_u64_e32 v[26:27], 1, v[26:27]
	ds_load_b32 v30, v28
	v_add_nc_u32_e32 v28, 4, v28
	v_cmp_eq_u32_e32 vcc_lo, 1, v26
	v_cndmask_b32_e32 v29, v2, v3, vcc_lo
	v_cmp_eq_u32_e32 vcc_lo, 2, v26
	s_delay_alu instid0(VALU_DEP_2) | instskip(SKIP_1) | instid1(VALU_DEP_2)
	v_cndmask_b32_e32 v29, v29, v4, vcc_lo
	v_cmp_eq_u32_e32 vcc_lo, 3, v26
	v_cndmask_b32_e32 v29, v29, v5, vcc_lo
	v_cmp_eq_u32_e32 vcc_lo, 4, v26
	s_delay_alu instid0(VALU_DEP_2) | instskip(SKIP_1) | instid1(VALU_DEP_2)
	v_cndmask_b32_e32 v29, v29, v6, vcc_lo
	;; [unrolled: 5-line block ×10, first 2 shown]
	v_cmp_eq_u32_e32 vcc_lo, 21, v26
	v_cndmask_b32_e32 v29, v29, v23, vcc_lo
	v_cmp_eq_u32_e32 vcc_lo, 22, v26
	s_delay_alu instid0(VALU_DEP_2) | instskip(SKIP_2) | instid1(VALU_DEP_2)
	v_cndmask_b32_e32 v29, v29, v24, vcc_lo
	v_cmp_lt_u32_e32 vcc_lo, 10, v26
	s_wait_dscnt 0x0
	v_fmac_f32_e32 v25, v29, v30
	s_or_b32 s2, vcc_lo, s2
	s_delay_alu instid0(SALU_CYCLE_1)
	s_and_not1_b32 exec_lo, exec_lo, s2
	s_cbranch_execnz .LBB86_457
; %bb.458:
	s_or_b32 exec_lo, exec_lo, s2
.LBB86_459:
	s_delay_alu instid0(SALU_CYCLE_1)
	s_or_b32 exec_lo, exec_lo, s1
	v_mov_b32_e32 v14, 0
	ds_load_b32 v14, v14 offset:48
	s_wait_dscnt 0x0
	v_mul_f32_e32 v14, v25, v14
.LBB86_460:
	s_or_b32 exec_lo, exec_lo, s0
	s_delay_alu instid0(SALU_CYCLE_1)
	s_mov_b32 s0, exec_lo
	ds_store_b32 v115, v15
	s_wait_dscnt 0x0
	s_barrier_signal -1
	s_barrier_wait -1
	v_cmpx_gt_u32_e32 13, v0
	s_cbranch_execz .LBB86_470
; %bb.461:
	v_cmp_ne_u32_e32 vcc_lo, 1, v34
	s_cbranch_vccnz .LBB86_463
; %bb.462:
	v_cmp_eq_u32_e32 vcc_lo, 1, v0
	ds_load_b32 v26, v115
	v_cndmask_b32_e32 v25, v2, v3, vcc_lo
	v_cmp_eq_u32_e32 vcc_lo, 2, v0
	s_delay_alu instid0(VALU_DEP_2) | instskip(SKIP_1) | instid1(VALU_DEP_2)
	v_cndmask_b32_e32 v25, v25, v4, vcc_lo
	v_cmp_eq_u32_e32 vcc_lo, 3, v0
	v_cndmask_b32_e32 v25, v25, v5, vcc_lo
	v_cmp_eq_u32_e32 vcc_lo, 4, v0
	s_delay_alu instid0(VALU_DEP_2) | instskip(SKIP_1) | instid1(VALU_DEP_2)
	v_cndmask_b32_e32 v25, v25, v6, vcc_lo
	v_cmp_eq_u32_e32 vcc_lo, 5, v0
	;; [unrolled: 5-line block ×10, first 2 shown]
	v_cndmask_b32_e32 v25, v25, v23, vcc_lo
	v_cmp_eq_u32_e32 vcc_lo, 22, v0
	s_delay_alu instid0(VALU_DEP_2) | instskip(SKIP_1) | instid1(VALU_DEP_1)
	v_cndmask_b32_e32 v25, v25, v24, vcc_lo
	s_wait_dscnt 0x0
	v_mul_f32_e32 v25, v25, v26
	s_cbranch_execz .LBB86_464
	s_branch .LBB86_465
.LBB86_463:
                                        ; implicit-def: $vgpr25
.LBB86_464:
	ds_load_b32 v25, v115
.LBB86_465:
	s_mov_b32 s1, exec_lo
	v_cmpx_ne_u32_e32 12, v0
	s_cbranch_execz .LBB86_469
; %bb.466:
	v_mov_b64_e32 v[26:27], v[0:1]
	v_lshl_add_u32 v28, v0, 2, 0x64
	s_mov_b32 s2, 0
.LBB86_467:                             ; =>This Inner Loop Header: Depth=1
	s_delay_alu instid0(VALU_DEP_2)
	v_add_nc_u64_e32 v[26:27], 1, v[26:27]
	ds_load_b32 v30, v28
	v_add_nc_u32_e32 v28, 4, v28
	v_cmp_eq_u32_e32 vcc_lo, 1, v26
	v_cndmask_b32_e32 v29, v2, v3, vcc_lo
	v_cmp_eq_u32_e32 vcc_lo, 2, v26
	s_delay_alu instid0(VALU_DEP_2) | instskip(SKIP_1) | instid1(VALU_DEP_2)
	v_cndmask_b32_e32 v29, v29, v4, vcc_lo
	v_cmp_eq_u32_e32 vcc_lo, 3, v26
	v_cndmask_b32_e32 v29, v29, v5, vcc_lo
	v_cmp_eq_u32_e32 vcc_lo, 4, v26
	s_delay_alu instid0(VALU_DEP_2) | instskip(SKIP_1) | instid1(VALU_DEP_2)
	v_cndmask_b32_e32 v29, v29, v6, vcc_lo
	;; [unrolled: 5-line block ×10, first 2 shown]
	v_cmp_eq_u32_e32 vcc_lo, 21, v26
	v_cndmask_b32_e32 v29, v29, v23, vcc_lo
	v_cmp_eq_u32_e32 vcc_lo, 22, v26
	s_delay_alu instid0(VALU_DEP_2) | instskip(SKIP_2) | instid1(VALU_DEP_2)
	v_cndmask_b32_e32 v29, v29, v24, vcc_lo
	v_cmp_lt_u32_e32 vcc_lo, 11, v26
	s_wait_dscnt 0x0
	v_fmac_f32_e32 v25, v29, v30
	s_or_b32 s2, vcc_lo, s2
	s_delay_alu instid0(SALU_CYCLE_1)
	s_and_not1_b32 exec_lo, exec_lo, s2
	s_cbranch_execnz .LBB86_467
; %bb.468:
	s_or_b32 exec_lo, exec_lo, s2
.LBB86_469:
	s_delay_alu instid0(SALU_CYCLE_1)
	s_or_b32 exec_lo, exec_lo, s1
	v_mov_b32_e32 v15, 0
	ds_load_b32 v15, v15 offset:52
	s_wait_dscnt 0x0
	v_mul_f32_e32 v15, v25, v15
.LBB86_470:
	s_or_b32 exec_lo, exec_lo, s0
	s_delay_alu instid0(SALU_CYCLE_1)
	s_mov_b32 s0, exec_lo
	ds_store_b32 v115, v16
	s_wait_dscnt 0x0
	s_barrier_signal -1
	s_barrier_wait -1
	v_cmpx_gt_u32_e32 14, v0
	s_cbranch_execz .LBB86_480
; %bb.471:
	v_cmp_ne_u32_e32 vcc_lo, 1, v34
	s_cbranch_vccnz .LBB86_473
; %bb.472:
	v_cmp_eq_u32_e32 vcc_lo, 1, v0
	ds_load_b32 v26, v115
	v_cndmask_b32_e32 v25, v2, v3, vcc_lo
	v_cmp_eq_u32_e32 vcc_lo, 2, v0
	s_delay_alu instid0(VALU_DEP_2) | instskip(SKIP_1) | instid1(VALU_DEP_2)
	v_cndmask_b32_e32 v25, v25, v4, vcc_lo
	v_cmp_eq_u32_e32 vcc_lo, 3, v0
	v_cndmask_b32_e32 v25, v25, v5, vcc_lo
	v_cmp_eq_u32_e32 vcc_lo, 4, v0
	s_delay_alu instid0(VALU_DEP_2) | instskip(SKIP_1) | instid1(VALU_DEP_2)
	v_cndmask_b32_e32 v25, v25, v6, vcc_lo
	v_cmp_eq_u32_e32 vcc_lo, 5, v0
	;; [unrolled: 5-line block ×10, first 2 shown]
	v_cndmask_b32_e32 v25, v25, v23, vcc_lo
	v_cmp_eq_u32_e32 vcc_lo, 22, v0
	s_delay_alu instid0(VALU_DEP_2) | instskip(SKIP_1) | instid1(VALU_DEP_1)
	v_cndmask_b32_e32 v25, v25, v24, vcc_lo
	s_wait_dscnt 0x0
	v_mul_f32_e32 v25, v25, v26
	s_cbranch_execz .LBB86_474
	s_branch .LBB86_475
.LBB86_473:
                                        ; implicit-def: $vgpr25
.LBB86_474:
	ds_load_b32 v25, v115
.LBB86_475:
	s_mov_b32 s1, exec_lo
	v_cmpx_ne_u32_e32 13, v0
	s_cbranch_execz .LBB86_479
; %bb.476:
	v_mov_b64_e32 v[26:27], v[0:1]
	v_lshl_add_u32 v28, v0, 2, 0x64
	s_mov_b32 s2, 0
.LBB86_477:                             ; =>This Inner Loop Header: Depth=1
	s_delay_alu instid0(VALU_DEP_2)
	v_add_nc_u64_e32 v[26:27], 1, v[26:27]
	ds_load_b32 v30, v28
	v_add_nc_u32_e32 v28, 4, v28
	v_cmp_eq_u32_e32 vcc_lo, 1, v26
	v_cndmask_b32_e32 v29, v2, v3, vcc_lo
	v_cmp_eq_u32_e32 vcc_lo, 2, v26
	s_delay_alu instid0(VALU_DEP_2) | instskip(SKIP_1) | instid1(VALU_DEP_2)
	v_cndmask_b32_e32 v29, v29, v4, vcc_lo
	v_cmp_eq_u32_e32 vcc_lo, 3, v26
	v_cndmask_b32_e32 v29, v29, v5, vcc_lo
	v_cmp_eq_u32_e32 vcc_lo, 4, v26
	s_delay_alu instid0(VALU_DEP_2) | instskip(SKIP_1) | instid1(VALU_DEP_2)
	v_cndmask_b32_e32 v29, v29, v6, vcc_lo
	;; [unrolled: 5-line block ×10, first 2 shown]
	v_cmp_eq_u32_e32 vcc_lo, 21, v26
	v_cndmask_b32_e32 v29, v29, v23, vcc_lo
	v_cmp_eq_u32_e32 vcc_lo, 22, v26
	s_delay_alu instid0(VALU_DEP_2) | instskip(SKIP_2) | instid1(VALU_DEP_2)
	v_cndmask_b32_e32 v29, v29, v24, vcc_lo
	v_cmp_lt_u32_e32 vcc_lo, 12, v26
	s_wait_dscnt 0x0
	v_fmac_f32_e32 v25, v29, v30
	s_or_b32 s2, vcc_lo, s2
	s_delay_alu instid0(SALU_CYCLE_1)
	s_and_not1_b32 exec_lo, exec_lo, s2
	s_cbranch_execnz .LBB86_477
; %bb.478:
	s_or_b32 exec_lo, exec_lo, s2
.LBB86_479:
	s_delay_alu instid0(SALU_CYCLE_1)
	s_or_b32 exec_lo, exec_lo, s1
	v_mov_b32_e32 v16, 0
	ds_load_b32 v16, v16 offset:56
	s_wait_dscnt 0x0
	v_mul_f32_e32 v16, v25, v16
.LBB86_480:
	s_or_b32 exec_lo, exec_lo, s0
	s_delay_alu instid0(SALU_CYCLE_1)
	s_mov_b32 s0, exec_lo
	ds_store_b32 v115, v17
	s_wait_dscnt 0x0
	s_barrier_signal -1
	s_barrier_wait -1
	v_cmpx_gt_u32_e32 15, v0
	s_cbranch_execz .LBB86_490
; %bb.481:
	v_cmp_ne_u32_e32 vcc_lo, 1, v34
	s_cbranch_vccnz .LBB86_483
; %bb.482:
	v_cmp_eq_u32_e32 vcc_lo, 1, v0
	ds_load_b32 v26, v115
	v_cndmask_b32_e32 v25, v2, v3, vcc_lo
	v_cmp_eq_u32_e32 vcc_lo, 2, v0
	s_delay_alu instid0(VALU_DEP_2) | instskip(SKIP_1) | instid1(VALU_DEP_2)
	v_cndmask_b32_e32 v25, v25, v4, vcc_lo
	v_cmp_eq_u32_e32 vcc_lo, 3, v0
	v_cndmask_b32_e32 v25, v25, v5, vcc_lo
	v_cmp_eq_u32_e32 vcc_lo, 4, v0
	s_delay_alu instid0(VALU_DEP_2) | instskip(SKIP_1) | instid1(VALU_DEP_2)
	v_cndmask_b32_e32 v25, v25, v6, vcc_lo
	v_cmp_eq_u32_e32 vcc_lo, 5, v0
	;; [unrolled: 5-line block ×10, first 2 shown]
	v_cndmask_b32_e32 v25, v25, v23, vcc_lo
	v_cmp_eq_u32_e32 vcc_lo, 22, v0
	s_delay_alu instid0(VALU_DEP_2) | instskip(SKIP_1) | instid1(VALU_DEP_1)
	v_cndmask_b32_e32 v25, v25, v24, vcc_lo
	s_wait_dscnt 0x0
	v_mul_f32_e32 v25, v25, v26
	s_cbranch_execz .LBB86_484
	s_branch .LBB86_485
.LBB86_483:
                                        ; implicit-def: $vgpr25
.LBB86_484:
	ds_load_b32 v25, v115
.LBB86_485:
	s_mov_b32 s1, exec_lo
	v_cmpx_ne_u32_e32 14, v0
	s_cbranch_execz .LBB86_489
; %bb.486:
	v_mov_b64_e32 v[26:27], v[0:1]
	v_lshl_add_u32 v28, v0, 2, 0x64
	s_mov_b32 s2, 0
.LBB86_487:                             ; =>This Inner Loop Header: Depth=1
	s_delay_alu instid0(VALU_DEP_2)
	v_add_nc_u64_e32 v[26:27], 1, v[26:27]
	ds_load_b32 v30, v28
	v_add_nc_u32_e32 v28, 4, v28
	v_cmp_eq_u32_e32 vcc_lo, 1, v26
	v_cndmask_b32_e32 v29, v2, v3, vcc_lo
	v_cmp_eq_u32_e32 vcc_lo, 2, v26
	s_delay_alu instid0(VALU_DEP_2) | instskip(SKIP_1) | instid1(VALU_DEP_2)
	v_cndmask_b32_e32 v29, v29, v4, vcc_lo
	v_cmp_eq_u32_e32 vcc_lo, 3, v26
	v_cndmask_b32_e32 v29, v29, v5, vcc_lo
	v_cmp_eq_u32_e32 vcc_lo, 4, v26
	s_delay_alu instid0(VALU_DEP_2) | instskip(SKIP_1) | instid1(VALU_DEP_2)
	v_cndmask_b32_e32 v29, v29, v6, vcc_lo
	;; [unrolled: 5-line block ×10, first 2 shown]
	v_cmp_eq_u32_e32 vcc_lo, 21, v26
	v_cndmask_b32_e32 v29, v29, v23, vcc_lo
	v_cmp_eq_u32_e32 vcc_lo, 22, v26
	s_delay_alu instid0(VALU_DEP_2) | instskip(SKIP_2) | instid1(VALU_DEP_2)
	v_cndmask_b32_e32 v29, v29, v24, vcc_lo
	v_cmp_lt_u32_e32 vcc_lo, 13, v26
	s_wait_dscnt 0x0
	v_fmac_f32_e32 v25, v29, v30
	s_or_b32 s2, vcc_lo, s2
	s_delay_alu instid0(SALU_CYCLE_1)
	s_and_not1_b32 exec_lo, exec_lo, s2
	s_cbranch_execnz .LBB86_487
; %bb.488:
	s_or_b32 exec_lo, exec_lo, s2
.LBB86_489:
	s_delay_alu instid0(SALU_CYCLE_1)
	s_or_b32 exec_lo, exec_lo, s1
	v_mov_b32_e32 v17, 0
	ds_load_b32 v17, v17 offset:60
	s_wait_dscnt 0x0
	v_mul_f32_e32 v17, v25, v17
.LBB86_490:
	s_or_b32 exec_lo, exec_lo, s0
	s_delay_alu instid0(SALU_CYCLE_1)
	s_mov_b32 s0, exec_lo
	ds_store_b32 v115, v18
	s_wait_dscnt 0x0
	s_barrier_signal -1
	s_barrier_wait -1
	v_cmpx_gt_u32_e32 16, v0
	s_cbranch_execz .LBB86_500
; %bb.491:
	v_cmp_ne_u32_e32 vcc_lo, 1, v34
	s_cbranch_vccnz .LBB86_493
; %bb.492:
	v_cmp_eq_u32_e32 vcc_lo, 1, v0
	ds_load_b32 v26, v115
	v_cndmask_b32_e32 v25, v2, v3, vcc_lo
	v_cmp_eq_u32_e32 vcc_lo, 2, v0
	s_delay_alu instid0(VALU_DEP_2) | instskip(SKIP_1) | instid1(VALU_DEP_2)
	v_cndmask_b32_e32 v25, v25, v4, vcc_lo
	v_cmp_eq_u32_e32 vcc_lo, 3, v0
	v_cndmask_b32_e32 v25, v25, v5, vcc_lo
	v_cmp_eq_u32_e32 vcc_lo, 4, v0
	s_delay_alu instid0(VALU_DEP_2) | instskip(SKIP_1) | instid1(VALU_DEP_2)
	v_cndmask_b32_e32 v25, v25, v6, vcc_lo
	v_cmp_eq_u32_e32 vcc_lo, 5, v0
	;; [unrolled: 5-line block ×10, first 2 shown]
	v_cndmask_b32_e32 v25, v25, v23, vcc_lo
	v_cmp_eq_u32_e32 vcc_lo, 22, v0
	s_delay_alu instid0(VALU_DEP_2) | instskip(SKIP_1) | instid1(VALU_DEP_1)
	v_cndmask_b32_e32 v25, v25, v24, vcc_lo
	s_wait_dscnt 0x0
	v_mul_f32_e32 v25, v25, v26
	s_cbranch_execz .LBB86_494
	s_branch .LBB86_495
.LBB86_493:
                                        ; implicit-def: $vgpr25
.LBB86_494:
	ds_load_b32 v25, v115
.LBB86_495:
	s_mov_b32 s1, exec_lo
	v_cmpx_ne_u32_e32 15, v0
	s_cbranch_execz .LBB86_499
; %bb.496:
	v_mov_b64_e32 v[26:27], v[0:1]
	v_lshl_add_u32 v28, v0, 2, 0x64
	s_mov_b32 s2, 0
.LBB86_497:                             ; =>This Inner Loop Header: Depth=1
	s_delay_alu instid0(VALU_DEP_2)
	v_add_nc_u64_e32 v[26:27], 1, v[26:27]
	ds_load_b32 v30, v28
	v_add_nc_u32_e32 v28, 4, v28
	v_cmp_eq_u32_e32 vcc_lo, 1, v26
	v_cndmask_b32_e32 v29, v2, v3, vcc_lo
	v_cmp_eq_u32_e32 vcc_lo, 2, v26
	s_delay_alu instid0(VALU_DEP_2) | instskip(SKIP_1) | instid1(VALU_DEP_2)
	v_cndmask_b32_e32 v29, v29, v4, vcc_lo
	v_cmp_eq_u32_e32 vcc_lo, 3, v26
	v_cndmask_b32_e32 v29, v29, v5, vcc_lo
	v_cmp_eq_u32_e32 vcc_lo, 4, v26
	s_delay_alu instid0(VALU_DEP_2) | instskip(SKIP_1) | instid1(VALU_DEP_2)
	v_cndmask_b32_e32 v29, v29, v6, vcc_lo
	;; [unrolled: 5-line block ×10, first 2 shown]
	v_cmp_eq_u32_e32 vcc_lo, 21, v26
	v_cndmask_b32_e32 v29, v29, v23, vcc_lo
	v_cmp_eq_u32_e32 vcc_lo, 22, v26
	s_delay_alu instid0(VALU_DEP_2) | instskip(SKIP_2) | instid1(VALU_DEP_2)
	v_cndmask_b32_e32 v29, v29, v24, vcc_lo
	v_cmp_lt_u32_e32 vcc_lo, 14, v26
	s_wait_dscnt 0x0
	v_fmac_f32_e32 v25, v29, v30
	s_or_b32 s2, vcc_lo, s2
	s_delay_alu instid0(SALU_CYCLE_1)
	s_and_not1_b32 exec_lo, exec_lo, s2
	s_cbranch_execnz .LBB86_497
; %bb.498:
	s_or_b32 exec_lo, exec_lo, s2
.LBB86_499:
	s_delay_alu instid0(SALU_CYCLE_1)
	s_or_b32 exec_lo, exec_lo, s1
	v_mov_b32_e32 v18, 0
	ds_load_b32 v18, v18 offset:64
	s_wait_dscnt 0x0
	v_mul_f32_e32 v18, v25, v18
.LBB86_500:
	s_or_b32 exec_lo, exec_lo, s0
	s_delay_alu instid0(SALU_CYCLE_1)
	s_mov_b32 s0, exec_lo
	ds_store_b32 v115, v19
	s_wait_dscnt 0x0
	s_barrier_signal -1
	s_barrier_wait -1
	v_cmpx_gt_u32_e32 17, v0
	s_cbranch_execz .LBB86_510
; %bb.501:
	v_cmp_ne_u32_e32 vcc_lo, 1, v34
	s_cbranch_vccnz .LBB86_503
; %bb.502:
	v_cmp_eq_u32_e32 vcc_lo, 1, v0
	ds_load_b32 v26, v115
	v_cndmask_b32_e32 v25, v2, v3, vcc_lo
	v_cmp_eq_u32_e32 vcc_lo, 2, v0
	s_delay_alu instid0(VALU_DEP_2) | instskip(SKIP_1) | instid1(VALU_DEP_2)
	v_cndmask_b32_e32 v25, v25, v4, vcc_lo
	v_cmp_eq_u32_e32 vcc_lo, 3, v0
	v_cndmask_b32_e32 v25, v25, v5, vcc_lo
	v_cmp_eq_u32_e32 vcc_lo, 4, v0
	s_delay_alu instid0(VALU_DEP_2) | instskip(SKIP_1) | instid1(VALU_DEP_2)
	v_cndmask_b32_e32 v25, v25, v6, vcc_lo
	v_cmp_eq_u32_e32 vcc_lo, 5, v0
	;; [unrolled: 5-line block ×10, first 2 shown]
	v_cndmask_b32_e32 v25, v25, v23, vcc_lo
	v_cmp_eq_u32_e32 vcc_lo, 22, v0
	s_delay_alu instid0(VALU_DEP_2) | instskip(SKIP_1) | instid1(VALU_DEP_1)
	v_cndmask_b32_e32 v25, v25, v24, vcc_lo
	s_wait_dscnt 0x0
	v_mul_f32_e32 v25, v25, v26
	s_cbranch_execz .LBB86_504
	s_branch .LBB86_505
.LBB86_503:
                                        ; implicit-def: $vgpr25
.LBB86_504:
	ds_load_b32 v25, v115
.LBB86_505:
	s_mov_b32 s1, exec_lo
	v_cmpx_ne_u32_e32 16, v0
	s_cbranch_execz .LBB86_509
; %bb.506:
	v_mov_b64_e32 v[26:27], v[0:1]
	v_lshl_add_u32 v28, v0, 2, 0x64
	s_mov_b32 s2, 0
.LBB86_507:                             ; =>This Inner Loop Header: Depth=1
	s_delay_alu instid0(VALU_DEP_2)
	v_add_nc_u64_e32 v[26:27], 1, v[26:27]
	ds_load_b32 v30, v28
	v_add_nc_u32_e32 v28, 4, v28
	v_cmp_eq_u32_e32 vcc_lo, 1, v26
	v_cndmask_b32_e32 v29, v2, v3, vcc_lo
	v_cmp_eq_u32_e32 vcc_lo, 2, v26
	s_delay_alu instid0(VALU_DEP_2) | instskip(SKIP_1) | instid1(VALU_DEP_2)
	v_cndmask_b32_e32 v29, v29, v4, vcc_lo
	v_cmp_eq_u32_e32 vcc_lo, 3, v26
	v_cndmask_b32_e32 v29, v29, v5, vcc_lo
	v_cmp_eq_u32_e32 vcc_lo, 4, v26
	s_delay_alu instid0(VALU_DEP_2) | instskip(SKIP_1) | instid1(VALU_DEP_2)
	v_cndmask_b32_e32 v29, v29, v6, vcc_lo
	;; [unrolled: 5-line block ×10, first 2 shown]
	v_cmp_eq_u32_e32 vcc_lo, 21, v26
	v_cndmask_b32_e32 v29, v29, v23, vcc_lo
	v_cmp_eq_u32_e32 vcc_lo, 22, v26
	s_delay_alu instid0(VALU_DEP_2) | instskip(SKIP_2) | instid1(VALU_DEP_2)
	v_cndmask_b32_e32 v29, v29, v24, vcc_lo
	v_cmp_lt_u32_e32 vcc_lo, 15, v26
	s_wait_dscnt 0x0
	v_fmac_f32_e32 v25, v29, v30
	s_or_b32 s2, vcc_lo, s2
	s_delay_alu instid0(SALU_CYCLE_1)
	s_and_not1_b32 exec_lo, exec_lo, s2
	s_cbranch_execnz .LBB86_507
; %bb.508:
	s_or_b32 exec_lo, exec_lo, s2
.LBB86_509:
	s_delay_alu instid0(SALU_CYCLE_1)
	s_or_b32 exec_lo, exec_lo, s1
	v_mov_b32_e32 v19, 0
	ds_load_b32 v19, v19 offset:68
	s_wait_dscnt 0x0
	v_mul_f32_e32 v19, v25, v19
.LBB86_510:
	s_or_b32 exec_lo, exec_lo, s0
	s_delay_alu instid0(SALU_CYCLE_1)
	s_mov_b32 s0, exec_lo
	ds_store_b32 v115, v20
	s_wait_dscnt 0x0
	s_barrier_signal -1
	s_barrier_wait -1
	v_cmpx_gt_u32_e32 18, v0
	s_cbranch_execz .LBB86_520
; %bb.511:
	v_cmp_ne_u32_e32 vcc_lo, 1, v34
	s_cbranch_vccnz .LBB86_513
; %bb.512:
	v_cmp_eq_u32_e32 vcc_lo, 1, v0
	ds_load_b32 v26, v115
	v_cndmask_b32_e32 v25, v2, v3, vcc_lo
	v_cmp_eq_u32_e32 vcc_lo, 2, v0
	s_delay_alu instid0(VALU_DEP_2) | instskip(SKIP_1) | instid1(VALU_DEP_2)
	v_cndmask_b32_e32 v25, v25, v4, vcc_lo
	v_cmp_eq_u32_e32 vcc_lo, 3, v0
	v_cndmask_b32_e32 v25, v25, v5, vcc_lo
	v_cmp_eq_u32_e32 vcc_lo, 4, v0
	s_delay_alu instid0(VALU_DEP_2) | instskip(SKIP_1) | instid1(VALU_DEP_2)
	v_cndmask_b32_e32 v25, v25, v6, vcc_lo
	v_cmp_eq_u32_e32 vcc_lo, 5, v0
	;; [unrolled: 5-line block ×10, first 2 shown]
	v_cndmask_b32_e32 v25, v25, v23, vcc_lo
	v_cmp_eq_u32_e32 vcc_lo, 22, v0
	s_delay_alu instid0(VALU_DEP_2) | instskip(SKIP_1) | instid1(VALU_DEP_1)
	v_cndmask_b32_e32 v25, v25, v24, vcc_lo
	s_wait_dscnt 0x0
	v_mul_f32_e32 v25, v25, v26
	s_cbranch_execz .LBB86_514
	s_branch .LBB86_515
.LBB86_513:
                                        ; implicit-def: $vgpr25
.LBB86_514:
	ds_load_b32 v25, v115
.LBB86_515:
	s_mov_b32 s1, exec_lo
	v_cmpx_ne_u32_e32 17, v0
	s_cbranch_execz .LBB86_519
; %bb.516:
	v_mov_b64_e32 v[26:27], v[0:1]
	v_lshl_add_u32 v28, v0, 2, 0x64
	s_mov_b32 s2, 0
.LBB86_517:                             ; =>This Inner Loop Header: Depth=1
	s_delay_alu instid0(VALU_DEP_2)
	v_add_nc_u64_e32 v[26:27], 1, v[26:27]
	ds_load_b32 v30, v28
	v_add_nc_u32_e32 v28, 4, v28
	v_cmp_eq_u32_e32 vcc_lo, 1, v26
	v_cndmask_b32_e32 v29, v2, v3, vcc_lo
	v_cmp_eq_u32_e32 vcc_lo, 2, v26
	s_delay_alu instid0(VALU_DEP_2) | instskip(SKIP_1) | instid1(VALU_DEP_2)
	v_cndmask_b32_e32 v29, v29, v4, vcc_lo
	v_cmp_eq_u32_e32 vcc_lo, 3, v26
	v_cndmask_b32_e32 v29, v29, v5, vcc_lo
	v_cmp_eq_u32_e32 vcc_lo, 4, v26
	s_delay_alu instid0(VALU_DEP_2) | instskip(SKIP_1) | instid1(VALU_DEP_2)
	v_cndmask_b32_e32 v29, v29, v6, vcc_lo
	;; [unrolled: 5-line block ×10, first 2 shown]
	v_cmp_eq_u32_e32 vcc_lo, 21, v26
	v_cndmask_b32_e32 v29, v29, v23, vcc_lo
	v_cmp_eq_u32_e32 vcc_lo, 22, v26
	s_delay_alu instid0(VALU_DEP_2) | instskip(SKIP_2) | instid1(VALU_DEP_2)
	v_cndmask_b32_e32 v29, v29, v24, vcc_lo
	v_cmp_lt_u32_e32 vcc_lo, 16, v26
	s_wait_dscnt 0x0
	v_fmac_f32_e32 v25, v29, v30
	s_or_b32 s2, vcc_lo, s2
	s_delay_alu instid0(SALU_CYCLE_1)
	s_and_not1_b32 exec_lo, exec_lo, s2
	s_cbranch_execnz .LBB86_517
; %bb.518:
	s_or_b32 exec_lo, exec_lo, s2
.LBB86_519:
	s_delay_alu instid0(SALU_CYCLE_1)
	s_or_b32 exec_lo, exec_lo, s1
	v_mov_b32_e32 v20, 0
	ds_load_b32 v20, v20 offset:72
	s_wait_dscnt 0x0
	v_mul_f32_e32 v20, v25, v20
.LBB86_520:
	s_or_b32 exec_lo, exec_lo, s0
	s_delay_alu instid0(SALU_CYCLE_1)
	s_mov_b32 s0, exec_lo
	ds_store_b32 v115, v21
	s_wait_dscnt 0x0
	s_barrier_signal -1
	s_barrier_wait -1
	v_cmpx_gt_u32_e32 19, v0
	s_cbranch_execz .LBB86_530
; %bb.521:
	v_cmp_ne_u32_e32 vcc_lo, 1, v34
	s_cbranch_vccnz .LBB86_523
; %bb.522:
	v_cmp_eq_u32_e32 vcc_lo, 1, v0
	ds_load_b32 v26, v115
	v_cndmask_b32_e32 v25, v2, v3, vcc_lo
	v_cmp_eq_u32_e32 vcc_lo, 2, v0
	s_delay_alu instid0(VALU_DEP_2) | instskip(SKIP_1) | instid1(VALU_DEP_2)
	v_cndmask_b32_e32 v25, v25, v4, vcc_lo
	v_cmp_eq_u32_e32 vcc_lo, 3, v0
	v_cndmask_b32_e32 v25, v25, v5, vcc_lo
	v_cmp_eq_u32_e32 vcc_lo, 4, v0
	s_delay_alu instid0(VALU_DEP_2) | instskip(SKIP_1) | instid1(VALU_DEP_2)
	v_cndmask_b32_e32 v25, v25, v6, vcc_lo
	v_cmp_eq_u32_e32 vcc_lo, 5, v0
	;; [unrolled: 5-line block ×10, first 2 shown]
	v_cndmask_b32_e32 v25, v25, v23, vcc_lo
	v_cmp_eq_u32_e32 vcc_lo, 22, v0
	s_delay_alu instid0(VALU_DEP_2) | instskip(SKIP_1) | instid1(VALU_DEP_1)
	v_cndmask_b32_e32 v25, v25, v24, vcc_lo
	s_wait_dscnt 0x0
	v_mul_f32_e32 v25, v25, v26
	s_cbranch_execz .LBB86_524
	s_branch .LBB86_525
.LBB86_523:
                                        ; implicit-def: $vgpr25
.LBB86_524:
	ds_load_b32 v25, v115
.LBB86_525:
	s_mov_b32 s1, exec_lo
	v_cmpx_ne_u32_e32 18, v0
	s_cbranch_execz .LBB86_529
; %bb.526:
	v_mov_b64_e32 v[26:27], v[0:1]
	v_lshl_add_u32 v28, v0, 2, 0x64
	s_mov_b32 s2, 0
.LBB86_527:                             ; =>This Inner Loop Header: Depth=1
	s_delay_alu instid0(VALU_DEP_2)
	v_add_nc_u64_e32 v[26:27], 1, v[26:27]
	ds_load_b32 v30, v28
	v_add_nc_u32_e32 v28, 4, v28
	v_cmp_eq_u32_e32 vcc_lo, 1, v26
	v_cndmask_b32_e32 v29, v2, v3, vcc_lo
	v_cmp_eq_u32_e32 vcc_lo, 2, v26
	s_delay_alu instid0(VALU_DEP_2) | instskip(SKIP_1) | instid1(VALU_DEP_2)
	v_cndmask_b32_e32 v29, v29, v4, vcc_lo
	v_cmp_eq_u32_e32 vcc_lo, 3, v26
	v_cndmask_b32_e32 v29, v29, v5, vcc_lo
	v_cmp_eq_u32_e32 vcc_lo, 4, v26
	s_delay_alu instid0(VALU_DEP_2) | instskip(SKIP_1) | instid1(VALU_DEP_2)
	v_cndmask_b32_e32 v29, v29, v6, vcc_lo
	;; [unrolled: 5-line block ×10, first 2 shown]
	v_cmp_eq_u32_e32 vcc_lo, 21, v26
	v_cndmask_b32_e32 v29, v29, v23, vcc_lo
	v_cmp_eq_u32_e32 vcc_lo, 22, v26
	s_delay_alu instid0(VALU_DEP_2) | instskip(SKIP_2) | instid1(VALU_DEP_2)
	v_cndmask_b32_e32 v29, v29, v24, vcc_lo
	v_cmp_lt_u32_e32 vcc_lo, 17, v26
	s_wait_dscnt 0x0
	v_fmac_f32_e32 v25, v29, v30
	s_or_b32 s2, vcc_lo, s2
	s_delay_alu instid0(SALU_CYCLE_1)
	s_and_not1_b32 exec_lo, exec_lo, s2
	s_cbranch_execnz .LBB86_527
; %bb.528:
	s_or_b32 exec_lo, exec_lo, s2
.LBB86_529:
	s_delay_alu instid0(SALU_CYCLE_1)
	s_or_b32 exec_lo, exec_lo, s1
	v_mov_b32_e32 v21, 0
	ds_load_b32 v21, v21 offset:76
	s_wait_dscnt 0x0
	v_mul_f32_e32 v21, v25, v21
.LBB86_530:
	s_or_b32 exec_lo, exec_lo, s0
	s_delay_alu instid0(SALU_CYCLE_1)
	s_mov_b32 s0, exec_lo
	ds_store_b32 v115, v22
	s_wait_dscnt 0x0
	s_barrier_signal -1
	s_barrier_wait -1
	v_cmpx_gt_u32_e32 20, v0
	s_cbranch_execz .LBB86_540
; %bb.531:
	v_cmp_ne_u32_e32 vcc_lo, 1, v34
	s_cbranch_vccnz .LBB86_533
; %bb.532:
	v_cmp_eq_u32_e32 vcc_lo, 1, v0
	ds_load_b32 v26, v115
	v_cndmask_b32_e32 v25, v2, v3, vcc_lo
	v_cmp_eq_u32_e32 vcc_lo, 2, v0
	s_delay_alu instid0(VALU_DEP_2) | instskip(SKIP_1) | instid1(VALU_DEP_2)
	v_cndmask_b32_e32 v25, v25, v4, vcc_lo
	v_cmp_eq_u32_e32 vcc_lo, 3, v0
	v_cndmask_b32_e32 v25, v25, v5, vcc_lo
	v_cmp_eq_u32_e32 vcc_lo, 4, v0
	s_delay_alu instid0(VALU_DEP_2) | instskip(SKIP_1) | instid1(VALU_DEP_2)
	v_cndmask_b32_e32 v25, v25, v6, vcc_lo
	v_cmp_eq_u32_e32 vcc_lo, 5, v0
	;; [unrolled: 5-line block ×10, first 2 shown]
	v_cndmask_b32_e32 v25, v25, v23, vcc_lo
	v_cmp_eq_u32_e32 vcc_lo, 22, v0
	s_delay_alu instid0(VALU_DEP_2) | instskip(SKIP_1) | instid1(VALU_DEP_1)
	v_cndmask_b32_e32 v25, v25, v24, vcc_lo
	s_wait_dscnt 0x0
	v_mul_f32_e32 v25, v25, v26
	s_cbranch_execz .LBB86_534
	s_branch .LBB86_535
.LBB86_533:
                                        ; implicit-def: $vgpr25
.LBB86_534:
	ds_load_b32 v25, v115
.LBB86_535:
	s_mov_b32 s1, exec_lo
	v_cmpx_ne_u32_e32 19, v0
	s_cbranch_execz .LBB86_539
; %bb.536:
	v_mov_b64_e32 v[26:27], v[0:1]
	v_lshl_add_u32 v28, v0, 2, 0x64
	s_mov_b32 s2, 0
.LBB86_537:                             ; =>This Inner Loop Header: Depth=1
	s_delay_alu instid0(VALU_DEP_2)
	v_add_nc_u64_e32 v[26:27], 1, v[26:27]
	ds_load_b32 v30, v28
	v_add_nc_u32_e32 v28, 4, v28
	v_cmp_eq_u32_e32 vcc_lo, 1, v26
	v_cndmask_b32_e32 v29, v2, v3, vcc_lo
	v_cmp_eq_u32_e32 vcc_lo, 2, v26
	s_delay_alu instid0(VALU_DEP_2) | instskip(SKIP_1) | instid1(VALU_DEP_2)
	v_cndmask_b32_e32 v29, v29, v4, vcc_lo
	v_cmp_eq_u32_e32 vcc_lo, 3, v26
	v_cndmask_b32_e32 v29, v29, v5, vcc_lo
	v_cmp_eq_u32_e32 vcc_lo, 4, v26
	s_delay_alu instid0(VALU_DEP_2) | instskip(SKIP_1) | instid1(VALU_DEP_2)
	v_cndmask_b32_e32 v29, v29, v6, vcc_lo
	;; [unrolled: 5-line block ×10, first 2 shown]
	v_cmp_eq_u32_e32 vcc_lo, 21, v26
	v_cndmask_b32_e32 v29, v29, v23, vcc_lo
	v_cmp_eq_u32_e32 vcc_lo, 22, v26
	s_delay_alu instid0(VALU_DEP_2) | instskip(SKIP_2) | instid1(VALU_DEP_2)
	v_cndmask_b32_e32 v29, v29, v24, vcc_lo
	v_cmp_lt_u32_e32 vcc_lo, 18, v26
	s_wait_dscnt 0x0
	v_fmac_f32_e32 v25, v29, v30
	s_or_b32 s2, vcc_lo, s2
	s_delay_alu instid0(SALU_CYCLE_1)
	s_and_not1_b32 exec_lo, exec_lo, s2
	s_cbranch_execnz .LBB86_537
; %bb.538:
	s_or_b32 exec_lo, exec_lo, s2
.LBB86_539:
	s_delay_alu instid0(SALU_CYCLE_1)
	s_or_b32 exec_lo, exec_lo, s1
	v_mov_b32_e32 v22, 0
	ds_load_b32 v22, v22 offset:80
	s_wait_dscnt 0x0
	v_mul_f32_e32 v22, v25, v22
.LBB86_540:
	s_or_b32 exec_lo, exec_lo, s0
	v_cmp_gt_u32_e64 s0, 21, v0
	ds_store_b32 v115, v23
	s_wait_dscnt 0x0
	s_barrier_signal -1
	s_barrier_wait -1
	s_and_saveexec_b32 s1, s0
	s_cbranch_execz .LBB86_550
; %bb.541:
	v_cmp_ne_u32_e32 vcc_lo, 1, v34
	s_cbranch_vccnz .LBB86_543
; %bb.542:
	v_cmp_eq_u32_e32 vcc_lo, 1, v0
	ds_load_b32 v26, v115
	v_cndmask_b32_e32 v25, v2, v3, vcc_lo
	v_cmp_eq_u32_e32 vcc_lo, 2, v0
	s_delay_alu instid0(VALU_DEP_2) | instskip(SKIP_1) | instid1(VALU_DEP_2)
	v_cndmask_b32_e32 v25, v25, v4, vcc_lo
	v_cmp_eq_u32_e32 vcc_lo, 3, v0
	v_cndmask_b32_e32 v25, v25, v5, vcc_lo
	v_cmp_eq_u32_e32 vcc_lo, 4, v0
	s_delay_alu instid0(VALU_DEP_2) | instskip(SKIP_1) | instid1(VALU_DEP_2)
	v_cndmask_b32_e32 v25, v25, v6, vcc_lo
	v_cmp_eq_u32_e32 vcc_lo, 5, v0
	;; [unrolled: 5-line block ×10, first 2 shown]
	v_cndmask_b32_e32 v25, v25, v23, vcc_lo
	v_cmp_eq_u32_e32 vcc_lo, 22, v0
	s_delay_alu instid0(VALU_DEP_2) | instskip(SKIP_1) | instid1(VALU_DEP_1)
	v_cndmask_b32_e32 v25, v25, v24, vcc_lo
	s_wait_dscnt 0x0
	v_mul_f32_e32 v25, v25, v26
	s_cbranch_execz .LBB86_544
	s_branch .LBB86_545
.LBB86_543:
                                        ; implicit-def: $vgpr25
.LBB86_544:
	ds_load_b32 v25, v115
.LBB86_545:
	s_mov_b32 s2, exec_lo
	v_cmpx_ne_u32_e32 20, v0
	s_cbranch_execz .LBB86_549
; %bb.546:
	v_mov_b64_e32 v[26:27], v[0:1]
	v_lshl_add_u32 v28, v0, 2, 0x64
	s_mov_b32 s3, 0
.LBB86_547:                             ; =>This Inner Loop Header: Depth=1
	s_delay_alu instid0(VALU_DEP_2)
	v_add_nc_u64_e32 v[26:27], 1, v[26:27]
	ds_load_b32 v30, v28
	v_add_nc_u32_e32 v28, 4, v28
	v_cmp_eq_u32_e32 vcc_lo, 1, v26
	v_cndmask_b32_e32 v29, v2, v3, vcc_lo
	v_cmp_eq_u32_e32 vcc_lo, 2, v26
	s_delay_alu instid0(VALU_DEP_2) | instskip(SKIP_1) | instid1(VALU_DEP_2)
	v_cndmask_b32_e32 v29, v29, v4, vcc_lo
	v_cmp_eq_u32_e32 vcc_lo, 3, v26
	v_cndmask_b32_e32 v29, v29, v5, vcc_lo
	v_cmp_eq_u32_e32 vcc_lo, 4, v26
	s_delay_alu instid0(VALU_DEP_2) | instskip(SKIP_1) | instid1(VALU_DEP_2)
	v_cndmask_b32_e32 v29, v29, v6, vcc_lo
	;; [unrolled: 5-line block ×10, first 2 shown]
	v_cmp_eq_u32_e32 vcc_lo, 21, v26
	v_cndmask_b32_e32 v29, v29, v23, vcc_lo
	v_cmp_eq_u32_e32 vcc_lo, 22, v26
	s_delay_alu instid0(VALU_DEP_2) | instskip(SKIP_2) | instid1(VALU_DEP_2)
	v_cndmask_b32_e32 v29, v29, v24, vcc_lo
	v_cmp_lt_u32_e32 vcc_lo, 19, v26
	s_wait_dscnt 0x0
	v_fmac_f32_e32 v25, v29, v30
	s_or_b32 s3, vcc_lo, s3
	s_delay_alu instid0(SALU_CYCLE_1)
	s_and_not1_b32 exec_lo, exec_lo, s3
	s_cbranch_execnz .LBB86_547
; %bb.548:
	s_or_b32 exec_lo, exec_lo, s3
.LBB86_549:
	s_delay_alu instid0(SALU_CYCLE_1)
	s_or_b32 exec_lo, exec_lo, s2
	v_mov_b32_e32 v23, 0
	ds_load_b32 v23, v23 offset:84
	s_wait_dscnt 0x0
	v_mul_f32_e32 v23, v25, v23
.LBB86_550:
	s_or_b32 exec_lo, exec_lo, s1
	s_delay_alu instid0(SALU_CYCLE_1)
	s_mov_b32 s1, exec_lo
	ds_store_b32 v115, v24
	s_wait_dscnt 0x0
	s_barrier_signal -1
	s_barrier_wait -1
	v_cmpx_ne_u32_e32 22, v0
	s_cbranch_execz .LBB86_560
; %bb.551:
	v_cmp_ne_u32_e32 vcc_lo, 1, v34
	s_cbranch_vccnz .LBB86_553
; %bb.552:
	v_cmp_eq_u32_e32 vcc_lo, 1, v0
	ds_load_b32 v26, v115
	v_cndmask_b32_e32 v25, v2, v3, vcc_lo
	v_cmp_eq_u32_e32 vcc_lo, 2, v0
	s_delay_alu instid0(VALU_DEP_2) | instskip(SKIP_1) | instid1(VALU_DEP_2)
	v_cndmask_b32_e32 v25, v25, v4, vcc_lo
	v_cmp_eq_u32_e32 vcc_lo, 3, v0
	v_cndmask_b32_e32 v25, v25, v5, vcc_lo
	v_cmp_eq_u32_e32 vcc_lo, 4, v0
	s_delay_alu instid0(VALU_DEP_2) | instskip(SKIP_1) | instid1(VALU_DEP_2)
	v_cndmask_b32_e32 v25, v25, v6, vcc_lo
	v_cmp_eq_u32_e32 vcc_lo, 5, v0
	;; [unrolled: 5-line block ×10, first 2 shown]
	v_cndmask_b32_e32 v25, v25, v23, vcc_lo
	v_cmp_eq_u32_e32 vcc_lo, 22, v0
	s_delay_alu instid0(VALU_DEP_2) | instskip(SKIP_1) | instid1(VALU_DEP_1)
	v_cndmask_b32_e32 v25, v25, v24, vcc_lo
	s_wait_dscnt 0x0
	v_mul_f32_e32 v25, v25, v26
	s_cbranch_execz .LBB86_554
	s_branch .LBB86_555
.LBB86_553:
                                        ; implicit-def: $vgpr25
.LBB86_554:
	ds_load_b32 v25, v115
.LBB86_555:
	s_and_saveexec_b32 s2, s0
	s_cbranch_execz .LBB86_559
; %bb.556:
	v_lshl_add_u32 v26, v0, 2, 0x64
	s_mov_b32 s0, 0
.LBB86_557:                             ; =>This Inner Loop Header: Depth=1
	v_add_nc_u64_e32 v[0:1], 1, v[0:1]
	ds_load_b32 v28, v26
	v_add_nc_u32_e32 v26, 4, v26
	v_cmp_eq_u32_e32 vcc_lo, 1, v0
	v_cndmask_b32_e32 v27, v2, v3, vcc_lo
	v_cmp_eq_u32_e32 vcc_lo, 2, v0
	s_delay_alu instid0(VALU_DEP_2) | instskip(SKIP_1) | instid1(VALU_DEP_2)
	v_cndmask_b32_e32 v27, v27, v4, vcc_lo
	v_cmp_eq_u32_e32 vcc_lo, 3, v0
	v_cndmask_b32_e32 v27, v27, v5, vcc_lo
	v_cmp_eq_u32_e32 vcc_lo, 4, v0
	s_delay_alu instid0(VALU_DEP_2) | instskip(SKIP_1) | instid1(VALU_DEP_2)
	v_cndmask_b32_e32 v27, v27, v6, vcc_lo
	;; [unrolled: 5-line block ×10, first 2 shown]
	v_cmp_eq_u32_e32 vcc_lo, 21, v0
	v_cndmask_b32_e32 v27, v27, v23, vcc_lo
	v_cmp_eq_u32_e32 vcc_lo, 22, v0
	s_delay_alu instid0(VALU_DEP_2) | instskip(SKIP_2) | instid1(VALU_DEP_2)
	v_cndmask_b32_e32 v27, v27, v24, vcc_lo
	v_cmp_lt_u32_e32 vcc_lo, 20, v0
	s_wait_dscnt 0x0
	v_fmac_f32_e32 v25, v27, v28
	s_or_b32 s0, vcc_lo, s0
	s_delay_alu instid0(SALU_CYCLE_1)
	s_and_not1_b32 exec_lo, exec_lo, s0
	s_cbranch_execnz .LBB86_557
; %bb.558:
	s_or_b32 exec_lo, exec_lo, s0
.LBB86_559:
	s_delay_alu instid0(SALU_CYCLE_1)
	s_or_b32 exec_lo, exec_lo, s2
	v_mov_b32_e32 v0, 0
	ds_load_b32 v0, v0 offset:88
	s_wait_dscnt 0x0
	v_mul_f32_e32 v24, v25, v0
.LBB86_560:
	s_or_b32 exec_lo, exec_lo, s1
	v_mov_b64_e32 v[64:65], v[32:33]
	s_delay_alu instid0(VALU_DEP_2)
	v_mov_b64_e32 v[56:57], v[24:25]
	v_mov_b64_e32 v[54:55], v[22:23]
	;; [unrolled: 1-line block ×15, first 2 shown]
.LBB86_561:
	s_wait_xcnt 0x6
	v_lshl_add_u64 v[0:1], v[66:67], 2, s[26:27]
	s_wait_loadcnt_dscnt 0x607
	v_lshl_add_u64 v[2:3], v[68:69], 2, s[26:27]
	v_lshl_add_u64 v[4:5], v[70:71], 2, s[26:27]
	;; [unrolled: 1-line block ×8, first 2 shown]
	s_wait_loadcnt_dscnt 0x506
	v_lshl_add_u64 v[18:19], v[84:85], 2, s[26:27]
	s_wait_loadcnt_dscnt 0x304
	v_lshl_add_u64 v[20:21], v[86:87], 2, s[26:27]
	;; [unrolled: 2-line block ×4, first 2 shown]
	v_lshl_add_u64 v[26:27], v[92:93], 2, s[26:27]
	v_lshl_add_u64 v[28:29], v[96:97], 2, s[26:27]
	;; [unrolled: 1-line block ×8, first 2 shown]
	s_clause 0x16
	flat_store_b32 v[94:95], v34
	flat_store_b32 v[98:99], v35
	;; [unrolled: 1-line block ×23, first 2 shown]
.LBB86_562:
	s_sendmsg sendmsg(MSG_DEALLOC_VGPRS)
	s_endpgm
	.section	.rodata,"a",@progbits
	.p2align	6, 0x0
	.amdhsa_kernel _ZN9rocsolver6v33100L18trti2_kernel_smallILi23EfPKPfEEv13rocblas_fill_17rocblas_diagonal_T1_iil
		.amdhsa_group_segment_fixed_size 188
		.amdhsa_private_segment_fixed_size 0
		.amdhsa_kernarg_size 32
		.amdhsa_user_sgpr_count 2
		.amdhsa_user_sgpr_dispatch_ptr 0
		.amdhsa_user_sgpr_queue_ptr 0
		.amdhsa_user_sgpr_kernarg_segment_ptr 1
		.amdhsa_user_sgpr_dispatch_id 0
		.amdhsa_user_sgpr_kernarg_preload_length 0
		.amdhsa_user_sgpr_kernarg_preload_offset 0
		.amdhsa_user_sgpr_private_segment_size 0
		.amdhsa_wavefront_size32 1
		.amdhsa_uses_dynamic_stack 0
		.amdhsa_enable_private_segment 0
		.amdhsa_system_sgpr_workgroup_id_x 1
		.amdhsa_system_sgpr_workgroup_id_y 0
		.amdhsa_system_sgpr_workgroup_id_z 0
		.amdhsa_system_sgpr_workgroup_info 0
		.amdhsa_system_vgpr_workitem_id 0
		.amdhsa_next_free_vgpr 127
		.amdhsa_next_free_sgpr 28
		.amdhsa_named_barrier_count 0
		.amdhsa_reserve_vcc 1
		.amdhsa_float_round_mode_32 0
		.amdhsa_float_round_mode_16_64 0
		.amdhsa_float_denorm_mode_32 3
		.amdhsa_float_denorm_mode_16_64 3
		.amdhsa_fp16_overflow 0
		.amdhsa_memory_ordered 1
		.amdhsa_forward_progress 1
		.amdhsa_inst_pref_size 255
		.amdhsa_round_robin_scheduling 0
		.amdhsa_exception_fp_ieee_invalid_op 0
		.amdhsa_exception_fp_denorm_src 0
		.amdhsa_exception_fp_ieee_div_zero 0
		.amdhsa_exception_fp_ieee_overflow 0
		.amdhsa_exception_fp_ieee_underflow 0
		.amdhsa_exception_fp_ieee_inexact 0
		.amdhsa_exception_int_div_zero 0
	.end_amdhsa_kernel
	.section	.text._ZN9rocsolver6v33100L18trti2_kernel_smallILi23EfPKPfEEv13rocblas_fill_17rocblas_diagonal_T1_iil,"axG",@progbits,_ZN9rocsolver6v33100L18trti2_kernel_smallILi23EfPKPfEEv13rocblas_fill_17rocblas_diagonal_T1_iil,comdat
.Lfunc_end86:
	.size	_ZN9rocsolver6v33100L18trti2_kernel_smallILi23EfPKPfEEv13rocblas_fill_17rocblas_diagonal_T1_iil, .Lfunc_end86-_ZN9rocsolver6v33100L18trti2_kernel_smallILi23EfPKPfEEv13rocblas_fill_17rocblas_diagonal_T1_iil
                                        ; -- End function
	.set _ZN9rocsolver6v33100L18trti2_kernel_smallILi23EfPKPfEEv13rocblas_fill_17rocblas_diagonal_T1_iil.num_vgpr, 127
	.set _ZN9rocsolver6v33100L18trti2_kernel_smallILi23EfPKPfEEv13rocblas_fill_17rocblas_diagonal_T1_iil.num_agpr, 0
	.set _ZN9rocsolver6v33100L18trti2_kernel_smallILi23EfPKPfEEv13rocblas_fill_17rocblas_diagonal_T1_iil.numbered_sgpr, 28
	.set _ZN9rocsolver6v33100L18trti2_kernel_smallILi23EfPKPfEEv13rocblas_fill_17rocblas_diagonal_T1_iil.num_named_barrier, 0
	.set _ZN9rocsolver6v33100L18trti2_kernel_smallILi23EfPKPfEEv13rocblas_fill_17rocblas_diagonal_T1_iil.private_seg_size, 0
	.set _ZN9rocsolver6v33100L18trti2_kernel_smallILi23EfPKPfEEv13rocblas_fill_17rocblas_diagonal_T1_iil.uses_vcc, 1
	.set _ZN9rocsolver6v33100L18trti2_kernel_smallILi23EfPKPfEEv13rocblas_fill_17rocblas_diagonal_T1_iil.uses_flat_scratch, 1
	.set _ZN9rocsolver6v33100L18trti2_kernel_smallILi23EfPKPfEEv13rocblas_fill_17rocblas_diagonal_T1_iil.has_dyn_sized_stack, 0
	.set _ZN9rocsolver6v33100L18trti2_kernel_smallILi23EfPKPfEEv13rocblas_fill_17rocblas_diagonal_T1_iil.has_recursion, 0
	.set _ZN9rocsolver6v33100L18trti2_kernel_smallILi23EfPKPfEEv13rocblas_fill_17rocblas_diagonal_T1_iil.has_indirect_call, 0
	.section	.AMDGPU.csdata,"",@progbits
; Kernel info:
; codeLenInByte = 35888
; TotalNumSgprs: 30
; NumVgprs: 127
; ScratchSize: 0
; MemoryBound: 0
; FloatMode: 240
; IeeeMode: 1
; LDSByteSize: 188 bytes/workgroup (compile time only)
; SGPRBlocks: 0
; VGPRBlocks: 7
; NumSGPRsForWavesPerEU: 30
; NumVGPRsForWavesPerEU: 127
; NamedBarCnt: 0
; Occupancy: 8
; WaveLimiterHint : 1
; COMPUTE_PGM_RSRC2:SCRATCH_EN: 0
; COMPUTE_PGM_RSRC2:USER_SGPR: 2
; COMPUTE_PGM_RSRC2:TRAP_HANDLER: 0
; COMPUTE_PGM_RSRC2:TGID_X_EN: 1
; COMPUTE_PGM_RSRC2:TGID_Y_EN: 0
; COMPUTE_PGM_RSRC2:TGID_Z_EN: 0
; COMPUTE_PGM_RSRC2:TIDIG_COMP_CNT: 0
	.section	.text._ZN9rocsolver6v33100L18trti2_kernel_smallILi24EfPKPfEEv13rocblas_fill_17rocblas_diagonal_T1_iil,"axG",@progbits,_ZN9rocsolver6v33100L18trti2_kernel_smallILi24EfPKPfEEv13rocblas_fill_17rocblas_diagonal_T1_iil,comdat
	.globl	_ZN9rocsolver6v33100L18trti2_kernel_smallILi24EfPKPfEEv13rocblas_fill_17rocblas_diagonal_T1_iil ; -- Begin function _ZN9rocsolver6v33100L18trti2_kernel_smallILi24EfPKPfEEv13rocblas_fill_17rocblas_diagonal_T1_iil
	.p2align	8
	.type	_ZN9rocsolver6v33100L18trti2_kernel_smallILi24EfPKPfEEv13rocblas_fill_17rocblas_diagonal_T1_iil,@function
_ZN9rocsolver6v33100L18trti2_kernel_smallILi24EfPKPfEEv13rocblas_fill_17rocblas_diagonal_T1_iil: ; @_ZN9rocsolver6v33100L18trti2_kernel_smallILi24EfPKPfEEv13rocblas_fill_17rocblas_diagonal_T1_iil
; %bb.0:
	s_mov_b32 s2, exec_lo
	v_cmpx_gt_u32_e32 24, v0
	s_cbranch_execz .LBB87_588
; %bb.1:
	s_clause 0x1
	s_load_b64 s[2:3], s[0:1], 0x10
	s_load_b128 s[24:27], s[0:1], 0x0
	s_wait_xcnt 0x0
	s_bfe_u32 s0, ttmp6, 0x4000c
	s_and_b32 s1, ttmp6, 15
	s_add_co_i32 s0, s0, 1
	s_getreg_b32 s4, hwreg(HW_REG_IB_STS2, 6, 4)
	s_mul_i32 s0, ttmp9, s0
	v_mov_b32_e32 v1, 0
	s_add_co_i32 s0, s1, s0
	s_delay_alu instid0(VALU_DEP_1)
	v_dual_mov_b32 v35, v1 :: v_dual_lshlrev_b32 v34, 2, v0
	s_wait_kmcnt 0x0
	v_add3_u32 v66, s3, s3, v0
	s_ashr_i32 s1, s2, 31
	s_cmp_eq_u32 s4, 0
	s_cselect_b32 s4, ttmp9, s0
	s_delay_alu instid0(VALU_DEP_1)
	v_add_nc_u32_e32 v68, s3, v66
	s_ashr_i32 s5, s4, 31
	s_mov_b32 s0, s2
	s_lshl_b64 s[4:5], s[4:5], 3
	s_lshl_b64 s[0:1], s[0:1], 2
	v_add_nc_u32_e32 v70, s3, v68
	s_add_nc_u64 s[4:5], s[26:27], s[4:5]
	s_load_b64 s[4:5], s[4:5], 0x0
	s_delay_alu instid0(VALU_DEP_1) | instskip(NEXT) | instid1(VALU_DEP_1)
	v_add_nc_u32_e32 v72, s3, v70
	v_add_nc_u32_e32 v74, s3, v72
	s_delay_alu instid0(VALU_DEP_1) | instskip(NEXT) | instid1(VALU_DEP_1)
	v_add_nc_u32_e32 v76, s3, v74
	v_add_nc_u32_e32 v78, s3, v76
	s_wait_kmcnt 0x0
	s_add_nc_u64 s[26:27], s[4:5], s[0:1]
	s_mov_b32 s0, s3
	s_delay_alu instid0(VALU_DEP_1)
	v_add_nc_u32_e32 v80, s3, v78
	s_ashr_i32 s1, s3, 31
	s_cmp_lg_u32 s25, 0x84
	v_add_nc_u64_e32 v[96:97], s[26:27], v[34:35]
	s_cselect_b32 s28, -1, 0
	v_add_nc_u32_e32 v82, s3, v80
	s_cmp_eq_u32 s25, 0x84
	s_delay_alu instid0(VALU_DEP_1) | instskip(NEXT) | instid1(VALU_DEP_3)
	v_dual_mov_b32 v35, -1.0 :: v_dual_add_nc_u32 v84, s3, v82
	v_lshl_add_u64 v[100:101], s[0:1], 2, v[96:97]
	s_clause 0x7
	flat_load_b32 v3, v[100:101]
	flat_load_b32 v4, v66, s[26:27] scale_offset
	flat_load_b32 v5, v68, s[26:27] scale_offset
	;; [unrolled: 1-line block ×7, first 2 shown]
	v_add_nc_u32_e32 v86, s3, v84
	v_cmp_eq_u32_e64 s0, 0, v0
	s_delay_alu instid0(VALU_DEP_2) | instskip(NEXT) | instid1(VALU_DEP_1)
	v_add_nc_u32_e32 v88, s3, v86
	v_add_nc_u32_e32 v90, s3, v88
	s_delay_alu instid0(VALU_DEP_1) | instskip(NEXT) | instid1(VALU_DEP_1)
	v_add_nc_u32_e32 v92, s3, v90
	v_add_nc_u32_e32 v94, s3, v92
	s_clause 0x7
	flat_load_b32 v11, v80, s[26:27] scale_offset
	flat_load_b32 v12, v82, s[26:27] scale_offset
	;; [unrolled: 1-line block ×8, first 2 shown]
	v_add_nc_u32_e32 v98, s3, v94
	s_delay_alu instid0(VALU_DEP_1) | instskip(NEXT) | instid1(VALU_DEP_1)
	v_add_nc_u32_e32 v102, s3, v98
	v_add_nc_u32_e32 v104, s3, v102
	s_delay_alu instid0(VALU_DEP_1) | instskip(NEXT) | instid1(VALU_DEP_1)
	v_add_nc_u32_e32 v106, s3, v104
	;; [unrolled: 3-line block ×3, first 2 shown]
	v_add_nc_u32_e32 v112, s3, v110
	s_clause 0x7
	flat_load_b32 v2, v0, s[26:27] scale_offset
	flat_load_b32 v19, v98, s[26:27] scale_offset
	;; [unrolled: 1-line block ×8, first 2 shown]
	s_cbranch_scc1 .LBB87_3
; %bb.2:
	v_cmp_eq_u32_e64 s1, 1, v0
	v_cmp_eq_u32_e64 s2, 2, v0
	;; [unrolled: 1-line block ×5, first 2 shown]
	s_wait_loadcnt_dscnt 0x707
	v_cndmask_b32_e64 v26, v2, v3, s1
	v_cmp_eq_u32_e64 s6, 6, v0
	v_cmp_eq_u32_e64 s7, 7, v0
	v_cmp_eq_u32_e64 s8, 8, v0
	v_cmp_eq_u32_e64 s9, 9, v0
	v_cndmask_b32_e64 v26, v26, v4, s2
	v_cmp_eq_u32_e64 s10, 10, v0
	v_cmp_eq_u32_e64 s11, 11, v0
	v_cmp_eq_u32_e64 s12, 12, v0
	v_cmp_eq_u32_e64 s13, 13, v0
	;; [unrolled: 5-line block ×4, first 2 shown]
	v_cndmask_b32_e64 v26, v26, v7, s5
	v_cmp_eq_u32_e64 s22, 22, v0
	v_cmp_eq_u32_e64 s23, 23, v0
	s_delay_alu instid0(VALU_DEP_3) | instskip(NEXT) | instid1(VALU_DEP_1)
	v_cndmask_b32_e64 v26, v26, v8, s6
	v_cndmask_b32_e64 v26, v26, v9, s7
	s_delay_alu instid0(VALU_DEP_1) | instskip(NEXT) | instid1(VALU_DEP_1)
	v_cndmask_b32_e64 v26, v26, v10, s8
	v_cndmask_b32_e64 v26, v26, v11, s9
	s_delay_alu instid0(VALU_DEP_1) | instskip(NEXT) | instid1(VALU_DEP_1)
	;; [unrolled: 3-line block ×4, first 2 shown]
	v_cndmask_b32_e64 v26, v26, v16, s14
	v_cndmask_b32_e64 v26, v26, v17, s15
	s_delay_alu instid0(VALU_DEP_1) | instskip(SKIP_1) | instid1(VALU_DEP_1)
	v_cndmask_b32_e64 v26, v26, v18, s16
	s_wait_loadcnt_dscnt 0x606
	v_cndmask_b32_e64 v26, v26, v19, s17
	s_wait_loadcnt_dscnt 0x505
	s_delay_alu instid0(VALU_DEP_1) | instskip(SKIP_1) | instid1(VALU_DEP_1)
	v_cndmask_b32_e64 v26, v26, v20, s18
	s_wait_loadcnt_dscnt 0x404
	v_cndmask_b32_e64 v26, v26, v21, s19
	s_wait_loadcnt_dscnt 0x303
	;; [unrolled: 5-line block ×3, first 2 shown]
	s_delay_alu instid0(VALU_DEP_1) | instskip(SKIP_1) | instid1(VALU_DEP_1)
	v_cndmask_b32_e64 v26, v26, v24, s22
	s_wait_loadcnt_dscnt 0x0
	v_cndmask_b32_e64 v26, v26, v25, s23
	s_delay_alu instid0(VALU_DEP_1) | instskip(SKIP_1) | instid1(VALU_DEP_2)
	v_div_scale_f32 v27, null, v26, v26, 1.0
	v_div_scale_f32 v30, vcc_lo, 1.0, v26, 1.0
	v_rcp_f32_e32 v28, v27
	v_nop
	s_delay_alu instid0(TRANS32_DEP_1) | instskip(NEXT) | instid1(VALU_DEP_1)
	v_fma_f32 v29, -v27, v28, 1.0
	v_fmac_f32_e32 v28, v29, v28
	s_delay_alu instid0(VALU_DEP_1) | instskip(NEXT) | instid1(VALU_DEP_1)
	v_mul_f32_e32 v29, v30, v28
	v_fma_f32 v31, -v27, v29, v30
	s_delay_alu instid0(VALU_DEP_1) | instskip(NEXT) | instid1(VALU_DEP_1)
	v_fmac_f32_e32 v29, v31, v28
	v_fma_f32 v27, -v27, v29, v30
	s_delay_alu instid0(VALU_DEP_1) | instskip(NEXT) | instid1(VALU_DEP_1)
	v_div_fmas_f32 v27, v27, v28, v29
	v_div_fixup_f32 v26, v27, v26, 1.0
	s_delay_alu instid0(VALU_DEP_1)
	v_dual_cndmask_b32 v25, v25, v26, s23 :: v_dual_cndmask_b32 v24, v24, v26, s22
	v_dual_cndmask_b32 v23, v23, v26, s21 :: v_dual_cndmask_b32 v22, v22, v26, s20
	;; [unrolled: 1-line block ×12, first 2 shown]
	v_xor_b32_e32 v35, 0x80000000, v26
.LBB87_3:
	v_dual_ashrrev_i32 v67, 31, v66 :: v_dual_ashrrev_i32 v69, 31, v68
	v_dual_ashrrev_i32 v71, 31, v70 :: v_dual_ashrrev_i32 v73, 31, v72
	;; [unrolled: 1-line block ×10, first 2 shown]
	v_ashrrev_i32_e32 v107, 31, v106
	v_ashrrev_i32_e32 v111, 31, v110
	v_add_nc_u32_e32 v117, 0x60, v34
	s_cmp_eq_u32 s24, 0x79
	ds_store_b32 v34, v35
	s_cbranch_scc1 .LBB87_7
; %bb.4:
	s_wait_loadcnt_dscnt 0x1
	v_mov_b64_e32 v[64:65], v[32:33]
	v_mov_b64_e32 v[62:63], v[30:31]
	v_mov_b64_e32 v[60:61], v[28:29]
	v_mov_b64_e32 v[58:59], v[26:27]
	v_mov_b64_e32 v[56:57], v[24:25]
	v_mov_b64_e32 v[54:55], v[22:23]
	v_mov_b64_e32 v[52:53], v[20:21]
	v_mov_b64_e32 v[50:51], v[18:19]
	v_mov_b64_e32 v[48:49], v[16:17]
	v_mov_b64_e32 v[46:47], v[14:15]
	v_mov_b64_e32 v[44:45], v[12:13]
	v_mov_b64_e32 v[42:43], v[10:11]
	v_mov_b64_e32 v[40:41], v[8:9]
	v_mov_b64_e32 v[38:39], v[6:7]
	v_mov_b64_e32 v[36:37], v[4:5]
	v_mov_b64_e32 v[34:35], v[2:3]
	v_cmp_eq_u32_e64 s0, 23, v0
	ds_store_b32 v117, v24
	s_wait_dscnt 0x0
	s_barrier_signal -1
	s_barrier_wait -1
	s_and_saveexec_b32 s1, s0
	s_cbranch_execz .LBB87_11
; %bb.5:
	s_and_b32 vcc_lo, exec_lo, s28
	s_cbranch_vccz .LBB87_8
; %bb.6:
	v_cmp_eq_u32_e32 vcc_lo, 1, v0
	ds_load_b32 v35, v117
	v_cndmask_b32_e32 v34, v2, v3, vcc_lo
	v_cmp_eq_u32_e32 vcc_lo, 2, v0
	s_delay_alu instid0(VALU_DEP_2) | instskip(SKIP_1) | instid1(VALU_DEP_2)
	v_cndmask_b32_e32 v34, v34, v4, vcc_lo
	v_cmp_eq_u32_e32 vcc_lo, 3, v0
	v_cndmask_b32_e32 v34, v34, v5, vcc_lo
	v_cmp_eq_u32_e32 vcc_lo, 4, v0
	s_delay_alu instid0(VALU_DEP_2) | instskip(SKIP_1) | instid1(VALU_DEP_2)
	v_cndmask_b32_e32 v34, v34, v6, vcc_lo
	v_cmp_eq_u32_e32 vcc_lo, 5, v0
	;; [unrolled: 5-line block ×11, first 2 shown]
	v_cndmask_b32_e32 v34, v34, v25, vcc_lo
	s_wait_dscnt 0x0
	s_delay_alu instid0(VALU_DEP_1)
	v_mul_f32_e32 v56, v34, v35
	s_cbranch_execz .LBB87_9
	s_branch .LBB87_10
.LBB87_7:
                                        ; implicit-def: $vgpr34_vgpr35_vgpr36_vgpr37_vgpr38_vgpr39_vgpr40_vgpr41_vgpr42_vgpr43_vgpr44_vgpr45_vgpr46_vgpr47_vgpr48_vgpr49_vgpr50_vgpr51_vgpr52_vgpr53_vgpr54_vgpr55_vgpr56_vgpr57_vgpr58_vgpr59_vgpr60_vgpr61_vgpr62_vgpr63_vgpr64_vgpr65
	s_cbranch_execnz .LBB87_354
	s_branch .LBB87_587
.LBB87_8:
                                        ; implicit-def: $vgpr56
.LBB87_9:
	ds_load_b32 v56, v117
.LBB87_10:
	v_dual_mov_b32 v37, 0 :: v_dual_mov_b32 v34, v2
	v_dual_mov_b32 v35, v3 :: v_dual_mov_b32 v36, v4
	;; [unrolled: 1-line block ×3, first 2 shown]
	ds_load_b32 v57, v37 offset:88
	v_dual_mov_b32 v37, v5 :: v_dual_mov_b32 v38, v6
	v_dual_mov_b32 v41, v9 :: v_dual_mov_b32 v42, v10
	;; [unrolled: 1-line block ×8, first 2 shown]
	s_wait_dscnt 0x0
	v_dual_mov_b32 v55, v23 :: v_dual_mul_f32 v56, v56, v57
	v_mov_b32_e32 v57, v25
.LBB87_11:
	s_or_b32 exec_lo, exec_lo, s1
	v_cmp_lt_u32_e64 s1, 21, v0
	ds_store_b32 v117, v55
	s_wait_dscnt 0x0
	s_barrier_signal -1
	s_barrier_wait -1
	s_and_saveexec_b32 s2, s1
	s_cbranch_execz .LBB87_17
; %bb.12:
	s_and_not1_b32 vcc_lo, exec_lo, s28
	s_cbranch_vccnz .LBB87_14
; %bb.13:
	v_cmp_eq_u32_e32 vcc_lo, 1, v0
	ds_load_b32 v59, v117
	v_cndmask_b32_e32 v58, v34, v35, vcc_lo
	v_cmp_eq_u32_e32 vcc_lo, 2, v0
	s_delay_alu instid0(VALU_DEP_2) | instskip(SKIP_1) | instid1(VALU_DEP_2)
	v_cndmask_b32_e32 v58, v58, v36, vcc_lo
	v_cmp_eq_u32_e32 vcc_lo, 3, v0
	v_cndmask_b32_e32 v58, v58, v37, vcc_lo
	v_cmp_eq_u32_e32 vcc_lo, 4, v0
	s_delay_alu instid0(VALU_DEP_2) | instskip(SKIP_1) | instid1(VALU_DEP_2)
	v_cndmask_b32_e32 v58, v58, v38, vcc_lo
	v_cmp_eq_u32_e32 vcc_lo, 5, v0
	v_cndmask_b32_e32 v58, v58, v39, vcc_lo
	v_cmp_eq_u32_e32 vcc_lo, 6, v0
	s_delay_alu instid0(VALU_DEP_2) | instskip(SKIP_1) | instid1(VALU_DEP_2)
	v_cndmask_b32_e32 v58, v58, v40, vcc_lo
	v_cmp_eq_u32_e32 vcc_lo, 7, v0
	v_cndmask_b32_e32 v58, v58, v41, vcc_lo
	v_cmp_eq_u32_e32 vcc_lo, 8, v0
	s_delay_alu instid0(VALU_DEP_2) | instskip(SKIP_1) | instid1(VALU_DEP_2)
	v_cndmask_b32_e32 v58, v58, v42, vcc_lo
	v_cmp_eq_u32_e32 vcc_lo, 9, v0
	v_cndmask_b32_e32 v58, v58, v43, vcc_lo
	v_cmp_eq_u32_e32 vcc_lo, 10, v0
	s_delay_alu instid0(VALU_DEP_2) | instskip(SKIP_1) | instid1(VALU_DEP_2)
	v_cndmask_b32_e32 v58, v58, v44, vcc_lo
	v_cmp_eq_u32_e32 vcc_lo, 11, v0
	v_cndmask_b32_e32 v58, v58, v45, vcc_lo
	v_cmp_eq_u32_e32 vcc_lo, 12, v0
	s_delay_alu instid0(VALU_DEP_2) | instskip(SKIP_1) | instid1(VALU_DEP_2)
	v_cndmask_b32_e32 v58, v58, v46, vcc_lo
	v_cmp_eq_u32_e32 vcc_lo, 13, v0
	v_cndmask_b32_e32 v58, v58, v47, vcc_lo
	v_cmp_eq_u32_e32 vcc_lo, 14, v0
	s_delay_alu instid0(VALU_DEP_2) | instskip(SKIP_1) | instid1(VALU_DEP_2)
	v_cndmask_b32_e32 v58, v58, v48, vcc_lo
	v_cmp_eq_u32_e32 vcc_lo, 15, v0
	v_cndmask_b32_e32 v58, v58, v49, vcc_lo
	v_cmp_eq_u32_e32 vcc_lo, 16, v0
	s_delay_alu instid0(VALU_DEP_2) | instskip(SKIP_1) | instid1(VALU_DEP_2)
	v_cndmask_b32_e32 v58, v58, v50, vcc_lo
	v_cmp_eq_u32_e32 vcc_lo, 17, v0
	v_cndmask_b32_e32 v58, v58, v51, vcc_lo
	v_cmp_eq_u32_e32 vcc_lo, 18, v0
	s_delay_alu instid0(VALU_DEP_2) | instskip(SKIP_1) | instid1(VALU_DEP_2)
	v_cndmask_b32_e32 v58, v58, v52, vcc_lo
	v_cmp_eq_u32_e32 vcc_lo, 19, v0
	v_cndmask_b32_e32 v58, v58, v53, vcc_lo
	v_cmp_eq_u32_e32 vcc_lo, 20, v0
	s_delay_alu instid0(VALU_DEP_2) | instskip(SKIP_1) | instid1(VALU_DEP_2)
	v_cndmask_b32_e32 v58, v58, v54, vcc_lo
	v_cmp_eq_u32_e32 vcc_lo, 21, v0
	v_cndmask_b32_e32 v55, v58, v55, vcc_lo
	v_cmp_eq_u32_e32 vcc_lo, 22, v0
	s_delay_alu instid0(VALU_DEP_2) | instskip(SKIP_1) | instid1(VALU_DEP_2)
	v_cndmask_b32_e32 v55, v55, v56, vcc_lo
	v_cmp_eq_u32_e32 vcc_lo, 23, v0
	v_cndmask_b32_e32 v55, v55, v57, vcc_lo
	s_wait_dscnt 0x0
	s_delay_alu instid0(VALU_DEP_1)
	v_mul_f32_e32 v55, v55, v59
	s_cbranch_execz .LBB87_15
	s_branch .LBB87_16
.LBB87_14:
                                        ; implicit-def: $vgpr55
.LBB87_15:
	ds_load_b32 v55, v117
.LBB87_16:
	v_mov_b32_e32 v58, 0
	ds_load_2addr_b32 v[58:59], v58 offset0:21 offset1:46
	s_wait_dscnt 0x0
	v_fma_f32 v59, v56, v59, v55
	s_delay_alu instid0(VALU_DEP_1) | instskip(NEXT) | instid1(VALU_DEP_1)
	v_cndmask_b32_e64 v55, v55, v59, s0
	v_mul_f32_e32 v55, v55, v58
.LBB87_17:
	s_or_b32 exec_lo, exec_lo, s2
	v_cmp_lt_u32_e64 s0, 20, v0
	ds_store_b32 v117, v54
	s_wait_dscnt 0x0
	s_barrier_signal -1
	s_barrier_wait -1
	s_and_saveexec_b32 s4, s0
	s_cbranch_execz .LBB87_33
; %bb.18:
	s_and_not1_b32 vcc_lo, exec_lo, s28
	s_cbranch_vccnz .LBB87_20
; %bb.19:
	v_cmp_eq_u32_e32 vcc_lo, 1, v0
	ds_load_b32 v115, v117
	v_cndmask_b32_e32 v114, v34, v35, vcc_lo
	v_cmp_eq_u32_e32 vcc_lo, 2, v0
	s_delay_alu instid0(VALU_DEP_2) | instskip(SKIP_1) | instid1(VALU_DEP_2)
	v_cndmask_b32_e32 v114, v114, v36, vcc_lo
	v_cmp_eq_u32_e32 vcc_lo, 3, v0
	v_cndmask_b32_e32 v114, v114, v37, vcc_lo
	v_cmp_eq_u32_e32 vcc_lo, 4, v0
	s_delay_alu instid0(VALU_DEP_2) | instskip(SKIP_1) | instid1(VALU_DEP_2)
	v_cndmask_b32_e32 v114, v114, v38, vcc_lo
	v_cmp_eq_u32_e32 vcc_lo, 5, v0
	;; [unrolled: 5-line block ×11, first 2 shown]
	v_cndmask_b32_e32 v114, v114, v57, vcc_lo
	s_wait_dscnt 0x0
	s_delay_alu instid0(VALU_DEP_1)
	v_mul_f32_e32 v118, v114, v115
	s_cbranch_execz .LBB87_21
	s_branch .LBB87_22
.LBB87_20:
                                        ; implicit-def: $vgpr118
.LBB87_21:
	ds_load_b32 v118, v117
.LBB87_22:
	s_and_saveexec_b32 s5, s1
	s_cbranch_execz .LBB87_32
; %bb.23:
	v_subrev_nc_u32_e32 v116, 22, v0
	v_mov_b32_e32 v114, 21
	v_subrev_nc_u32_e32 v115, 21, v0
	s_mov_b32 s1, exec_lo
	s_delay_alu instid0(VALU_DEP_3)
	v_cmpx_lt_u32_e32 6, v116
	s_cbranch_execz .LBB87_27
; %bb.24:
	s_delay_alu instid0(VALU_DEP_2) | instskip(SKIP_3) | instid1(VALU_DEP_1)
	v_and_b32_e32 v114, -8, v115
	s_mov_b32 s6, 0
	s_mov_b64 s[2:3], 28
	s_movk_i32 s7, 0xb4
	v_sub_nc_u32_e32 v116, 0, v114
.LBB87_25:                              ; =>This Inner Loop Header: Depth=1
	s_add_co_i32 m0, s2, -7
	v_movrels_b32_e32 v119, v34
	v_mov_b32_e32 v114, s7
	s_add_co_i32 m0, s2, -6
	s_add_co_i32 s7, s7, 32
	v_movrels_b32_e32 v128, v34
	ds_load_2addr_b32 v[120:121], v114 offset1:1
	ds_load_2addr_b32 v[122:123], v114 offset0:2 offset1:3
	s_add_co_i32 m0, s2, -5
	s_wait_dscnt 0x1
	v_fmac_f32_e32 v118, v119, v120
	ds_load_2addr_b32 v[124:125], v114 offset0:4 offset1:5
	ds_load_2addr_b32 v[126:127], v114 offset0:6 offset1:7
	v_movrels_b32_e32 v114, v34
	s_add_co_i32 m0, s2, -4
	v_fmac_f32_e32 v118, v128, v121
	v_movrels_b32_e32 v119, v34
	s_add_co_i32 m0, s2, -3
	s_wait_dscnt 0x2
	s_delay_alu instid0(VALU_DEP_2) | instskip(SKIP_2) | instid1(VALU_DEP_2)
	v_fmac_f32_e32 v118, v114, v122
	v_movrels_b32_e32 v114, v34
	s_add_co_i32 m0, s2, -2
	v_fmac_f32_e32 v118, v119, v123
	v_movrels_b32_e32 v119, v34
	s_add_co_i32 m0, s2, -1
	s_wait_dscnt 0x1
	s_delay_alu instid0(VALU_DEP_2)
	v_fmac_f32_e32 v118, v114, v124
	v_movrels_b32_e32 v114, v34
	s_mov_b32 m0, s2
	s_add_nc_u64 s[2:3], s[2:3], 8
	v_movrels_b32_e32 v120, v34
	v_dual_fmac_f32 v118, v119, v125 :: v_dual_add_nc_u32 v119, s2, v116
	s_add_co_i32 s8, s2, -7
	s_wait_dscnt 0x0
	s_delay_alu instid0(VALU_DEP_1) | instskip(NEXT) | instid1(VALU_DEP_2)
	v_fmac_f32_e32 v118, v114, v126
	v_cmp_eq_u32_e32 vcc_lo, 28, v119
	s_delay_alu instid0(VALU_DEP_2) | instskip(SKIP_1) | instid1(SALU_CYCLE_1)
	v_dual_mov_b32 v114, s8 :: v_dual_fmac_f32 v118, v120, v127
	s_or_b32 s6, vcc_lo, s6
	s_and_not1_b32 exec_lo, exec_lo, s6
	s_cbranch_execnz .LBB87_25
; %bb.26:
	s_or_b32 exec_lo, exec_lo, s6
.LBB87_27:
	s_delay_alu instid0(SALU_CYCLE_1) | instskip(SKIP_3) | instid1(VALU_DEP_1)
	s_or_b32 exec_lo, exec_lo, s1
	v_and_b32_e32 v58, 7, v115
	s_mov_b32 s2, 0
	s_mov_b32 s1, exec_lo
	v_cmpx_ne_u32_e32 0, v58
	s_cbranch_execz .LBB87_31
; %bb.28:
	v_lshl_add_u32 v59, v114, 2, 0x60
	v_mov_b32_e32 v115, 0
.LBB87_29:                              ; =>This Inner Loop Header: Depth=1
	v_cmp_eq_u32_e32 vcc_lo, 1, v114
	ds_load_b32 v61, v59
	v_dual_add_nc_u32 v58, -1, v58 :: v_dual_add_nc_u32 v59, 4, v59
	v_cndmask_b32_e32 v60, v34, v35, vcc_lo
	v_cmp_eq_u32_e32 vcc_lo, 2, v114
	s_delay_alu instid0(VALU_DEP_2) | instskip(SKIP_1) | instid1(VALU_DEP_2)
	v_cndmask_b32_e32 v60, v60, v36, vcc_lo
	v_cmp_eq_u32_e32 vcc_lo, 3, v114
	v_cndmask_b32_e32 v60, v60, v37, vcc_lo
	v_cmp_eq_u32_e32 vcc_lo, 4, v114
	s_delay_alu instid0(VALU_DEP_2) | instskip(SKIP_1) | instid1(VALU_DEP_2)
	v_cndmask_b32_e32 v60, v60, v38, vcc_lo
	v_cmp_eq_u32_e32 vcc_lo, 5, v114
	;; [unrolled: 5-line block ×10, first 2 shown]
	v_cndmask_b32_e32 v60, v60, v55, vcc_lo
	v_cmp_eq_u32_e32 vcc_lo, 22, v114
	s_delay_alu instid0(VALU_DEP_2) | instskip(SKIP_2) | instid1(VALU_DEP_3)
	v_cndmask_b32_e32 v60, v60, v56, vcc_lo
	v_cmp_eq_u32_e32 vcc_lo, 23, v114
	v_add_nc_u64_e32 v[114:115], 1, v[114:115]
	v_cndmask_b32_e32 v60, v60, v57, vcc_lo
	v_cmp_eq_u32_e32 vcc_lo, 0, v58
	s_wait_dscnt 0x0
	s_delay_alu instid0(VALU_DEP_2) | instskip(SKIP_1) | instid1(SALU_CYCLE_1)
	v_fmac_f32_e32 v118, v60, v61
	s_or_b32 s2, vcc_lo, s2
	s_and_not1_b32 exec_lo, exec_lo, s2
	s_cbranch_execnz .LBB87_29
; %bb.30:
	s_or_b32 exec_lo, exec_lo, s2
.LBB87_31:
	s_delay_alu instid0(SALU_CYCLE_1)
	s_or_b32 exec_lo, exec_lo, s1
.LBB87_32:
	s_delay_alu instid0(SALU_CYCLE_1)
	s_or_b32 exec_lo, exec_lo, s5
	v_mov_b32_e32 v54, 0
	ds_load_b32 v54, v54 offset:80
	s_wait_dscnt 0x0
	v_mul_f32_e32 v54, v118, v54
.LBB87_33:
	s_or_b32 exec_lo, exec_lo, s4
	v_cmp_lt_u32_e64 s1, 19, v0
	ds_store_b32 v117, v53
	s_wait_dscnt 0x0
	s_barrier_signal -1
	s_barrier_wait -1
	s_and_saveexec_b32 s4, s1
	s_cbranch_execz .LBB87_49
; %bb.34:
	s_and_not1_b32 vcc_lo, exec_lo, s28
	s_cbranch_vccnz .LBB87_36
; %bb.35:
	v_cmp_eq_u32_e32 vcc_lo, 1, v0
	ds_load_b32 v115, v117
	v_cndmask_b32_e32 v114, v34, v35, vcc_lo
	v_cmp_eq_u32_e32 vcc_lo, 2, v0
	s_delay_alu instid0(VALU_DEP_2) | instskip(SKIP_1) | instid1(VALU_DEP_2)
	v_cndmask_b32_e32 v114, v114, v36, vcc_lo
	v_cmp_eq_u32_e32 vcc_lo, 3, v0
	v_cndmask_b32_e32 v114, v114, v37, vcc_lo
	v_cmp_eq_u32_e32 vcc_lo, 4, v0
	s_delay_alu instid0(VALU_DEP_2) | instskip(SKIP_1) | instid1(VALU_DEP_2)
	v_cndmask_b32_e32 v114, v114, v38, vcc_lo
	v_cmp_eq_u32_e32 vcc_lo, 5, v0
	;; [unrolled: 5-line block ×11, first 2 shown]
	v_cndmask_b32_e32 v114, v114, v57, vcc_lo
	s_wait_dscnt 0x0
	s_delay_alu instid0(VALU_DEP_1)
	v_mul_f32_e32 v118, v114, v115
	s_cbranch_execz .LBB87_37
	s_branch .LBB87_38
.LBB87_36:
                                        ; implicit-def: $vgpr118
.LBB87_37:
	ds_load_b32 v118, v117
.LBB87_38:
	s_and_saveexec_b32 s5, s0
	s_cbranch_execz .LBB87_48
; %bb.39:
	v_subrev_nc_u32_e32 v116, 21, v0
	v_mov_b32_e32 v114, 20
	v_subrev_nc_u32_e32 v115, 20, v0
	s_mov_b32 s0, exec_lo
	s_delay_alu instid0(VALU_DEP_3)
	v_cmpx_lt_u32_e32 6, v116
	s_cbranch_execz .LBB87_43
; %bb.40:
	s_delay_alu instid0(VALU_DEP_2) | instskip(SKIP_3) | instid1(VALU_DEP_1)
	v_and_b32_e32 v114, -8, v115
	s_mov_b32 s6, 0
	s_mov_b64 s[2:3], 27
	s_movk_i32 s7, 0xb0
	v_sub_nc_u32_e32 v116, 0, v114
.LBB87_41:                              ; =>This Inner Loop Header: Depth=1
	s_add_co_i32 m0, s2, -7
	v_movrels_b32_e32 v119, v34
	v_mov_b32_e32 v114, s7
	s_add_co_i32 m0, s2, -6
	s_add_co_i32 s7, s7, 32
	v_movrels_b32_e32 v128, v34
	s_add_co_i32 m0, s2, -5
	ds_load_b128 v[120:123], v114
	ds_load_b128 v[124:127], v114 offset:16
	v_movrels_b32_e32 v114, v34
	s_add_co_i32 m0, s2, -4
	s_wait_dscnt 0x1
	v_fmac_f32_e32 v118, v119, v120
	v_movrels_b32_e32 v119, v34
	s_add_co_i32 m0, s2, -3
	s_delay_alu instid0(VALU_DEP_2) | instskip(NEXT) | instid1(VALU_DEP_1)
	v_fmac_f32_e32 v118, v128, v121
	v_fmac_f32_e32 v118, v114, v122
	v_movrels_b32_e32 v114, v34
	s_add_co_i32 m0, s2, -2
	s_delay_alu instid0(VALU_DEP_2) | instskip(SKIP_3) | instid1(VALU_DEP_2)
	v_fmac_f32_e32 v118, v119, v123
	v_movrels_b32_e32 v119, v34
	s_add_co_i32 m0, s2, -1
	s_wait_dscnt 0x0
	v_fmac_f32_e32 v118, v114, v124
	v_movrels_b32_e32 v114, v34
	s_mov_b32 m0, s2
	s_add_nc_u64 s[2:3], s[2:3], 8
	v_movrels_b32_e32 v120, v34
	v_dual_fmac_f32 v118, v119, v125 :: v_dual_add_nc_u32 v119, s2, v116
	s_add_co_i32 s8, s2, -7
	s_delay_alu instid0(VALU_DEP_1) | instskip(NEXT) | instid1(VALU_DEP_2)
	v_fmac_f32_e32 v118, v114, v126
	v_cmp_eq_u32_e32 vcc_lo, 27, v119
	s_delay_alu instid0(VALU_DEP_2) | instskip(SKIP_1) | instid1(SALU_CYCLE_1)
	v_dual_mov_b32 v114, s8 :: v_dual_fmac_f32 v118, v120, v127
	s_or_b32 s6, vcc_lo, s6
	s_and_not1_b32 exec_lo, exec_lo, s6
	s_cbranch_execnz .LBB87_41
; %bb.42:
	s_or_b32 exec_lo, exec_lo, s6
.LBB87_43:
	s_delay_alu instid0(SALU_CYCLE_1) | instskip(SKIP_3) | instid1(VALU_DEP_1)
	s_or_b32 exec_lo, exec_lo, s0
	v_and_b32_e32 v58, 7, v115
	s_mov_b32 s2, 0
	s_mov_b32 s0, exec_lo
	v_cmpx_ne_u32_e32 0, v58
	s_cbranch_execz .LBB87_47
; %bb.44:
	v_lshl_add_u32 v59, v114, 2, 0x60
	v_mov_b32_e32 v115, 0
.LBB87_45:                              ; =>This Inner Loop Header: Depth=1
	v_cmp_eq_u32_e32 vcc_lo, 1, v114
	ds_load_b32 v61, v59
	v_dual_add_nc_u32 v58, -1, v58 :: v_dual_add_nc_u32 v59, 4, v59
	v_cndmask_b32_e32 v60, v34, v35, vcc_lo
	v_cmp_eq_u32_e32 vcc_lo, 2, v114
	s_delay_alu instid0(VALU_DEP_2) | instskip(SKIP_1) | instid1(VALU_DEP_2)
	v_cndmask_b32_e32 v60, v60, v36, vcc_lo
	v_cmp_eq_u32_e32 vcc_lo, 3, v114
	v_cndmask_b32_e32 v60, v60, v37, vcc_lo
	v_cmp_eq_u32_e32 vcc_lo, 4, v114
	s_delay_alu instid0(VALU_DEP_2) | instskip(SKIP_1) | instid1(VALU_DEP_2)
	v_cndmask_b32_e32 v60, v60, v38, vcc_lo
	v_cmp_eq_u32_e32 vcc_lo, 5, v114
	v_cndmask_b32_e32 v60, v60, v39, vcc_lo
	v_cmp_eq_u32_e32 vcc_lo, 6, v114
	s_delay_alu instid0(VALU_DEP_2) | instskip(SKIP_1) | instid1(VALU_DEP_2)
	v_cndmask_b32_e32 v60, v60, v40, vcc_lo
	v_cmp_eq_u32_e32 vcc_lo, 7, v114
	v_cndmask_b32_e32 v60, v60, v41, vcc_lo
	v_cmp_eq_u32_e32 vcc_lo, 8, v114
	s_delay_alu instid0(VALU_DEP_2) | instskip(SKIP_1) | instid1(VALU_DEP_2)
	v_cndmask_b32_e32 v60, v60, v42, vcc_lo
	v_cmp_eq_u32_e32 vcc_lo, 9, v114
	v_cndmask_b32_e32 v60, v60, v43, vcc_lo
	v_cmp_eq_u32_e32 vcc_lo, 10, v114
	s_delay_alu instid0(VALU_DEP_2) | instskip(SKIP_1) | instid1(VALU_DEP_2)
	v_cndmask_b32_e32 v60, v60, v44, vcc_lo
	v_cmp_eq_u32_e32 vcc_lo, 11, v114
	v_cndmask_b32_e32 v60, v60, v45, vcc_lo
	v_cmp_eq_u32_e32 vcc_lo, 12, v114
	s_delay_alu instid0(VALU_DEP_2) | instskip(SKIP_1) | instid1(VALU_DEP_2)
	v_cndmask_b32_e32 v60, v60, v46, vcc_lo
	v_cmp_eq_u32_e32 vcc_lo, 13, v114
	v_cndmask_b32_e32 v60, v60, v47, vcc_lo
	v_cmp_eq_u32_e32 vcc_lo, 14, v114
	s_delay_alu instid0(VALU_DEP_2) | instskip(SKIP_1) | instid1(VALU_DEP_2)
	v_cndmask_b32_e32 v60, v60, v48, vcc_lo
	v_cmp_eq_u32_e32 vcc_lo, 15, v114
	v_cndmask_b32_e32 v60, v60, v49, vcc_lo
	v_cmp_eq_u32_e32 vcc_lo, 16, v114
	s_delay_alu instid0(VALU_DEP_2) | instskip(SKIP_1) | instid1(VALU_DEP_2)
	v_cndmask_b32_e32 v60, v60, v50, vcc_lo
	v_cmp_eq_u32_e32 vcc_lo, 17, v114
	v_cndmask_b32_e32 v60, v60, v51, vcc_lo
	v_cmp_eq_u32_e32 vcc_lo, 18, v114
	s_delay_alu instid0(VALU_DEP_2) | instskip(SKIP_1) | instid1(VALU_DEP_2)
	v_cndmask_b32_e32 v60, v60, v52, vcc_lo
	v_cmp_eq_u32_e32 vcc_lo, 19, v114
	v_cndmask_b32_e32 v60, v60, v53, vcc_lo
	v_cmp_eq_u32_e32 vcc_lo, 20, v114
	s_delay_alu instid0(VALU_DEP_2) | instskip(SKIP_1) | instid1(VALU_DEP_2)
	v_cndmask_b32_e32 v60, v60, v54, vcc_lo
	v_cmp_eq_u32_e32 vcc_lo, 21, v114
	v_cndmask_b32_e32 v60, v60, v55, vcc_lo
	v_cmp_eq_u32_e32 vcc_lo, 22, v114
	s_delay_alu instid0(VALU_DEP_2) | instskip(SKIP_2) | instid1(VALU_DEP_3)
	v_cndmask_b32_e32 v60, v60, v56, vcc_lo
	v_cmp_eq_u32_e32 vcc_lo, 23, v114
	v_add_nc_u64_e32 v[114:115], 1, v[114:115]
	v_cndmask_b32_e32 v60, v60, v57, vcc_lo
	v_cmp_eq_u32_e32 vcc_lo, 0, v58
	s_wait_dscnt 0x0
	s_delay_alu instid0(VALU_DEP_2) | instskip(SKIP_1) | instid1(SALU_CYCLE_1)
	v_fmac_f32_e32 v118, v60, v61
	s_or_b32 s2, vcc_lo, s2
	s_and_not1_b32 exec_lo, exec_lo, s2
	s_cbranch_execnz .LBB87_45
; %bb.46:
	s_or_b32 exec_lo, exec_lo, s2
.LBB87_47:
	s_delay_alu instid0(SALU_CYCLE_1)
	s_or_b32 exec_lo, exec_lo, s0
.LBB87_48:
	s_delay_alu instid0(SALU_CYCLE_1)
	s_or_b32 exec_lo, exec_lo, s5
	v_mov_b32_e32 v53, 0
	ds_load_b32 v53, v53 offset:76
	s_wait_dscnt 0x0
	v_mul_f32_e32 v53, v118, v53
.LBB87_49:
	s_or_b32 exec_lo, exec_lo, s4
	v_cmp_lt_u32_e64 s0, 18, v0
	ds_store_b32 v117, v52
	s_wait_dscnt 0x0
	s_barrier_signal -1
	s_barrier_wait -1
	s_and_saveexec_b32 s4, s0
	s_cbranch_execz .LBB87_65
; %bb.50:
	s_and_not1_b32 vcc_lo, exec_lo, s28
	s_cbranch_vccnz .LBB87_52
; %bb.51:
	v_cmp_eq_u32_e32 vcc_lo, 1, v0
	ds_load_b32 v115, v117
	v_cndmask_b32_e32 v114, v34, v35, vcc_lo
	v_cmp_eq_u32_e32 vcc_lo, 2, v0
	s_delay_alu instid0(VALU_DEP_2) | instskip(SKIP_1) | instid1(VALU_DEP_2)
	v_cndmask_b32_e32 v114, v114, v36, vcc_lo
	v_cmp_eq_u32_e32 vcc_lo, 3, v0
	v_cndmask_b32_e32 v114, v114, v37, vcc_lo
	v_cmp_eq_u32_e32 vcc_lo, 4, v0
	s_delay_alu instid0(VALU_DEP_2) | instskip(SKIP_1) | instid1(VALU_DEP_2)
	v_cndmask_b32_e32 v114, v114, v38, vcc_lo
	v_cmp_eq_u32_e32 vcc_lo, 5, v0
	;; [unrolled: 5-line block ×11, first 2 shown]
	v_cndmask_b32_e32 v114, v114, v57, vcc_lo
	s_wait_dscnt 0x0
	s_delay_alu instid0(VALU_DEP_1)
	v_mul_f32_e32 v118, v114, v115
	s_cbranch_execz .LBB87_53
	s_branch .LBB87_54
.LBB87_52:
                                        ; implicit-def: $vgpr118
.LBB87_53:
	ds_load_b32 v118, v117
.LBB87_54:
	s_and_saveexec_b32 s5, s1
	s_cbranch_execz .LBB87_64
; %bb.55:
	v_subrev_nc_u32_e32 v116, 20, v0
	v_mov_b32_e32 v114, 19
	v_subrev_nc_u32_e32 v115, 19, v0
	s_mov_b32 s1, exec_lo
	s_delay_alu instid0(VALU_DEP_3)
	v_cmpx_lt_u32_e32 6, v116
	s_cbranch_execz .LBB87_59
; %bb.56:
	s_delay_alu instid0(VALU_DEP_2) | instskip(SKIP_3) | instid1(VALU_DEP_1)
	v_and_b32_e32 v114, -8, v115
	s_mov_b32 s6, 0
	s_mov_b64 s[2:3], 26
	s_movk_i32 s7, 0xac
	v_sub_nc_u32_e32 v116, 0, v114
.LBB87_57:                              ; =>This Inner Loop Header: Depth=1
	s_add_co_i32 m0, s2, -7
	v_movrels_b32_e32 v119, v34
	v_mov_b32_e32 v114, s7
	s_add_co_i32 m0, s2, -6
	s_add_co_i32 s7, s7, 32
	v_movrels_b32_e32 v128, v34
	ds_load_2addr_b32 v[120:121], v114 offset1:1
	ds_load_2addr_b32 v[122:123], v114 offset0:2 offset1:3
	s_add_co_i32 m0, s2, -5
	s_wait_dscnt 0x1
	v_fmac_f32_e32 v118, v119, v120
	ds_load_2addr_b32 v[124:125], v114 offset0:4 offset1:5
	ds_load_2addr_b32 v[126:127], v114 offset0:6 offset1:7
	v_movrels_b32_e32 v114, v34
	s_add_co_i32 m0, s2, -4
	v_fmac_f32_e32 v118, v128, v121
	v_movrels_b32_e32 v119, v34
	s_add_co_i32 m0, s2, -3
	s_wait_dscnt 0x2
	s_delay_alu instid0(VALU_DEP_2) | instskip(SKIP_2) | instid1(VALU_DEP_2)
	v_fmac_f32_e32 v118, v114, v122
	v_movrels_b32_e32 v114, v34
	s_add_co_i32 m0, s2, -2
	v_fmac_f32_e32 v118, v119, v123
	v_movrels_b32_e32 v119, v34
	s_add_co_i32 m0, s2, -1
	s_wait_dscnt 0x1
	s_delay_alu instid0(VALU_DEP_2)
	v_fmac_f32_e32 v118, v114, v124
	v_movrels_b32_e32 v114, v34
	s_mov_b32 m0, s2
	s_add_nc_u64 s[2:3], s[2:3], 8
	v_movrels_b32_e32 v120, v34
	v_dual_fmac_f32 v118, v119, v125 :: v_dual_add_nc_u32 v119, s2, v116
	s_add_co_i32 s8, s2, -7
	s_wait_dscnt 0x0
	s_delay_alu instid0(VALU_DEP_1) | instskip(NEXT) | instid1(VALU_DEP_2)
	v_fmac_f32_e32 v118, v114, v126
	v_cmp_eq_u32_e32 vcc_lo, 26, v119
	s_delay_alu instid0(VALU_DEP_2) | instskip(SKIP_1) | instid1(SALU_CYCLE_1)
	v_dual_mov_b32 v114, s8 :: v_dual_fmac_f32 v118, v120, v127
	s_or_b32 s6, vcc_lo, s6
	s_and_not1_b32 exec_lo, exec_lo, s6
	s_cbranch_execnz .LBB87_57
; %bb.58:
	s_or_b32 exec_lo, exec_lo, s6
.LBB87_59:
	s_delay_alu instid0(SALU_CYCLE_1) | instskip(SKIP_3) | instid1(VALU_DEP_1)
	s_or_b32 exec_lo, exec_lo, s1
	v_and_b32_e32 v58, 7, v115
	s_mov_b32 s2, 0
	s_mov_b32 s1, exec_lo
	v_cmpx_ne_u32_e32 0, v58
	s_cbranch_execz .LBB87_63
; %bb.60:
	v_lshl_add_u32 v59, v114, 2, 0x60
	v_mov_b32_e32 v115, 0
.LBB87_61:                              ; =>This Inner Loop Header: Depth=1
	v_cmp_eq_u32_e32 vcc_lo, 1, v114
	ds_load_b32 v61, v59
	v_dual_add_nc_u32 v58, -1, v58 :: v_dual_add_nc_u32 v59, 4, v59
	v_cndmask_b32_e32 v60, v34, v35, vcc_lo
	v_cmp_eq_u32_e32 vcc_lo, 2, v114
	s_delay_alu instid0(VALU_DEP_2) | instskip(SKIP_1) | instid1(VALU_DEP_2)
	v_cndmask_b32_e32 v60, v60, v36, vcc_lo
	v_cmp_eq_u32_e32 vcc_lo, 3, v114
	v_cndmask_b32_e32 v60, v60, v37, vcc_lo
	v_cmp_eq_u32_e32 vcc_lo, 4, v114
	s_delay_alu instid0(VALU_DEP_2) | instskip(SKIP_1) | instid1(VALU_DEP_2)
	v_cndmask_b32_e32 v60, v60, v38, vcc_lo
	v_cmp_eq_u32_e32 vcc_lo, 5, v114
	v_cndmask_b32_e32 v60, v60, v39, vcc_lo
	v_cmp_eq_u32_e32 vcc_lo, 6, v114
	s_delay_alu instid0(VALU_DEP_2) | instskip(SKIP_1) | instid1(VALU_DEP_2)
	v_cndmask_b32_e32 v60, v60, v40, vcc_lo
	v_cmp_eq_u32_e32 vcc_lo, 7, v114
	v_cndmask_b32_e32 v60, v60, v41, vcc_lo
	v_cmp_eq_u32_e32 vcc_lo, 8, v114
	s_delay_alu instid0(VALU_DEP_2) | instskip(SKIP_1) | instid1(VALU_DEP_2)
	v_cndmask_b32_e32 v60, v60, v42, vcc_lo
	v_cmp_eq_u32_e32 vcc_lo, 9, v114
	v_cndmask_b32_e32 v60, v60, v43, vcc_lo
	v_cmp_eq_u32_e32 vcc_lo, 10, v114
	s_delay_alu instid0(VALU_DEP_2) | instskip(SKIP_1) | instid1(VALU_DEP_2)
	v_cndmask_b32_e32 v60, v60, v44, vcc_lo
	v_cmp_eq_u32_e32 vcc_lo, 11, v114
	v_cndmask_b32_e32 v60, v60, v45, vcc_lo
	v_cmp_eq_u32_e32 vcc_lo, 12, v114
	s_delay_alu instid0(VALU_DEP_2) | instskip(SKIP_1) | instid1(VALU_DEP_2)
	v_cndmask_b32_e32 v60, v60, v46, vcc_lo
	v_cmp_eq_u32_e32 vcc_lo, 13, v114
	v_cndmask_b32_e32 v60, v60, v47, vcc_lo
	v_cmp_eq_u32_e32 vcc_lo, 14, v114
	s_delay_alu instid0(VALU_DEP_2) | instskip(SKIP_1) | instid1(VALU_DEP_2)
	v_cndmask_b32_e32 v60, v60, v48, vcc_lo
	v_cmp_eq_u32_e32 vcc_lo, 15, v114
	v_cndmask_b32_e32 v60, v60, v49, vcc_lo
	v_cmp_eq_u32_e32 vcc_lo, 16, v114
	s_delay_alu instid0(VALU_DEP_2) | instskip(SKIP_1) | instid1(VALU_DEP_2)
	v_cndmask_b32_e32 v60, v60, v50, vcc_lo
	v_cmp_eq_u32_e32 vcc_lo, 17, v114
	v_cndmask_b32_e32 v60, v60, v51, vcc_lo
	v_cmp_eq_u32_e32 vcc_lo, 18, v114
	s_delay_alu instid0(VALU_DEP_2) | instskip(SKIP_1) | instid1(VALU_DEP_2)
	v_cndmask_b32_e32 v60, v60, v52, vcc_lo
	v_cmp_eq_u32_e32 vcc_lo, 19, v114
	v_cndmask_b32_e32 v60, v60, v53, vcc_lo
	v_cmp_eq_u32_e32 vcc_lo, 20, v114
	s_delay_alu instid0(VALU_DEP_2) | instskip(SKIP_1) | instid1(VALU_DEP_2)
	v_cndmask_b32_e32 v60, v60, v54, vcc_lo
	v_cmp_eq_u32_e32 vcc_lo, 21, v114
	v_cndmask_b32_e32 v60, v60, v55, vcc_lo
	v_cmp_eq_u32_e32 vcc_lo, 22, v114
	s_delay_alu instid0(VALU_DEP_2) | instskip(SKIP_2) | instid1(VALU_DEP_3)
	v_cndmask_b32_e32 v60, v60, v56, vcc_lo
	v_cmp_eq_u32_e32 vcc_lo, 23, v114
	v_add_nc_u64_e32 v[114:115], 1, v[114:115]
	v_cndmask_b32_e32 v60, v60, v57, vcc_lo
	v_cmp_eq_u32_e32 vcc_lo, 0, v58
	s_wait_dscnt 0x0
	s_delay_alu instid0(VALU_DEP_2) | instskip(SKIP_1) | instid1(SALU_CYCLE_1)
	v_fmac_f32_e32 v118, v60, v61
	s_or_b32 s2, vcc_lo, s2
	s_and_not1_b32 exec_lo, exec_lo, s2
	s_cbranch_execnz .LBB87_61
; %bb.62:
	s_or_b32 exec_lo, exec_lo, s2
.LBB87_63:
	s_delay_alu instid0(SALU_CYCLE_1)
	s_or_b32 exec_lo, exec_lo, s1
.LBB87_64:
	s_delay_alu instid0(SALU_CYCLE_1)
	s_or_b32 exec_lo, exec_lo, s5
	v_mov_b32_e32 v52, 0
	ds_load_b32 v52, v52 offset:72
	s_wait_dscnt 0x0
	v_mul_f32_e32 v52, v118, v52
.LBB87_65:
	s_or_b32 exec_lo, exec_lo, s4
	v_cmp_lt_u32_e64 s1, 17, v0
	ds_store_b32 v117, v51
	s_wait_dscnt 0x0
	s_barrier_signal -1
	s_barrier_wait -1
	s_and_saveexec_b32 s4, s1
	s_cbranch_execz .LBB87_81
; %bb.66:
	s_and_not1_b32 vcc_lo, exec_lo, s28
	s_cbranch_vccnz .LBB87_68
; %bb.67:
	v_cmp_eq_u32_e32 vcc_lo, 1, v0
	ds_load_b32 v115, v117
	v_cndmask_b32_e32 v114, v34, v35, vcc_lo
	v_cmp_eq_u32_e32 vcc_lo, 2, v0
	s_delay_alu instid0(VALU_DEP_2) | instskip(SKIP_1) | instid1(VALU_DEP_2)
	v_cndmask_b32_e32 v114, v114, v36, vcc_lo
	v_cmp_eq_u32_e32 vcc_lo, 3, v0
	v_cndmask_b32_e32 v114, v114, v37, vcc_lo
	v_cmp_eq_u32_e32 vcc_lo, 4, v0
	s_delay_alu instid0(VALU_DEP_2) | instskip(SKIP_1) | instid1(VALU_DEP_2)
	v_cndmask_b32_e32 v114, v114, v38, vcc_lo
	v_cmp_eq_u32_e32 vcc_lo, 5, v0
	;; [unrolled: 5-line block ×11, first 2 shown]
	v_cndmask_b32_e32 v114, v114, v57, vcc_lo
	s_wait_dscnt 0x0
	s_delay_alu instid0(VALU_DEP_1)
	v_mul_f32_e32 v118, v114, v115
	s_cbranch_execz .LBB87_69
	s_branch .LBB87_70
.LBB87_68:
                                        ; implicit-def: $vgpr118
.LBB87_69:
	ds_load_b32 v118, v117
.LBB87_70:
	s_and_saveexec_b32 s5, s0
	s_cbranch_execz .LBB87_80
; %bb.71:
	v_subrev_nc_u32_e32 v116, 19, v0
	v_mov_b32_e32 v114, 18
	v_subrev_nc_u32_e32 v115, 18, v0
	s_mov_b32 s0, exec_lo
	s_delay_alu instid0(VALU_DEP_3)
	v_cmpx_lt_u32_e32 6, v116
	s_cbranch_execz .LBB87_75
; %bb.72:
	s_delay_alu instid0(VALU_DEP_2) | instskip(SKIP_3) | instid1(VALU_DEP_1)
	v_and_b32_e32 v114, -8, v115
	s_mov_b32 s6, 0
	s_mov_b64 s[2:3], 25
	s_movk_i32 s7, 0xa8
	v_sub_nc_u32_e32 v116, 0, v114
.LBB87_73:                              ; =>This Inner Loop Header: Depth=1
	s_add_co_i32 m0, s2, -7
	v_movrels_b32_e32 v119, v34
	v_mov_b32_e32 v114, s7
	s_add_co_i32 m0, s2, -6
	s_add_co_i32 s7, s7, 32
	v_movrels_b32_e32 v128, v34
	s_add_co_i32 m0, s2, -5
	ds_load_2addr_b64 v[120:123], v114 offset1:1
	ds_load_2addr_b64 v[124:127], v114 offset0:2 offset1:3
	v_movrels_b32_e32 v114, v34
	s_add_co_i32 m0, s2, -4
	s_wait_dscnt 0x1
	v_fmac_f32_e32 v118, v119, v120
	v_movrels_b32_e32 v119, v34
	s_add_co_i32 m0, s2, -3
	s_delay_alu instid0(VALU_DEP_2) | instskip(NEXT) | instid1(VALU_DEP_1)
	v_fmac_f32_e32 v118, v128, v121
	v_fmac_f32_e32 v118, v114, v122
	v_movrels_b32_e32 v114, v34
	s_add_co_i32 m0, s2, -2
	s_delay_alu instid0(VALU_DEP_2) | instskip(SKIP_3) | instid1(VALU_DEP_2)
	v_fmac_f32_e32 v118, v119, v123
	v_movrels_b32_e32 v119, v34
	s_add_co_i32 m0, s2, -1
	s_wait_dscnt 0x0
	v_fmac_f32_e32 v118, v114, v124
	v_movrels_b32_e32 v114, v34
	s_mov_b32 m0, s2
	s_add_nc_u64 s[2:3], s[2:3], 8
	v_movrels_b32_e32 v120, v34
	v_dual_fmac_f32 v118, v119, v125 :: v_dual_add_nc_u32 v119, s2, v116
	s_add_co_i32 s8, s2, -7
	s_delay_alu instid0(VALU_DEP_1) | instskip(NEXT) | instid1(VALU_DEP_2)
	v_fmac_f32_e32 v118, v114, v126
	v_cmp_eq_u32_e32 vcc_lo, 25, v119
	s_delay_alu instid0(VALU_DEP_2) | instskip(SKIP_1) | instid1(SALU_CYCLE_1)
	v_dual_mov_b32 v114, s8 :: v_dual_fmac_f32 v118, v120, v127
	s_or_b32 s6, vcc_lo, s6
	s_and_not1_b32 exec_lo, exec_lo, s6
	s_cbranch_execnz .LBB87_73
; %bb.74:
	s_or_b32 exec_lo, exec_lo, s6
.LBB87_75:
	s_delay_alu instid0(SALU_CYCLE_1) | instskip(SKIP_3) | instid1(VALU_DEP_1)
	s_or_b32 exec_lo, exec_lo, s0
	v_and_b32_e32 v58, 7, v115
	s_mov_b32 s2, 0
	s_mov_b32 s0, exec_lo
	v_cmpx_ne_u32_e32 0, v58
	s_cbranch_execz .LBB87_79
; %bb.76:
	v_lshl_add_u32 v59, v114, 2, 0x60
	v_mov_b32_e32 v115, 0
.LBB87_77:                              ; =>This Inner Loop Header: Depth=1
	v_cmp_eq_u32_e32 vcc_lo, 1, v114
	ds_load_b32 v61, v59
	v_dual_add_nc_u32 v58, -1, v58 :: v_dual_add_nc_u32 v59, 4, v59
	v_cndmask_b32_e32 v60, v34, v35, vcc_lo
	v_cmp_eq_u32_e32 vcc_lo, 2, v114
	s_delay_alu instid0(VALU_DEP_2) | instskip(SKIP_1) | instid1(VALU_DEP_2)
	v_cndmask_b32_e32 v60, v60, v36, vcc_lo
	v_cmp_eq_u32_e32 vcc_lo, 3, v114
	v_cndmask_b32_e32 v60, v60, v37, vcc_lo
	v_cmp_eq_u32_e32 vcc_lo, 4, v114
	s_delay_alu instid0(VALU_DEP_2) | instskip(SKIP_1) | instid1(VALU_DEP_2)
	v_cndmask_b32_e32 v60, v60, v38, vcc_lo
	v_cmp_eq_u32_e32 vcc_lo, 5, v114
	;; [unrolled: 5-line block ×10, first 2 shown]
	v_cndmask_b32_e32 v60, v60, v55, vcc_lo
	v_cmp_eq_u32_e32 vcc_lo, 22, v114
	s_delay_alu instid0(VALU_DEP_2) | instskip(SKIP_2) | instid1(VALU_DEP_3)
	v_cndmask_b32_e32 v60, v60, v56, vcc_lo
	v_cmp_eq_u32_e32 vcc_lo, 23, v114
	v_add_nc_u64_e32 v[114:115], 1, v[114:115]
	v_cndmask_b32_e32 v60, v60, v57, vcc_lo
	v_cmp_eq_u32_e32 vcc_lo, 0, v58
	s_wait_dscnt 0x0
	s_delay_alu instid0(VALU_DEP_2) | instskip(SKIP_1) | instid1(SALU_CYCLE_1)
	v_fmac_f32_e32 v118, v60, v61
	s_or_b32 s2, vcc_lo, s2
	s_and_not1_b32 exec_lo, exec_lo, s2
	s_cbranch_execnz .LBB87_77
; %bb.78:
	s_or_b32 exec_lo, exec_lo, s2
.LBB87_79:
	s_delay_alu instid0(SALU_CYCLE_1)
	s_or_b32 exec_lo, exec_lo, s0
.LBB87_80:
	s_delay_alu instid0(SALU_CYCLE_1)
	s_or_b32 exec_lo, exec_lo, s5
	v_mov_b32_e32 v51, 0
	ds_load_b32 v51, v51 offset:68
	s_wait_dscnt 0x0
	v_mul_f32_e32 v51, v118, v51
.LBB87_81:
	s_or_b32 exec_lo, exec_lo, s4
	v_cmp_lt_u32_e64 s0, 16, v0
	ds_store_b32 v117, v50
	s_wait_dscnt 0x0
	s_barrier_signal -1
	s_barrier_wait -1
	s_and_saveexec_b32 s4, s0
	s_cbranch_execz .LBB87_97
; %bb.82:
	s_and_not1_b32 vcc_lo, exec_lo, s28
	s_cbranch_vccnz .LBB87_84
; %bb.83:
	v_cmp_eq_u32_e32 vcc_lo, 1, v0
	ds_load_b32 v115, v117
	v_cndmask_b32_e32 v114, v34, v35, vcc_lo
	v_cmp_eq_u32_e32 vcc_lo, 2, v0
	s_delay_alu instid0(VALU_DEP_2) | instskip(SKIP_1) | instid1(VALU_DEP_2)
	v_cndmask_b32_e32 v114, v114, v36, vcc_lo
	v_cmp_eq_u32_e32 vcc_lo, 3, v0
	v_cndmask_b32_e32 v114, v114, v37, vcc_lo
	v_cmp_eq_u32_e32 vcc_lo, 4, v0
	s_delay_alu instid0(VALU_DEP_2) | instskip(SKIP_1) | instid1(VALU_DEP_2)
	v_cndmask_b32_e32 v114, v114, v38, vcc_lo
	v_cmp_eq_u32_e32 vcc_lo, 5, v0
	;; [unrolled: 5-line block ×11, first 2 shown]
	v_cndmask_b32_e32 v114, v114, v57, vcc_lo
	s_wait_dscnt 0x0
	s_delay_alu instid0(VALU_DEP_1)
	v_mul_f32_e32 v118, v114, v115
	s_cbranch_execz .LBB87_85
	s_branch .LBB87_86
.LBB87_84:
                                        ; implicit-def: $vgpr118
.LBB87_85:
	ds_load_b32 v118, v117
.LBB87_86:
	s_and_saveexec_b32 s5, s1
	s_cbranch_execz .LBB87_96
; %bb.87:
	v_subrev_nc_u32_e32 v116, 18, v0
	v_mov_b32_e32 v114, 17
	v_subrev_nc_u32_e32 v115, 17, v0
	s_mov_b32 s1, exec_lo
	s_delay_alu instid0(VALU_DEP_3)
	v_cmpx_lt_u32_e32 6, v116
	s_cbranch_execz .LBB87_91
; %bb.88:
	s_delay_alu instid0(VALU_DEP_2) | instskip(SKIP_3) | instid1(VALU_DEP_1)
	v_and_b32_e32 v114, -8, v115
	s_mov_b32 s6, 0
	s_mov_b64 s[2:3], 24
	s_movk_i32 s7, 0xa4
	v_sub_nc_u32_e32 v116, 0, v114
.LBB87_89:                              ; =>This Inner Loop Header: Depth=1
	s_add_co_i32 m0, s2, -7
	v_movrels_b32_e32 v119, v34
	v_mov_b32_e32 v114, s7
	s_add_co_i32 m0, s2, -6
	s_add_co_i32 s7, s7, 32
	v_movrels_b32_e32 v128, v34
	ds_load_2addr_b32 v[120:121], v114 offset1:1
	ds_load_2addr_b32 v[122:123], v114 offset0:2 offset1:3
	s_add_co_i32 m0, s2, -5
	s_wait_dscnt 0x1
	v_fmac_f32_e32 v118, v119, v120
	ds_load_2addr_b32 v[124:125], v114 offset0:4 offset1:5
	ds_load_2addr_b32 v[126:127], v114 offset0:6 offset1:7
	v_movrels_b32_e32 v114, v34
	s_add_co_i32 m0, s2, -4
	v_fmac_f32_e32 v118, v128, v121
	v_movrels_b32_e32 v119, v34
	s_add_co_i32 m0, s2, -3
	s_wait_dscnt 0x2
	s_delay_alu instid0(VALU_DEP_2) | instskip(SKIP_2) | instid1(VALU_DEP_2)
	v_fmac_f32_e32 v118, v114, v122
	v_movrels_b32_e32 v114, v34
	s_add_co_i32 m0, s2, -2
	v_fmac_f32_e32 v118, v119, v123
	v_movrels_b32_e32 v119, v34
	s_add_co_i32 m0, s2, -1
	s_wait_dscnt 0x1
	s_delay_alu instid0(VALU_DEP_2)
	v_fmac_f32_e32 v118, v114, v124
	v_movrels_b32_e32 v114, v34
	s_mov_b32 m0, s2
	s_add_nc_u64 s[2:3], s[2:3], 8
	v_movrels_b32_e32 v120, v34
	v_dual_fmac_f32 v118, v119, v125 :: v_dual_add_nc_u32 v119, s2, v116
	s_add_co_i32 s8, s2, -7
	s_wait_dscnt 0x0
	s_delay_alu instid0(VALU_DEP_1) | instskip(NEXT) | instid1(VALU_DEP_2)
	v_fmac_f32_e32 v118, v114, v126
	v_cmp_eq_u32_e32 vcc_lo, 24, v119
	s_delay_alu instid0(VALU_DEP_2) | instskip(SKIP_1) | instid1(SALU_CYCLE_1)
	v_dual_mov_b32 v114, s8 :: v_dual_fmac_f32 v118, v120, v127
	s_or_b32 s6, vcc_lo, s6
	s_and_not1_b32 exec_lo, exec_lo, s6
	s_cbranch_execnz .LBB87_89
; %bb.90:
	s_or_b32 exec_lo, exec_lo, s6
.LBB87_91:
	s_delay_alu instid0(SALU_CYCLE_1) | instskip(SKIP_3) | instid1(VALU_DEP_1)
	s_or_b32 exec_lo, exec_lo, s1
	v_and_b32_e32 v58, 7, v115
	s_mov_b32 s2, 0
	s_mov_b32 s1, exec_lo
	v_cmpx_ne_u32_e32 0, v58
	s_cbranch_execz .LBB87_95
; %bb.92:
	v_lshl_add_u32 v59, v114, 2, 0x60
	v_mov_b32_e32 v115, 0
.LBB87_93:                              ; =>This Inner Loop Header: Depth=1
	v_cmp_eq_u32_e32 vcc_lo, 1, v114
	ds_load_b32 v61, v59
	v_dual_add_nc_u32 v58, -1, v58 :: v_dual_add_nc_u32 v59, 4, v59
	v_cndmask_b32_e32 v60, v34, v35, vcc_lo
	v_cmp_eq_u32_e32 vcc_lo, 2, v114
	s_delay_alu instid0(VALU_DEP_2) | instskip(SKIP_1) | instid1(VALU_DEP_2)
	v_cndmask_b32_e32 v60, v60, v36, vcc_lo
	v_cmp_eq_u32_e32 vcc_lo, 3, v114
	v_cndmask_b32_e32 v60, v60, v37, vcc_lo
	v_cmp_eq_u32_e32 vcc_lo, 4, v114
	s_delay_alu instid0(VALU_DEP_2) | instskip(SKIP_1) | instid1(VALU_DEP_2)
	v_cndmask_b32_e32 v60, v60, v38, vcc_lo
	v_cmp_eq_u32_e32 vcc_lo, 5, v114
	;; [unrolled: 5-line block ×10, first 2 shown]
	v_cndmask_b32_e32 v60, v60, v55, vcc_lo
	v_cmp_eq_u32_e32 vcc_lo, 22, v114
	s_delay_alu instid0(VALU_DEP_2) | instskip(SKIP_2) | instid1(VALU_DEP_3)
	v_cndmask_b32_e32 v60, v60, v56, vcc_lo
	v_cmp_eq_u32_e32 vcc_lo, 23, v114
	v_add_nc_u64_e32 v[114:115], 1, v[114:115]
	v_cndmask_b32_e32 v60, v60, v57, vcc_lo
	v_cmp_eq_u32_e32 vcc_lo, 0, v58
	s_wait_dscnt 0x0
	s_delay_alu instid0(VALU_DEP_2) | instskip(SKIP_1) | instid1(SALU_CYCLE_1)
	v_fmac_f32_e32 v118, v60, v61
	s_or_b32 s2, vcc_lo, s2
	s_and_not1_b32 exec_lo, exec_lo, s2
	s_cbranch_execnz .LBB87_93
; %bb.94:
	s_or_b32 exec_lo, exec_lo, s2
.LBB87_95:
	s_delay_alu instid0(SALU_CYCLE_1)
	s_or_b32 exec_lo, exec_lo, s1
.LBB87_96:
	s_delay_alu instid0(SALU_CYCLE_1)
	s_or_b32 exec_lo, exec_lo, s5
	v_mov_b32_e32 v50, 0
	ds_load_b32 v50, v50 offset:64
	s_wait_dscnt 0x0
	v_mul_f32_e32 v50, v118, v50
.LBB87_97:
	s_or_b32 exec_lo, exec_lo, s4
	v_cmp_lt_u32_e64 s1, 15, v0
	ds_store_b32 v117, v49
	s_wait_dscnt 0x0
	s_barrier_signal -1
	s_barrier_wait -1
	s_and_saveexec_b32 s4, s1
	s_cbranch_execz .LBB87_113
; %bb.98:
	s_and_not1_b32 vcc_lo, exec_lo, s28
	s_cbranch_vccnz .LBB87_100
; %bb.99:
	v_cmp_eq_u32_e32 vcc_lo, 1, v0
	ds_load_b32 v115, v117
	v_cndmask_b32_e32 v114, v34, v35, vcc_lo
	v_cmp_eq_u32_e32 vcc_lo, 2, v0
	s_delay_alu instid0(VALU_DEP_2) | instskip(SKIP_1) | instid1(VALU_DEP_2)
	v_cndmask_b32_e32 v114, v114, v36, vcc_lo
	v_cmp_eq_u32_e32 vcc_lo, 3, v0
	v_cndmask_b32_e32 v114, v114, v37, vcc_lo
	v_cmp_eq_u32_e32 vcc_lo, 4, v0
	s_delay_alu instid0(VALU_DEP_2) | instskip(SKIP_1) | instid1(VALU_DEP_2)
	v_cndmask_b32_e32 v114, v114, v38, vcc_lo
	v_cmp_eq_u32_e32 vcc_lo, 5, v0
	;; [unrolled: 5-line block ×11, first 2 shown]
	v_cndmask_b32_e32 v114, v114, v57, vcc_lo
	s_wait_dscnt 0x0
	s_delay_alu instid0(VALU_DEP_1)
	v_mul_f32_e32 v118, v114, v115
	s_cbranch_execz .LBB87_101
	s_branch .LBB87_102
.LBB87_100:
                                        ; implicit-def: $vgpr118
.LBB87_101:
	ds_load_b32 v118, v117
.LBB87_102:
	s_and_saveexec_b32 s5, s0
	s_cbranch_execz .LBB87_112
; %bb.103:
	v_subrev_nc_u32_e32 v114, 17, v0
	s_delay_alu instid0(VALU_DEP_1)
	v_cmp_lt_u32_e32 vcc_lo, 6, v114
	v_mov_b32_e32 v114, 16
	s_and_saveexec_b32 s0, vcc_lo
	s_cbranch_execz .LBB87_107
; %bb.104:
	v_and_b32_e32 v114, 24, v0
	s_mov_b32 s6, 0
	s_mov_b64 s[2:3], 23
	s_movk_i32 s7, 0xa0
	s_delay_alu instid0(VALU_DEP_1)
	v_sub_nc_u32_e32 v116, 0, v114
.LBB87_105:                             ; =>This Inner Loop Header: Depth=1
	s_add_co_i32 m0, s2, -7
	v_movrels_b32_e32 v115, v34
	v_mov_b32_e32 v114, s7
	s_add_co_i32 m0, s2, -6
	s_add_co_i32 s7, s7, 32
	v_movrels_b32_e32 v119, v34
	s_add_co_i32 m0, s2, -5
	ds_load_b128 v[120:123], v114
	ds_load_b128 v[124:127], v114 offset:16
	v_movrels_b32_e32 v114, v34
	s_add_co_i32 m0, s2, -4
	s_wait_dscnt 0x1
	v_fmac_f32_e32 v118, v115, v120
	v_movrels_b32_e32 v115, v34
	s_add_co_i32 m0, s2, -3
	s_delay_alu instid0(VALU_DEP_2) | instskip(NEXT) | instid1(VALU_DEP_1)
	v_fmac_f32_e32 v118, v119, v121
	v_fmac_f32_e32 v118, v114, v122
	v_movrels_b32_e32 v114, v34
	s_add_co_i32 m0, s2, -2
	s_delay_alu instid0(VALU_DEP_2) | instskip(SKIP_3) | instid1(VALU_DEP_2)
	v_fmac_f32_e32 v118, v115, v123
	v_movrels_b32_e32 v115, v34
	s_add_co_i32 m0, s2, -1
	s_wait_dscnt 0x0
	v_fmac_f32_e32 v118, v114, v124
	v_movrels_b32_e32 v114, v34
	s_mov_b32 m0, s2
	s_add_nc_u64 s[2:3], s[2:3], 8
	v_movrels_b32_e32 v119, v34
	v_dual_fmac_f32 v118, v115, v125 :: v_dual_add_nc_u32 v115, s2, v116
	s_add_co_i32 s8, s2, -7
	s_delay_alu instid0(VALU_DEP_1) | instskip(NEXT) | instid1(VALU_DEP_2)
	v_fmac_f32_e32 v118, v114, v126
	v_cmp_eq_u32_e32 vcc_lo, 7, v115
	s_delay_alu instid0(VALU_DEP_2) | instskip(SKIP_1) | instid1(SALU_CYCLE_1)
	v_dual_mov_b32 v114, s8 :: v_dual_fmac_f32 v118, v119, v127
	s_or_b32 s6, vcc_lo, s6
	s_and_not1_b32 exec_lo, exec_lo, s6
	s_cbranch_execnz .LBB87_105
; %bb.106:
	s_or_b32 exec_lo, exec_lo, s6
.LBB87_107:
	s_delay_alu instid0(SALU_CYCLE_1) | instskip(SKIP_3) | instid1(VALU_DEP_1)
	s_or_b32 exec_lo, exec_lo, s0
	v_and_b32_e32 v58, 7, v0
	s_mov_b32 s2, 0
	s_mov_b32 s0, exec_lo
	v_cmpx_ne_u32_e32 0, v58
	s_cbranch_execz .LBB87_111
; %bb.108:
	v_lshl_add_u32 v59, v114, 2, 0x60
	v_mov_b32_e32 v115, 0
.LBB87_109:                             ; =>This Inner Loop Header: Depth=1
	v_cmp_eq_u32_e32 vcc_lo, 1, v114
	ds_load_b32 v61, v59
	v_dual_add_nc_u32 v58, -1, v58 :: v_dual_add_nc_u32 v59, 4, v59
	v_cndmask_b32_e32 v60, v34, v35, vcc_lo
	v_cmp_eq_u32_e32 vcc_lo, 2, v114
	s_delay_alu instid0(VALU_DEP_2) | instskip(SKIP_1) | instid1(VALU_DEP_2)
	v_cndmask_b32_e32 v60, v60, v36, vcc_lo
	v_cmp_eq_u32_e32 vcc_lo, 3, v114
	v_cndmask_b32_e32 v60, v60, v37, vcc_lo
	v_cmp_eq_u32_e32 vcc_lo, 4, v114
	s_delay_alu instid0(VALU_DEP_2) | instskip(SKIP_1) | instid1(VALU_DEP_2)
	v_cndmask_b32_e32 v60, v60, v38, vcc_lo
	v_cmp_eq_u32_e32 vcc_lo, 5, v114
	;; [unrolled: 5-line block ×10, first 2 shown]
	v_cndmask_b32_e32 v60, v60, v55, vcc_lo
	v_cmp_eq_u32_e32 vcc_lo, 22, v114
	s_delay_alu instid0(VALU_DEP_2) | instskip(SKIP_2) | instid1(VALU_DEP_3)
	v_cndmask_b32_e32 v60, v60, v56, vcc_lo
	v_cmp_eq_u32_e32 vcc_lo, 23, v114
	v_add_nc_u64_e32 v[114:115], 1, v[114:115]
	v_cndmask_b32_e32 v60, v60, v57, vcc_lo
	v_cmp_eq_u32_e32 vcc_lo, 0, v58
	s_wait_dscnt 0x0
	s_delay_alu instid0(VALU_DEP_2) | instskip(SKIP_1) | instid1(SALU_CYCLE_1)
	v_fmac_f32_e32 v118, v60, v61
	s_or_b32 s2, vcc_lo, s2
	s_and_not1_b32 exec_lo, exec_lo, s2
	s_cbranch_execnz .LBB87_109
; %bb.110:
	s_or_b32 exec_lo, exec_lo, s2
.LBB87_111:
	s_delay_alu instid0(SALU_CYCLE_1)
	s_or_b32 exec_lo, exec_lo, s0
.LBB87_112:
	s_delay_alu instid0(SALU_CYCLE_1)
	s_or_b32 exec_lo, exec_lo, s5
	v_mov_b32_e32 v49, 0
	ds_load_b32 v49, v49 offset:60
	s_wait_dscnt 0x0
	v_mul_f32_e32 v49, v118, v49
.LBB87_113:
	s_or_b32 exec_lo, exec_lo, s4
	v_cmp_lt_u32_e64 s0, 14, v0
	ds_store_b32 v117, v48
	s_wait_dscnt 0x0
	s_barrier_signal -1
	s_barrier_wait -1
	s_and_saveexec_b32 s4, s0
	s_cbranch_execz .LBB87_129
; %bb.114:
	s_and_not1_b32 vcc_lo, exec_lo, s28
	s_cbranch_vccnz .LBB87_116
; %bb.115:
	v_cmp_eq_u32_e32 vcc_lo, 1, v0
	ds_load_b32 v115, v117
	v_cndmask_b32_e32 v114, v34, v35, vcc_lo
	v_cmp_eq_u32_e32 vcc_lo, 2, v0
	s_delay_alu instid0(VALU_DEP_2) | instskip(SKIP_1) | instid1(VALU_DEP_2)
	v_cndmask_b32_e32 v114, v114, v36, vcc_lo
	v_cmp_eq_u32_e32 vcc_lo, 3, v0
	v_cndmask_b32_e32 v114, v114, v37, vcc_lo
	v_cmp_eq_u32_e32 vcc_lo, 4, v0
	s_delay_alu instid0(VALU_DEP_2) | instskip(SKIP_1) | instid1(VALU_DEP_2)
	v_cndmask_b32_e32 v114, v114, v38, vcc_lo
	v_cmp_eq_u32_e32 vcc_lo, 5, v0
	;; [unrolled: 5-line block ×11, first 2 shown]
	v_cndmask_b32_e32 v114, v114, v57, vcc_lo
	s_wait_dscnt 0x0
	s_delay_alu instid0(VALU_DEP_1)
	v_mul_f32_e32 v118, v114, v115
	s_cbranch_execz .LBB87_117
	s_branch .LBB87_118
.LBB87_116:
                                        ; implicit-def: $vgpr118
.LBB87_117:
	ds_load_b32 v118, v117
.LBB87_118:
	s_and_saveexec_b32 s5, s1
	s_cbranch_execz .LBB87_128
; %bb.119:
	v_dual_add_nc_u32 v114, -16, v0 :: v_dual_add_nc_u32 v115, -15, v0
	s_delay_alu instid0(VALU_DEP_1)
	v_cmp_lt_u32_e32 vcc_lo, 6, v114
	v_mov_b32_e32 v114, 15
	s_and_saveexec_b32 s1, vcc_lo
	s_cbranch_execz .LBB87_123
; %bb.120:
	v_and_b32_e32 v114, -8, v115
	s_mov_b32 s6, 0
	s_mov_b64 s[2:3], 22
	s_movk_i32 s7, 0x9c
	s_delay_alu instid0(VALU_DEP_1)
	v_sub_nc_u32_e32 v116, 0, v114
.LBB87_121:                             ; =>This Inner Loop Header: Depth=1
	s_add_co_i32 m0, s2, -7
	v_movrels_b32_e32 v119, v34
	v_mov_b32_e32 v114, s7
	s_add_co_i32 m0, s2, -6
	s_add_co_i32 s7, s7, 32
	v_movrels_b32_e32 v128, v34
	ds_load_2addr_b32 v[120:121], v114 offset1:1
	ds_load_2addr_b32 v[122:123], v114 offset0:2 offset1:3
	s_add_co_i32 m0, s2, -5
	s_wait_dscnt 0x1
	v_fmac_f32_e32 v118, v119, v120
	ds_load_2addr_b32 v[124:125], v114 offset0:4 offset1:5
	ds_load_2addr_b32 v[126:127], v114 offset0:6 offset1:7
	v_movrels_b32_e32 v114, v34
	s_add_co_i32 m0, s2, -4
	v_fmac_f32_e32 v118, v128, v121
	v_movrels_b32_e32 v119, v34
	s_add_co_i32 m0, s2, -3
	s_wait_dscnt 0x2
	s_delay_alu instid0(VALU_DEP_2) | instskip(SKIP_2) | instid1(VALU_DEP_2)
	v_fmac_f32_e32 v118, v114, v122
	v_movrels_b32_e32 v114, v34
	s_add_co_i32 m0, s2, -2
	v_fmac_f32_e32 v118, v119, v123
	v_movrels_b32_e32 v119, v34
	s_add_co_i32 m0, s2, -1
	s_wait_dscnt 0x1
	s_delay_alu instid0(VALU_DEP_2)
	v_fmac_f32_e32 v118, v114, v124
	v_movrels_b32_e32 v114, v34
	s_mov_b32 m0, s2
	s_add_nc_u64 s[2:3], s[2:3], 8
	v_movrels_b32_e32 v120, v34
	v_dual_fmac_f32 v118, v119, v125 :: v_dual_add_nc_u32 v119, s2, v116
	s_add_co_i32 s8, s2, -7
	s_wait_dscnt 0x0
	s_delay_alu instid0(VALU_DEP_1) | instskip(NEXT) | instid1(VALU_DEP_2)
	v_fmac_f32_e32 v118, v114, v126
	v_cmp_eq_u32_e32 vcc_lo, 22, v119
	s_delay_alu instid0(VALU_DEP_2) | instskip(SKIP_1) | instid1(SALU_CYCLE_1)
	v_dual_mov_b32 v114, s8 :: v_dual_fmac_f32 v118, v120, v127
	s_or_b32 s6, vcc_lo, s6
	s_and_not1_b32 exec_lo, exec_lo, s6
	s_cbranch_execnz .LBB87_121
; %bb.122:
	s_or_b32 exec_lo, exec_lo, s6
.LBB87_123:
	s_delay_alu instid0(SALU_CYCLE_1) | instskip(SKIP_3) | instid1(VALU_DEP_1)
	s_or_b32 exec_lo, exec_lo, s1
	v_and_b32_e32 v58, 7, v115
	s_mov_b32 s2, 0
	s_mov_b32 s1, exec_lo
	v_cmpx_ne_u32_e32 0, v58
	s_cbranch_execz .LBB87_127
; %bb.124:
	v_lshl_add_u32 v59, v114, 2, 0x60
	v_mov_b32_e32 v115, 0
.LBB87_125:                             ; =>This Inner Loop Header: Depth=1
	v_cmp_eq_u32_e32 vcc_lo, 1, v114
	ds_load_b32 v61, v59
	v_dual_add_nc_u32 v58, -1, v58 :: v_dual_add_nc_u32 v59, 4, v59
	v_cndmask_b32_e32 v60, v34, v35, vcc_lo
	v_cmp_eq_u32_e32 vcc_lo, 2, v114
	s_delay_alu instid0(VALU_DEP_2) | instskip(SKIP_1) | instid1(VALU_DEP_2)
	v_cndmask_b32_e32 v60, v60, v36, vcc_lo
	v_cmp_eq_u32_e32 vcc_lo, 3, v114
	v_cndmask_b32_e32 v60, v60, v37, vcc_lo
	v_cmp_eq_u32_e32 vcc_lo, 4, v114
	s_delay_alu instid0(VALU_DEP_2) | instskip(SKIP_1) | instid1(VALU_DEP_2)
	v_cndmask_b32_e32 v60, v60, v38, vcc_lo
	v_cmp_eq_u32_e32 vcc_lo, 5, v114
	;; [unrolled: 5-line block ×10, first 2 shown]
	v_cndmask_b32_e32 v60, v60, v55, vcc_lo
	v_cmp_eq_u32_e32 vcc_lo, 22, v114
	s_delay_alu instid0(VALU_DEP_2) | instskip(SKIP_2) | instid1(VALU_DEP_3)
	v_cndmask_b32_e32 v60, v60, v56, vcc_lo
	v_cmp_eq_u32_e32 vcc_lo, 23, v114
	v_add_nc_u64_e32 v[114:115], 1, v[114:115]
	v_cndmask_b32_e32 v60, v60, v57, vcc_lo
	v_cmp_eq_u32_e32 vcc_lo, 0, v58
	s_wait_dscnt 0x0
	s_delay_alu instid0(VALU_DEP_2) | instskip(SKIP_1) | instid1(SALU_CYCLE_1)
	v_fmac_f32_e32 v118, v60, v61
	s_or_b32 s2, vcc_lo, s2
	s_and_not1_b32 exec_lo, exec_lo, s2
	s_cbranch_execnz .LBB87_125
; %bb.126:
	s_or_b32 exec_lo, exec_lo, s2
.LBB87_127:
	s_delay_alu instid0(SALU_CYCLE_1)
	s_or_b32 exec_lo, exec_lo, s1
.LBB87_128:
	s_delay_alu instid0(SALU_CYCLE_1)
	s_or_b32 exec_lo, exec_lo, s5
	v_mov_b32_e32 v48, 0
	ds_load_b32 v48, v48 offset:56
	s_wait_dscnt 0x0
	v_mul_f32_e32 v48, v118, v48
.LBB87_129:
	s_or_b32 exec_lo, exec_lo, s4
	v_cmp_lt_u32_e64 s1, 13, v0
	ds_store_b32 v117, v47
	s_wait_dscnt 0x0
	s_barrier_signal -1
	s_barrier_wait -1
	s_and_saveexec_b32 s4, s1
	s_cbranch_execz .LBB87_145
; %bb.130:
	s_and_not1_b32 vcc_lo, exec_lo, s28
	s_cbranch_vccnz .LBB87_132
; %bb.131:
	v_cmp_eq_u32_e32 vcc_lo, 1, v0
	ds_load_b32 v115, v117
	v_cndmask_b32_e32 v114, v34, v35, vcc_lo
	v_cmp_eq_u32_e32 vcc_lo, 2, v0
	s_delay_alu instid0(VALU_DEP_2) | instskip(SKIP_1) | instid1(VALU_DEP_2)
	v_cndmask_b32_e32 v114, v114, v36, vcc_lo
	v_cmp_eq_u32_e32 vcc_lo, 3, v0
	v_cndmask_b32_e32 v114, v114, v37, vcc_lo
	v_cmp_eq_u32_e32 vcc_lo, 4, v0
	s_delay_alu instid0(VALU_DEP_2) | instskip(SKIP_1) | instid1(VALU_DEP_2)
	v_cndmask_b32_e32 v114, v114, v38, vcc_lo
	v_cmp_eq_u32_e32 vcc_lo, 5, v0
	;; [unrolled: 5-line block ×11, first 2 shown]
	v_cndmask_b32_e32 v114, v114, v57, vcc_lo
	s_wait_dscnt 0x0
	s_delay_alu instid0(VALU_DEP_1)
	v_mul_f32_e32 v118, v114, v115
	s_cbranch_execz .LBB87_133
	s_branch .LBB87_134
.LBB87_132:
                                        ; implicit-def: $vgpr118
.LBB87_133:
	ds_load_b32 v118, v117
.LBB87_134:
	s_and_saveexec_b32 s5, s0
	s_cbranch_execz .LBB87_144
; %bb.135:
	v_dual_add_nc_u32 v114, -15, v0 :: v_dual_add_nc_u32 v115, -14, v0
	s_delay_alu instid0(VALU_DEP_1)
	v_cmp_lt_u32_e32 vcc_lo, 6, v114
	v_mov_b32_e32 v114, 14
	s_and_saveexec_b32 s0, vcc_lo
	s_cbranch_execz .LBB87_139
; %bb.136:
	v_and_b32_e32 v114, -8, v115
	s_mov_b32 s6, 0
	s_mov_b64 s[2:3], 21
	s_movk_i32 s7, 0x98
	s_delay_alu instid0(VALU_DEP_1)
	v_sub_nc_u32_e32 v116, 0, v114
.LBB87_137:                             ; =>This Inner Loop Header: Depth=1
	s_add_co_i32 m0, s2, -7
	v_movrels_b32_e32 v119, v34
	v_mov_b32_e32 v114, s7
	s_add_co_i32 m0, s2, -6
	s_add_co_i32 s7, s7, 32
	v_movrels_b32_e32 v128, v34
	s_add_co_i32 m0, s2, -5
	ds_load_2addr_b64 v[120:123], v114 offset1:1
	ds_load_2addr_b64 v[124:127], v114 offset0:2 offset1:3
	v_movrels_b32_e32 v114, v34
	s_add_co_i32 m0, s2, -4
	s_wait_dscnt 0x1
	v_fmac_f32_e32 v118, v119, v120
	v_movrels_b32_e32 v119, v34
	s_add_co_i32 m0, s2, -3
	s_delay_alu instid0(VALU_DEP_2) | instskip(NEXT) | instid1(VALU_DEP_1)
	v_fmac_f32_e32 v118, v128, v121
	v_fmac_f32_e32 v118, v114, v122
	v_movrels_b32_e32 v114, v34
	s_add_co_i32 m0, s2, -2
	s_delay_alu instid0(VALU_DEP_2) | instskip(SKIP_3) | instid1(VALU_DEP_2)
	v_fmac_f32_e32 v118, v119, v123
	v_movrels_b32_e32 v119, v34
	s_add_co_i32 m0, s2, -1
	s_wait_dscnt 0x0
	v_fmac_f32_e32 v118, v114, v124
	v_movrels_b32_e32 v114, v34
	s_mov_b32 m0, s2
	s_add_nc_u64 s[2:3], s[2:3], 8
	v_movrels_b32_e32 v120, v34
	v_dual_fmac_f32 v118, v119, v125 :: v_dual_add_nc_u32 v119, s2, v116
	s_add_co_i32 s8, s2, -7
	s_delay_alu instid0(VALU_DEP_1) | instskip(NEXT) | instid1(VALU_DEP_2)
	v_fmac_f32_e32 v118, v114, v126
	v_cmp_eq_u32_e32 vcc_lo, 21, v119
	s_delay_alu instid0(VALU_DEP_2) | instskip(SKIP_1) | instid1(SALU_CYCLE_1)
	v_dual_mov_b32 v114, s8 :: v_dual_fmac_f32 v118, v120, v127
	s_or_b32 s6, vcc_lo, s6
	s_and_not1_b32 exec_lo, exec_lo, s6
	s_cbranch_execnz .LBB87_137
; %bb.138:
	s_or_b32 exec_lo, exec_lo, s6
.LBB87_139:
	s_delay_alu instid0(SALU_CYCLE_1) | instskip(SKIP_3) | instid1(VALU_DEP_1)
	s_or_b32 exec_lo, exec_lo, s0
	v_and_b32_e32 v58, 7, v115
	s_mov_b32 s2, 0
	s_mov_b32 s0, exec_lo
	v_cmpx_ne_u32_e32 0, v58
	s_cbranch_execz .LBB87_143
; %bb.140:
	v_lshl_add_u32 v59, v114, 2, 0x60
	v_mov_b32_e32 v115, 0
.LBB87_141:                             ; =>This Inner Loop Header: Depth=1
	v_cmp_eq_u32_e32 vcc_lo, 1, v114
	ds_load_b32 v61, v59
	v_dual_add_nc_u32 v58, -1, v58 :: v_dual_add_nc_u32 v59, 4, v59
	v_cndmask_b32_e32 v60, v34, v35, vcc_lo
	v_cmp_eq_u32_e32 vcc_lo, 2, v114
	s_delay_alu instid0(VALU_DEP_2) | instskip(SKIP_1) | instid1(VALU_DEP_2)
	v_cndmask_b32_e32 v60, v60, v36, vcc_lo
	v_cmp_eq_u32_e32 vcc_lo, 3, v114
	v_cndmask_b32_e32 v60, v60, v37, vcc_lo
	v_cmp_eq_u32_e32 vcc_lo, 4, v114
	s_delay_alu instid0(VALU_DEP_2) | instskip(SKIP_1) | instid1(VALU_DEP_2)
	v_cndmask_b32_e32 v60, v60, v38, vcc_lo
	v_cmp_eq_u32_e32 vcc_lo, 5, v114
	;; [unrolled: 5-line block ×10, first 2 shown]
	v_cndmask_b32_e32 v60, v60, v55, vcc_lo
	v_cmp_eq_u32_e32 vcc_lo, 22, v114
	s_delay_alu instid0(VALU_DEP_2) | instskip(SKIP_2) | instid1(VALU_DEP_3)
	v_cndmask_b32_e32 v60, v60, v56, vcc_lo
	v_cmp_eq_u32_e32 vcc_lo, 23, v114
	v_add_nc_u64_e32 v[114:115], 1, v[114:115]
	v_cndmask_b32_e32 v60, v60, v57, vcc_lo
	v_cmp_eq_u32_e32 vcc_lo, 0, v58
	s_wait_dscnt 0x0
	s_delay_alu instid0(VALU_DEP_2) | instskip(SKIP_1) | instid1(SALU_CYCLE_1)
	v_fmac_f32_e32 v118, v60, v61
	s_or_b32 s2, vcc_lo, s2
	s_and_not1_b32 exec_lo, exec_lo, s2
	s_cbranch_execnz .LBB87_141
; %bb.142:
	s_or_b32 exec_lo, exec_lo, s2
.LBB87_143:
	s_delay_alu instid0(SALU_CYCLE_1)
	s_or_b32 exec_lo, exec_lo, s0
.LBB87_144:
	s_delay_alu instid0(SALU_CYCLE_1)
	s_or_b32 exec_lo, exec_lo, s5
	v_mov_b32_e32 v47, 0
	ds_load_b32 v47, v47 offset:52
	s_wait_dscnt 0x0
	v_mul_f32_e32 v47, v118, v47
.LBB87_145:
	s_or_b32 exec_lo, exec_lo, s4
	v_cmp_lt_u32_e64 s0, 12, v0
	ds_store_b32 v117, v46
	s_wait_dscnt 0x0
	s_barrier_signal -1
	s_barrier_wait -1
	s_and_saveexec_b32 s4, s0
	s_cbranch_execz .LBB87_161
; %bb.146:
	s_and_not1_b32 vcc_lo, exec_lo, s28
	s_cbranch_vccnz .LBB87_148
; %bb.147:
	v_cmp_eq_u32_e32 vcc_lo, 1, v0
	ds_load_b32 v115, v117
	v_cndmask_b32_e32 v114, v34, v35, vcc_lo
	v_cmp_eq_u32_e32 vcc_lo, 2, v0
	s_delay_alu instid0(VALU_DEP_2) | instskip(SKIP_1) | instid1(VALU_DEP_2)
	v_cndmask_b32_e32 v114, v114, v36, vcc_lo
	v_cmp_eq_u32_e32 vcc_lo, 3, v0
	v_cndmask_b32_e32 v114, v114, v37, vcc_lo
	v_cmp_eq_u32_e32 vcc_lo, 4, v0
	s_delay_alu instid0(VALU_DEP_2) | instskip(SKIP_1) | instid1(VALU_DEP_2)
	v_cndmask_b32_e32 v114, v114, v38, vcc_lo
	v_cmp_eq_u32_e32 vcc_lo, 5, v0
	;; [unrolled: 5-line block ×11, first 2 shown]
	v_cndmask_b32_e32 v114, v114, v57, vcc_lo
	s_wait_dscnt 0x0
	s_delay_alu instid0(VALU_DEP_1)
	v_mul_f32_e32 v118, v114, v115
	s_cbranch_execz .LBB87_149
	s_branch .LBB87_150
.LBB87_148:
                                        ; implicit-def: $vgpr118
.LBB87_149:
	ds_load_b32 v118, v117
.LBB87_150:
	s_and_saveexec_b32 s5, s1
	s_cbranch_execz .LBB87_160
; %bb.151:
	v_dual_add_nc_u32 v114, -14, v0 :: v_dual_add_nc_u32 v115, -13, v0
	s_delay_alu instid0(VALU_DEP_1)
	v_cmp_lt_u32_e32 vcc_lo, 6, v114
	v_mov_b32_e32 v114, 13
	s_and_saveexec_b32 s1, vcc_lo
	s_cbranch_execz .LBB87_155
; %bb.152:
	v_and_b32_e32 v114, -8, v115
	s_mov_b32 s6, 0
	s_mov_b64 s[2:3], 20
	s_movk_i32 s7, 0x94
	s_delay_alu instid0(VALU_DEP_1)
	v_sub_nc_u32_e32 v116, 0, v114
.LBB87_153:                             ; =>This Inner Loop Header: Depth=1
	s_add_co_i32 m0, s2, -7
	v_movrels_b32_e32 v119, v34
	v_mov_b32_e32 v114, s7
	s_add_co_i32 m0, s2, -6
	s_add_co_i32 s7, s7, 32
	v_movrels_b32_e32 v128, v34
	ds_load_2addr_b32 v[120:121], v114 offset1:1
	ds_load_2addr_b32 v[122:123], v114 offset0:2 offset1:3
	s_add_co_i32 m0, s2, -5
	s_wait_dscnt 0x1
	v_fmac_f32_e32 v118, v119, v120
	ds_load_2addr_b32 v[124:125], v114 offset0:4 offset1:5
	ds_load_2addr_b32 v[126:127], v114 offset0:6 offset1:7
	v_movrels_b32_e32 v114, v34
	s_add_co_i32 m0, s2, -4
	v_fmac_f32_e32 v118, v128, v121
	v_movrels_b32_e32 v119, v34
	s_add_co_i32 m0, s2, -3
	s_wait_dscnt 0x2
	s_delay_alu instid0(VALU_DEP_2) | instskip(SKIP_2) | instid1(VALU_DEP_2)
	v_fmac_f32_e32 v118, v114, v122
	v_movrels_b32_e32 v114, v34
	s_add_co_i32 m0, s2, -2
	v_fmac_f32_e32 v118, v119, v123
	v_movrels_b32_e32 v119, v34
	s_add_co_i32 m0, s2, -1
	s_wait_dscnt 0x1
	s_delay_alu instid0(VALU_DEP_2)
	v_fmac_f32_e32 v118, v114, v124
	v_movrels_b32_e32 v114, v34
	s_mov_b32 m0, s2
	s_add_nc_u64 s[2:3], s[2:3], 8
	v_movrels_b32_e32 v120, v34
	v_dual_fmac_f32 v118, v119, v125 :: v_dual_add_nc_u32 v119, s2, v116
	s_add_co_i32 s8, s2, -7
	s_wait_dscnt 0x0
	s_delay_alu instid0(VALU_DEP_1) | instskip(NEXT) | instid1(VALU_DEP_2)
	v_fmac_f32_e32 v118, v114, v126
	v_cmp_eq_u32_e32 vcc_lo, 20, v119
	s_delay_alu instid0(VALU_DEP_2) | instskip(SKIP_1) | instid1(SALU_CYCLE_1)
	v_dual_mov_b32 v114, s8 :: v_dual_fmac_f32 v118, v120, v127
	s_or_b32 s6, vcc_lo, s6
	s_and_not1_b32 exec_lo, exec_lo, s6
	s_cbranch_execnz .LBB87_153
; %bb.154:
	s_or_b32 exec_lo, exec_lo, s6
.LBB87_155:
	s_delay_alu instid0(SALU_CYCLE_1) | instskip(SKIP_3) | instid1(VALU_DEP_1)
	s_or_b32 exec_lo, exec_lo, s1
	v_and_b32_e32 v58, 7, v115
	s_mov_b32 s2, 0
	s_mov_b32 s1, exec_lo
	v_cmpx_ne_u32_e32 0, v58
	s_cbranch_execz .LBB87_159
; %bb.156:
	v_lshl_add_u32 v59, v114, 2, 0x60
	v_mov_b32_e32 v115, 0
.LBB87_157:                             ; =>This Inner Loop Header: Depth=1
	v_cmp_eq_u32_e32 vcc_lo, 1, v114
	ds_load_b32 v61, v59
	v_dual_add_nc_u32 v58, -1, v58 :: v_dual_add_nc_u32 v59, 4, v59
	v_cndmask_b32_e32 v60, v34, v35, vcc_lo
	v_cmp_eq_u32_e32 vcc_lo, 2, v114
	s_delay_alu instid0(VALU_DEP_2) | instskip(SKIP_1) | instid1(VALU_DEP_2)
	v_cndmask_b32_e32 v60, v60, v36, vcc_lo
	v_cmp_eq_u32_e32 vcc_lo, 3, v114
	v_cndmask_b32_e32 v60, v60, v37, vcc_lo
	v_cmp_eq_u32_e32 vcc_lo, 4, v114
	s_delay_alu instid0(VALU_DEP_2) | instskip(SKIP_1) | instid1(VALU_DEP_2)
	v_cndmask_b32_e32 v60, v60, v38, vcc_lo
	v_cmp_eq_u32_e32 vcc_lo, 5, v114
	;; [unrolled: 5-line block ×10, first 2 shown]
	v_cndmask_b32_e32 v60, v60, v55, vcc_lo
	v_cmp_eq_u32_e32 vcc_lo, 22, v114
	s_delay_alu instid0(VALU_DEP_2) | instskip(SKIP_2) | instid1(VALU_DEP_3)
	v_cndmask_b32_e32 v60, v60, v56, vcc_lo
	v_cmp_eq_u32_e32 vcc_lo, 23, v114
	v_add_nc_u64_e32 v[114:115], 1, v[114:115]
	v_cndmask_b32_e32 v60, v60, v57, vcc_lo
	v_cmp_eq_u32_e32 vcc_lo, 0, v58
	s_wait_dscnt 0x0
	s_delay_alu instid0(VALU_DEP_2) | instskip(SKIP_1) | instid1(SALU_CYCLE_1)
	v_fmac_f32_e32 v118, v60, v61
	s_or_b32 s2, vcc_lo, s2
	s_and_not1_b32 exec_lo, exec_lo, s2
	s_cbranch_execnz .LBB87_157
; %bb.158:
	s_or_b32 exec_lo, exec_lo, s2
.LBB87_159:
	s_delay_alu instid0(SALU_CYCLE_1)
	s_or_b32 exec_lo, exec_lo, s1
.LBB87_160:
	s_delay_alu instid0(SALU_CYCLE_1)
	s_or_b32 exec_lo, exec_lo, s5
	v_mov_b32_e32 v46, 0
	ds_load_b32 v46, v46 offset:48
	s_wait_dscnt 0x0
	v_mul_f32_e32 v46, v118, v46
.LBB87_161:
	s_or_b32 exec_lo, exec_lo, s4
	v_cmp_lt_u32_e64 s1, 11, v0
	ds_store_b32 v117, v45
	s_wait_dscnt 0x0
	s_barrier_signal -1
	s_barrier_wait -1
	s_and_saveexec_b32 s4, s1
	s_cbranch_execz .LBB87_177
; %bb.162:
	s_and_not1_b32 vcc_lo, exec_lo, s28
	s_cbranch_vccnz .LBB87_164
; %bb.163:
	v_cmp_eq_u32_e32 vcc_lo, 1, v0
	ds_load_b32 v115, v117
	v_cndmask_b32_e32 v114, v34, v35, vcc_lo
	v_cmp_eq_u32_e32 vcc_lo, 2, v0
	s_delay_alu instid0(VALU_DEP_2) | instskip(SKIP_1) | instid1(VALU_DEP_2)
	v_cndmask_b32_e32 v114, v114, v36, vcc_lo
	v_cmp_eq_u32_e32 vcc_lo, 3, v0
	v_cndmask_b32_e32 v114, v114, v37, vcc_lo
	v_cmp_eq_u32_e32 vcc_lo, 4, v0
	s_delay_alu instid0(VALU_DEP_2) | instskip(SKIP_1) | instid1(VALU_DEP_2)
	v_cndmask_b32_e32 v114, v114, v38, vcc_lo
	v_cmp_eq_u32_e32 vcc_lo, 5, v0
	;; [unrolled: 5-line block ×11, first 2 shown]
	v_cndmask_b32_e32 v114, v114, v57, vcc_lo
	s_wait_dscnt 0x0
	s_delay_alu instid0(VALU_DEP_1)
	v_mul_f32_e32 v118, v114, v115
	s_cbranch_execz .LBB87_165
	s_branch .LBB87_166
.LBB87_164:
                                        ; implicit-def: $vgpr118
.LBB87_165:
	ds_load_b32 v118, v117
.LBB87_166:
	s_and_saveexec_b32 s5, s0
	s_cbranch_execz .LBB87_176
; %bb.167:
	v_dual_add_nc_u32 v114, -13, v0 :: v_dual_add_nc_u32 v115, -12, v0
	s_delay_alu instid0(VALU_DEP_1)
	v_cmp_lt_u32_e32 vcc_lo, 6, v114
	v_mov_b32_e32 v114, 12
	s_and_saveexec_b32 s0, vcc_lo
	s_cbranch_execz .LBB87_171
; %bb.168:
	v_and_b32_e32 v114, -8, v115
	s_mov_b32 s6, 0
	s_mov_b64 s[2:3], 19
	s_movk_i32 s7, 0x90
	s_delay_alu instid0(VALU_DEP_1)
	v_sub_nc_u32_e32 v116, 0, v114
.LBB87_169:                             ; =>This Inner Loop Header: Depth=1
	s_add_co_i32 m0, s2, -7
	v_movrels_b32_e32 v119, v34
	v_mov_b32_e32 v114, s7
	s_add_co_i32 m0, s2, -6
	s_add_co_i32 s7, s7, 32
	v_movrels_b32_e32 v128, v34
	s_add_co_i32 m0, s2, -5
	ds_load_b128 v[120:123], v114
	ds_load_b128 v[124:127], v114 offset:16
	v_movrels_b32_e32 v114, v34
	s_add_co_i32 m0, s2, -4
	s_wait_dscnt 0x1
	v_fmac_f32_e32 v118, v119, v120
	v_movrels_b32_e32 v119, v34
	s_add_co_i32 m0, s2, -3
	s_delay_alu instid0(VALU_DEP_2) | instskip(NEXT) | instid1(VALU_DEP_1)
	v_fmac_f32_e32 v118, v128, v121
	v_fmac_f32_e32 v118, v114, v122
	v_movrels_b32_e32 v114, v34
	s_add_co_i32 m0, s2, -2
	s_delay_alu instid0(VALU_DEP_2) | instskip(SKIP_3) | instid1(VALU_DEP_2)
	v_fmac_f32_e32 v118, v119, v123
	v_movrels_b32_e32 v119, v34
	s_add_co_i32 m0, s2, -1
	s_wait_dscnt 0x0
	v_fmac_f32_e32 v118, v114, v124
	v_movrels_b32_e32 v114, v34
	s_mov_b32 m0, s2
	s_add_nc_u64 s[2:3], s[2:3], 8
	v_movrels_b32_e32 v120, v34
	v_dual_fmac_f32 v118, v119, v125 :: v_dual_add_nc_u32 v119, s2, v116
	s_add_co_i32 s8, s2, -7
	s_delay_alu instid0(VALU_DEP_1) | instskip(NEXT) | instid1(VALU_DEP_2)
	v_fmac_f32_e32 v118, v114, v126
	v_cmp_eq_u32_e32 vcc_lo, 19, v119
	s_delay_alu instid0(VALU_DEP_2) | instskip(SKIP_1) | instid1(SALU_CYCLE_1)
	v_dual_mov_b32 v114, s8 :: v_dual_fmac_f32 v118, v120, v127
	s_or_b32 s6, vcc_lo, s6
	s_and_not1_b32 exec_lo, exec_lo, s6
	s_cbranch_execnz .LBB87_169
; %bb.170:
	s_or_b32 exec_lo, exec_lo, s6
.LBB87_171:
	s_delay_alu instid0(SALU_CYCLE_1) | instskip(SKIP_3) | instid1(VALU_DEP_1)
	s_or_b32 exec_lo, exec_lo, s0
	v_and_b32_e32 v58, 7, v115
	s_mov_b32 s2, 0
	s_mov_b32 s0, exec_lo
	v_cmpx_ne_u32_e32 0, v58
	s_cbranch_execz .LBB87_175
; %bb.172:
	v_lshl_add_u32 v59, v114, 2, 0x60
	v_mov_b32_e32 v115, 0
.LBB87_173:                             ; =>This Inner Loop Header: Depth=1
	v_cmp_eq_u32_e32 vcc_lo, 1, v114
	ds_load_b32 v61, v59
	v_dual_add_nc_u32 v58, -1, v58 :: v_dual_add_nc_u32 v59, 4, v59
	v_cndmask_b32_e32 v60, v34, v35, vcc_lo
	v_cmp_eq_u32_e32 vcc_lo, 2, v114
	s_delay_alu instid0(VALU_DEP_2) | instskip(SKIP_1) | instid1(VALU_DEP_2)
	v_cndmask_b32_e32 v60, v60, v36, vcc_lo
	v_cmp_eq_u32_e32 vcc_lo, 3, v114
	v_cndmask_b32_e32 v60, v60, v37, vcc_lo
	v_cmp_eq_u32_e32 vcc_lo, 4, v114
	s_delay_alu instid0(VALU_DEP_2) | instskip(SKIP_1) | instid1(VALU_DEP_2)
	v_cndmask_b32_e32 v60, v60, v38, vcc_lo
	v_cmp_eq_u32_e32 vcc_lo, 5, v114
	v_cndmask_b32_e32 v60, v60, v39, vcc_lo
	v_cmp_eq_u32_e32 vcc_lo, 6, v114
	s_delay_alu instid0(VALU_DEP_2) | instskip(SKIP_1) | instid1(VALU_DEP_2)
	v_cndmask_b32_e32 v60, v60, v40, vcc_lo
	v_cmp_eq_u32_e32 vcc_lo, 7, v114
	v_cndmask_b32_e32 v60, v60, v41, vcc_lo
	v_cmp_eq_u32_e32 vcc_lo, 8, v114
	s_delay_alu instid0(VALU_DEP_2) | instskip(SKIP_1) | instid1(VALU_DEP_2)
	v_cndmask_b32_e32 v60, v60, v42, vcc_lo
	v_cmp_eq_u32_e32 vcc_lo, 9, v114
	v_cndmask_b32_e32 v60, v60, v43, vcc_lo
	v_cmp_eq_u32_e32 vcc_lo, 10, v114
	s_delay_alu instid0(VALU_DEP_2) | instskip(SKIP_1) | instid1(VALU_DEP_2)
	v_cndmask_b32_e32 v60, v60, v44, vcc_lo
	v_cmp_eq_u32_e32 vcc_lo, 11, v114
	v_cndmask_b32_e32 v60, v60, v45, vcc_lo
	v_cmp_eq_u32_e32 vcc_lo, 12, v114
	s_delay_alu instid0(VALU_DEP_2) | instskip(SKIP_1) | instid1(VALU_DEP_2)
	v_cndmask_b32_e32 v60, v60, v46, vcc_lo
	v_cmp_eq_u32_e32 vcc_lo, 13, v114
	v_cndmask_b32_e32 v60, v60, v47, vcc_lo
	v_cmp_eq_u32_e32 vcc_lo, 14, v114
	s_delay_alu instid0(VALU_DEP_2) | instskip(SKIP_1) | instid1(VALU_DEP_2)
	v_cndmask_b32_e32 v60, v60, v48, vcc_lo
	v_cmp_eq_u32_e32 vcc_lo, 15, v114
	v_cndmask_b32_e32 v60, v60, v49, vcc_lo
	v_cmp_eq_u32_e32 vcc_lo, 16, v114
	s_delay_alu instid0(VALU_DEP_2) | instskip(SKIP_1) | instid1(VALU_DEP_2)
	v_cndmask_b32_e32 v60, v60, v50, vcc_lo
	v_cmp_eq_u32_e32 vcc_lo, 17, v114
	v_cndmask_b32_e32 v60, v60, v51, vcc_lo
	v_cmp_eq_u32_e32 vcc_lo, 18, v114
	s_delay_alu instid0(VALU_DEP_2) | instskip(SKIP_1) | instid1(VALU_DEP_2)
	v_cndmask_b32_e32 v60, v60, v52, vcc_lo
	v_cmp_eq_u32_e32 vcc_lo, 19, v114
	v_cndmask_b32_e32 v60, v60, v53, vcc_lo
	v_cmp_eq_u32_e32 vcc_lo, 20, v114
	s_delay_alu instid0(VALU_DEP_2) | instskip(SKIP_1) | instid1(VALU_DEP_2)
	v_cndmask_b32_e32 v60, v60, v54, vcc_lo
	v_cmp_eq_u32_e32 vcc_lo, 21, v114
	v_cndmask_b32_e32 v60, v60, v55, vcc_lo
	v_cmp_eq_u32_e32 vcc_lo, 22, v114
	s_delay_alu instid0(VALU_DEP_2) | instskip(SKIP_2) | instid1(VALU_DEP_3)
	v_cndmask_b32_e32 v60, v60, v56, vcc_lo
	v_cmp_eq_u32_e32 vcc_lo, 23, v114
	v_add_nc_u64_e32 v[114:115], 1, v[114:115]
	v_cndmask_b32_e32 v60, v60, v57, vcc_lo
	v_cmp_eq_u32_e32 vcc_lo, 0, v58
	s_wait_dscnt 0x0
	s_delay_alu instid0(VALU_DEP_2) | instskip(SKIP_1) | instid1(SALU_CYCLE_1)
	v_fmac_f32_e32 v118, v60, v61
	s_or_b32 s2, vcc_lo, s2
	s_and_not1_b32 exec_lo, exec_lo, s2
	s_cbranch_execnz .LBB87_173
; %bb.174:
	s_or_b32 exec_lo, exec_lo, s2
.LBB87_175:
	s_delay_alu instid0(SALU_CYCLE_1)
	s_or_b32 exec_lo, exec_lo, s0
.LBB87_176:
	s_delay_alu instid0(SALU_CYCLE_1)
	s_or_b32 exec_lo, exec_lo, s5
	v_mov_b32_e32 v45, 0
	ds_load_b32 v45, v45 offset:44
	s_wait_dscnt 0x0
	v_mul_f32_e32 v45, v118, v45
.LBB87_177:
	s_or_b32 exec_lo, exec_lo, s4
	v_cmp_lt_u32_e64 s0, 10, v0
	ds_store_b32 v117, v44
	s_wait_dscnt 0x0
	s_barrier_signal -1
	s_barrier_wait -1
	s_and_saveexec_b32 s4, s0
	s_cbranch_execz .LBB87_193
; %bb.178:
	s_and_not1_b32 vcc_lo, exec_lo, s28
	s_cbranch_vccnz .LBB87_180
; %bb.179:
	v_cmp_eq_u32_e32 vcc_lo, 1, v0
	ds_load_b32 v115, v117
	v_cndmask_b32_e32 v114, v34, v35, vcc_lo
	v_cmp_eq_u32_e32 vcc_lo, 2, v0
	s_delay_alu instid0(VALU_DEP_2) | instskip(SKIP_1) | instid1(VALU_DEP_2)
	v_cndmask_b32_e32 v114, v114, v36, vcc_lo
	v_cmp_eq_u32_e32 vcc_lo, 3, v0
	v_cndmask_b32_e32 v114, v114, v37, vcc_lo
	v_cmp_eq_u32_e32 vcc_lo, 4, v0
	s_delay_alu instid0(VALU_DEP_2) | instskip(SKIP_1) | instid1(VALU_DEP_2)
	v_cndmask_b32_e32 v114, v114, v38, vcc_lo
	v_cmp_eq_u32_e32 vcc_lo, 5, v0
	;; [unrolled: 5-line block ×11, first 2 shown]
	v_cndmask_b32_e32 v114, v114, v57, vcc_lo
	s_wait_dscnt 0x0
	s_delay_alu instid0(VALU_DEP_1)
	v_mul_f32_e32 v118, v114, v115
	s_cbranch_execz .LBB87_181
	s_branch .LBB87_182
.LBB87_180:
                                        ; implicit-def: $vgpr118
.LBB87_181:
	ds_load_b32 v118, v117
.LBB87_182:
	s_and_saveexec_b32 s5, s1
	s_cbranch_execz .LBB87_192
; %bb.183:
	v_dual_add_nc_u32 v114, -12, v0 :: v_dual_add_nc_u32 v115, -11, v0
	s_delay_alu instid0(VALU_DEP_1)
	v_cmp_lt_u32_e32 vcc_lo, 6, v114
	v_mov_b32_e32 v114, 11
	s_and_saveexec_b32 s1, vcc_lo
	s_cbranch_execz .LBB87_187
; %bb.184:
	v_and_b32_e32 v114, -8, v115
	s_mov_b32 s6, 0
	s_mov_b64 s[2:3], 18
	s_movk_i32 s7, 0x8c
	s_delay_alu instid0(VALU_DEP_1)
	v_sub_nc_u32_e32 v116, 0, v114
.LBB87_185:                             ; =>This Inner Loop Header: Depth=1
	s_add_co_i32 m0, s2, -7
	v_movrels_b32_e32 v119, v34
	v_mov_b32_e32 v114, s7
	s_add_co_i32 m0, s2, -6
	s_add_co_i32 s7, s7, 32
	v_movrels_b32_e32 v128, v34
	ds_load_2addr_b32 v[120:121], v114 offset1:1
	ds_load_2addr_b32 v[122:123], v114 offset0:2 offset1:3
	s_add_co_i32 m0, s2, -5
	s_wait_dscnt 0x1
	v_fmac_f32_e32 v118, v119, v120
	ds_load_2addr_b32 v[124:125], v114 offset0:4 offset1:5
	ds_load_2addr_b32 v[126:127], v114 offset0:6 offset1:7
	v_movrels_b32_e32 v114, v34
	s_add_co_i32 m0, s2, -4
	v_fmac_f32_e32 v118, v128, v121
	v_movrels_b32_e32 v119, v34
	s_add_co_i32 m0, s2, -3
	s_wait_dscnt 0x2
	s_delay_alu instid0(VALU_DEP_2) | instskip(SKIP_2) | instid1(VALU_DEP_2)
	v_fmac_f32_e32 v118, v114, v122
	v_movrels_b32_e32 v114, v34
	s_add_co_i32 m0, s2, -2
	v_fmac_f32_e32 v118, v119, v123
	v_movrels_b32_e32 v119, v34
	s_add_co_i32 m0, s2, -1
	s_wait_dscnt 0x1
	s_delay_alu instid0(VALU_DEP_2)
	v_fmac_f32_e32 v118, v114, v124
	v_movrels_b32_e32 v114, v34
	s_mov_b32 m0, s2
	s_add_nc_u64 s[2:3], s[2:3], 8
	v_movrels_b32_e32 v120, v34
	v_dual_fmac_f32 v118, v119, v125 :: v_dual_add_nc_u32 v119, s2, v116
	s_add_co_i32 s8, s2, -7
	s_wait_dscnt 0x0
	s_delay_alu instid0(VALU_DEP_1) | instskip(NEXT) | instid1(VALU_DEP_2)
	v_fmac_f32_e32 v118, v114, v126
	v_cmp_eq_u32_e32 vcc_lo, 18, v119
	s_delay_alu instid0(VALU_DEP_2) | instskip(SKIP_1) | instid1(SALU_CYCLE_1)
	v_dual_mov_b32 v114, s8 :: v_dual_fmac_f32 v118, v120, v127
	s_or_b32 s6, vcc_lo, s6
	s_and_not1_b32 exec_lo, exec_lo, s6
	s_cbranch_execnz .LBB87_185
; %bb.186:
	s_or_b32 exec_lo, exec_lo, s6
.LBB87_187:
	s_delay_alu instid0(SALU_CYCLE_1) | instskip(SKIP_3) | instid1(VALU_DEP_1)
	s_or_b32 exec_lo, exec_lo, s1
	v_and_b32_e32 v58, 7, v115
	s_mov_b32 s2, 0
	s_mov_b32 s1, exec_lo
	v_cmpx_ne_u32_e32 0, v58
	s_cbranch_execz .LBB87_191
; %bb.188:
	v_lshl_add_u32 v59, v114, 2, 0x60
	v_mov_b32_e32 v115, 0
.LBB87_189:                             ; =>This Inner Loop Header: Depth=1
	v_cmp_eq_u32_e32 vcc_lo, 1, v114
	ds_load_b32 v61, v59
	v_dual_add_nc_u32 v58, -1, v58 :: v_dual_add_nc_u32 v59, 4, v59
	v_cndmask_b32_e32 v60, v34, v35, vcc_lo
	v_cmp_eq_u32_e32 vcc_lo, 2, v114
	s_delay_alu instid0(VALU_DEP_2) | instskip(SKIP_1) | instid1(VALU_DEP_2)
	v_cndmask_b32_e32 v60, v60, v36, vcc_lo
	v_cmp_eq_u32_e32 vcc_lo, 3, v114
	v_cndmask_b32_e32 v60, v60, v37, vcc_lo
	v_cmp_eq_u32_e32 vcc_lo, 4, v114
	s_delay_alu instid0(VALU_DEP_2) | instskip(SKIP_1) | instid1(VALU_DEP_2)
	v_cndmask_b32_e32 v60, v60, v38, vcc_lo
	v_cmp_eq_u32_e32 vcc_lo, 5, v114
	;; [unrolled: 5-line block ×10, first 2 shown]
	v_cndmask_b32_e32 v60, v60, v55, vcc_lo
	v_cmp_eq_u32_e32 vcc_lo, 22, v114
	s_delay_alu instid0(VALU_DEP_2) | instskip(SKIP_2) | instid1(VALU_DEP_3)
	v_cndmask_b32_e32 v60, v60, v56, vcc_lo
	v_cmp_eq_u32_e32 vcc_lo, 23, v114
	v_add_nc_u64_e32 v[114:115], 1, v[114:115]
	v_cndmask_b32_e32 v60, v60, v57, vcc_lo
	v_cmp_eq_u32_e32 vcc_lo, 0, v58
	s_wait_dscnt 0x0
	s_delay_alu instid0(VALU_DEP_2) | instskip(SKIP_1) | instid1(SALU_CYCLE_1)
	v_fmac_f32_e32 v118, v60, v61
	s_or_b32 s2, vcc_lo, s2
	s_and_not1_b32 exec_lo, exec_lo, s2
	s_cbranch_execnz .LBB87_189
; %bb.190:
	s_or_b32 exec_lo, exec_lo, s2
.LBB87_191:
	s_delay_alu instid0(SALU_CYCLE_1)
	s_or_b32 exec_lo, exec_lo, s1
.LBB87_192:
	s_delay_alu instid0(SALU_CYCLE_1)
	s_or_b32 exec_lo, exec_lo, s5
	v_mov_b32_e32 v44, 0
	ds_load_b32 v44, v44 offset:40
	s_wait_dscnt 0x0
	v_mul_f32_e32 v44, v118, v44
.LBB87_193:
	s_or_b32 exec_lo, exec_lo, s4
	v_cmp_lt_u32_e64 s1, 9, v0
	ds_store_b32 v117, v43
	s_wait_dscnt 0x0
	s_barrier_signal -1
	s_barrier_wait -1
	s_and_saveexec_b32 s4, s1
	s_cbranch_execz .LBB87_209
; %bb.194:
	s_and_not1_b32 vcc_lo, exec_lo, s28
	s_cbranch_vccnz .LBB87_196
; %bb.195:
	v_cmp_eq_u32_e32 vcc_lo, 1, v0
	ds_load_b32 v115, v117
	v_cndmask_b32_e32 v114, v34, v35, vcc_lo
	v_cmp_eq_u32_e32 vcc_lo, 2, v0
	s_delay_alu instid0(VALU_DEP_2) | instskip(SKIP_1) | instid1(VALU_DEP_2)
	v_cndmask_b32_e32 v114, v114, v36, vcc_lo
	v_cmp_eq_u32_e32 vcc_lo, 3, v0
	v_cndmask_b32_e32 v114, v114, v37, vcc_lo
	v_cmp_eq_u32_e32 vcc_lo, 4, v0
	s_delay_alu instid0(VALU_DEP_2) | instskip(SKIP_1) | instid1(VALU_DEP_2)
	v_cndmask_b32_e32 v114, v114, v38, vcc_lo
	v_cmp_eq_u32_e32 vcc_lo, 5, v0
	;; [unrolled: 5-line block ×11, first 2 shown]
	v_cndmask_b32_e32 v114, v114, v57, vcc_lo
	s_wait_dscnt 0x0
	s_delay_alu instid0(VALU_DEP_1)
	v_mul_f32_e32 v118, v114, v115
	s_cbranch_execz .LBB87_197
	s_branch .LBB87_198
.LBB87_196:
                                        ; implicit-def: $vgpr118
.LBB87_197:
	ds_load_b32 v118, v117
.LBB87_198:
	s_and_saveexec_b32 s5, s0
	s_cbranch_execz .LBB87_208
; %bb.199:
	v_dual_add_nc_u32 v114, -11, v0 :: v_dual_add_nc_u32 v115, -10, v0
	s_delay_alu instid0(VALU_DEP_1)
	v_cmp_lt_u32_e32 vcc_lo, 6, v114
	v_mov_b32_e32 v114, 10
	s_and_saveexec_b32 s0, vcc_lo
	s_cbranch_execz .LBB87_203
; %bb.200:
	v_and_b32_e32 v114, -8, v115
	s_mov_b32 s6, 0
	s_mov_b64 s[2:3], 17
	s_movk_i32 s7, 0x88
	s_delay_alu instid0(VALU_DEP_1)
	v_sub_nc_u32_e32 v116, 0, v114
.LBB87_201:                             ; =>This Inner Loop Header: Depth=1
	s_add_co_i32 m0, s2, -7
	v_movrels_b32_e32 v119, v34
	v_mov_b32_e32 v114, s7
	s_add_co_i32 m0, s2, -6
	s_add_co_i32 s7, s7, 32
	v_movrels_b32_e32 v128, v34
	s_add_co_i32 m0, s2, -5
	ds_load_2addr_b64 v[120:123], v114 offset1:1
	ds_load_2addr_b64 v[124:127], v114 offset0:2 offset1:3
	v_movrels_b32_e32 v114, v34
	s_add_co_i32 m0, s2, -4
	s_wait_dscnt 0x1
	v_fmac_f32_e32 v118, v119, v120
	v_movrels_b32_e32 v119, v34
	s_add_co_i32 m0, s2, -3
	s_delay_alu instid0(VALU_DEP_2) | instskip(NEXT) | instid1(VALU_DEP_1)
	v_fmac_f32_e32 v118, v128, v121
	v_fmac_f32_e32 v118, v114, v122
	v_movrels_b32_e32 v114, v34
	s_add_co_i32 m0, s2, -2
	s_delay_alu instid0(VALU_DEP_2) | instskip(SKIP_3) | instid1(VALU_DEP_2)
	v_fmac_f32_e32 v118, v119, v123
	v_movrels_b32_e32 v119, v34
	s_add_co_i32 m0, s2, -1
	s_wait_dscnt 0x0
	v_fmac_f32_e32 v118, v114, v124
	v_movrels_b32_e32 v114, v34
	s_mov_b32 m0, s2
	s_add_nc_u64 s[2:3], s[2:3], 8
	v_movrels_b32_e32 v120, v34
	v_dual_fmac_f32 v118, v119, v125 :: v_dual_add_nc_u32 v119, s2, v116
	s_add_co_i32 s8, s2, -7
	s_delay_alu instid0(VALU_DEP_1) | instskip(NEXT) | instid1(VALU_DEP_2)
	v_fmac_f32_e32 v118, v114, v126
	v_cmp_eq_u32_e32 vcc_lo, 17, v119
	s_delay_alu instid0(VALU_DEP_2) | instskip(SKIP_1) | instid1(SALU_CYCLE_1)
	v_dual_mov_b32 v114, s8 :: v_dual_fmac_f32 v118, v120, v127
	s_or_b32 s6, vcc_lo, s6
	s_and_not1_b32 exec_lo, exec_lo, s6
	s_cbranch_execnz .LBB87_201
; %bb.202:
	s_or_b32 exec_lo, exec_lo, s6
.LBB87_203:
	s_delay_alu instid0(SALU_CYCLE_1) | instskip(SKIP_3) | instid1(VALU_DEP_1)
	s_or_b32 exec_lo, exec_lo, s0
	v_and_b32_e32 v58, 7, v115
	s_mov_b32 s2, 0
	s_mov_b32 s0, exec_lo
	v_cmpx_ne_u32_e32 0, v58
	s_cbranch_execz .LBB87_207
; %bb.204:
	v_lshl_add_u32 v59, v114, 2, 0x60
	v_mov_b32_e32 v115, 0
.LBB87_205:                             ; =>This Inner Loop Header: Depth=1
	v_cmp_eq_u32_e32 vcc_lo, 1, v114
	ds_load_b32 v61, v59
	v_dual_add_nc_u32 v58, -1, v58 :: v_dual_add_nc_u32 v59, 4, v59
	v_cndmask_b32_e32 v60, v34, v35, vcc_lo
	v_cmp_eq_u32_e32 vcc_lo, 2, v114
	s_delay_alu instid0(VALU_DEP_2) | instskip(SKIP_1) | instid1(VALU_DEP_2)
	v_cndmask_b32_e32 v60, v60, v36, vcc_lo
	v_cmp_eq_u32_e32 vcc_lo, 3, v114
	v_cndmask_b32_e32 v60, v60, v37, vcc_lo
	v_cmp_eq_u32_e32 vcc_lo, 4, v114
	s_delay_alu instid0(VALU_DEP_2) | instskip(SKIP_1) | instid1(VALU_DEP_2)
	v_cndmask_b32_e32 v60, v60, v38, vcc_lo
	v_cmp_eq_u32_e32 vcc_lo, 5, v114
	;; [unrolled: 5-line block ×10, first 2 shown]
	v_cndmask_b32_e32 v60, v60, v55, vcc_lo
	v_cmp_eq_u32_e32 vcc_lo, 22, v114
	s_delay_alu instid0(VALU_DEP_2) | instskip(SKIP_2) | instid1(VALU_DEP_3)
	v_cndmask_b32_e32 v60, v60, v56, vcc_lo
	v_cmp_eq_u32_e32 vcc_lo, 23, v114
	v_add_nc_u64_e32 v[114:115], 1, v[114:115]
	v_cndmask_b32_e32 v60, v60, v57, vcc_lo
	v_cmp_eq_u32_e32 vcc_lo, 0, v58
	s_wait_dscnt 0x0
	s_delay_alu instid0(VALU_DEP_2) | instskip(SKIP_1) | instid1(SALU_CYCLE_1)
	v_fmac_f32_e32 v118, v60, v61
	s_or_b32 s2, vcc_lo, s2
	s_and_not1_b32 exec_lo, exec_lo, s2
	s_cbranch_execnz .LBB87_205
; %bb.206:
	s_or_b32 exec_lo, exec_lo, s2
.LBB87_207:
	s_delay_alu instid0(SALU_CYCLE_1)
	s_or_b32 exec_lo, exec_lo, s0
.LBB87_208:
	s_delay_alu instid0(SALU_CYCLE_1)
	s_or_b32 exec_lo, exec_lo, s5
	v_mov_b32_e32 v43, 0
	ds_load_b32 v43, v43 offset:36
	s_wait_dscnt 0x0
	v_mul_f32_e32 v43, v118, v43
.LBB87_209:
	s_or_b32 exec_lo, exec_lo, s4
	v_cmp_lt_u32_e64 s0, 8, v0
	ds_store_b32 v117, v42
	s_wait_dscnt 0x0
	s_barrier_signal -1
	s_barrier_wait -1
	s_and_saveexec_b32 s4, s0
	s_cbranch_execz .LBB87_225
; %bb.210:
	s_and_not1_b32 vcc_lo, exec_lo, s28
	s_cbranch_vccnz .LBB87_212
; %bb.211:
	v_cmp_eq_u32_e32 vcc_lo, 1, v0
	ds_load_b32 v115, v117
	v_cndmask_b32_e32 v114, v34, v35, vcc_lo
	v_cmp_eq_u32_e32 vcc_lo, 2, v0
	s_delay_alu instid0(VALU_DEP_2) | instskip(SKIP_1) | instid1(VALU_DEP_2)
	v_cndmask_b32_e32 v114, v114, v36, vcc_lo
	v_cmp_eq_u32_e32 vcc_lo, 3, v0
	v_cndmask_b32_e32 v114, v114, v37, vcc_lo
	v_cmp_eq_u32_e32 vcc_lo, 4, v0
	s_delay_alu instid0(VALU_DEP_2) | instskip(SKIP_1) | instid1(VALU_DEP_2)
	v_cndmask_b32_e32 v114, v114, v38, vcc_lo
	v_cmp_eq_u32_e32 vcc_lo, 5, v0
	;; [unrolled: 5-line block ×11, first 2 shown]
	v_cndmask_b32_e32 v114, v114, v57, vcc_lo
	s_wait_dscnt 0x0
	s_delay_alu instid0(VALU_DEP_1)
	v_mul_f32_e32 v118, v114, v115
	s_cbranch_execz .LBB87_213
	s_branch .LBB87_214
.LBB87_212:
                                        ; implicit-def: $vgpr118
.LBB87_213:
	ds_load_b32 v118, v117
.LBB87_214:
	s_and_saveexec_b32 s5, s1
	s_cbranch_execz .LBB87_224
; %bb.215:
	v_dual_add_nc_u32 v114, -10, v0 :: v_dual_add_nc_u32 v115, -9, v0
	s_delay_alu instid0(VALU_DEP_1)
	v_cmp_lt_u32_e32 vcc_lo, 6, v114
	v_mov_b32_e32 v114, 9
	s_and_saveexec_b32 s1, vcc_lo
	s_cbranch_execz .LBB87_219
; %bb.216:
	v_and_b32_e32 v114, -8, v115
	s_mov_b32 s6, 0
	s_mov_b64 s[2:3], 16
	s_movk_i32 s7, 0x84
	s_delay_alu instid0(VALU_DEP_1)
	v_sub_nc_u32_e32 v116, 0, v114
.LBB87_217:                             ; =>This Inner Loop Header: Depth=1
	s_add_co_i32 m0, s2, -7
	v_movrels_b32_e32 v119, v34
	v_mov_b32_e32 v114, s7
	s_add_co_i32 m0, s2, -6
	s_add_co_i32 s7, s7, 32
	v_movrels_b32_e32 v128, v34
	ds_load_2addr_b32 v[120:121], v114 offset1:1
	ds_load_2addr_b32 v[122:123], v114 offset0:2 offset1:3
	s_add_co_i32 m0, s2, -5
	s_wait_dscnt 0x1
	v_fmac_f32_e32 v118, v119, v120
	ds_load_2addr_b32 v[124:125], v114 offset0:4 offset1:5
	ds_load_2addr_b32 v[126:127], v114 offset0:6 offset1:7
	v_movrels_b32_e32 v114, v34
	s_add_co_i32 m0, s2, -4
	v_fmac_f32_e32 v118, v128, v121
	v_movrels_b32_e32 v119, v34
	s_add_co_i32 m0, s2, -3
	s_wait_dscnt 0x2
	s_delay_alu instid0(VALU_DEP_2) | instskip(SKIP_2) | instid1(VALU_DEP_2)
	v_fmac_f32_e32 v118, v114, v122
	v_movrels_b32_e32 v114, v34
	s_add_co_i32 m0, s2, -2
	v_fmac_f32_e32 v118, v119, v123
	v_movrels_b32_e32 v119, v34
	s_add_co_i32 m0, s2, -1
	s_wait_dscnt 0x1
	s_delay_alu instid0(VALU_DEP_2)
	v_fmac_f32_e32 v118, v114, v124
	v_movrels_b32_e32 v114, v34
	s_mov_b32 m0, s2
	s_add_nc_u64 s[2:3], s[2:3], 8
	v_movrels_b32_e32 v120, v34
	v_dual_fmac_f32 v118, v119, v125 :: v_dual_add_nc_u32 v119, s2, v116
	s_add_co_i32 s8, s2, -7
	s_wait_dscnt 0x0
	s_delay_alu instid0(VALU_DEP_1) | instskip(NEXT) | instid1(VALU_DEP_2)
	v_fmac_f32_e32 v118, v114, v126
	v_cmp_eq_u32_e32 vcc_lo, 16, v119
	s_delay_alu instid0(VALU_DEP_2) | instskip(SKIP_1) | instid1(SALU_CYCLE_1)
	v_dual_mov_b32 v114, s8 :: v_dual_fmac_f32 v118, v120, v127
	s_or_b32 s6, vcc_lo, s6
	s_and_not1_b32 exec_lo, exec_lo, s6
	s_cbranch_execnz .LBB87_217
; %bb.218:
	s_or_b32 exec_lo, exec_lo, s6
.LBB87_219:
	s_delay_alu instid0(SALU_CYCLE_1) | instskip(SKIP_3) | instid1(VALU_DEP_1)
	s_or_b32 exec_lo, exec_lo, s1
	v_and_b32_e32 v58, 7, v115
	s_mov_b32 s2, 0
	s_mov_b32 s1, exec_lo
	v_cmpx_ne_u32_e32 0, v58
	s_cbranch_execz .LBB87_223
; %bb.220:
	v_lshl_add_u32 v59, v114, 2, 0x60
	v_mov_b32_e32 v115, 0
.LBB87_221:                             ; =>This Inner Loop Header: Depth=1
	v_cmp_eq_u32_e32 vcc_lo, 1, v114
	ds_load_b32 v61, v59
	v_dual_add_nc_u32 v58, -1, v58 :: v_dual_add_nc_u32 v59, 4, v59
	v_cndmask_b32_e32 v60, v34, v35, vcc_lo
	v_cmp_eq_u32_e32 vcc_lo, 2, v114
	s_delay_alu instid0(VALU_DEP_2) | instskip(SKIP_1) | instid1(VALU_DEP_2)
	v_cndmask_b32_e32 v60, v60, v36, vcc_lo
	v_cmp_eq_u32_e32 vcc_lo, 3, v114
	v_cndmask_b32_e32 v60, v60, v37, vcc_lo
	v_cmp_eq_u32_e32 vcc_lo, 4, v114
	s_delay_alu instid0(VALU_DEP_2) | instskip(SKIP_1) | instid1(VALU_DEP_2)
	v_cndmask_b32_e32 v60, v60, v38, vcc_lo
	v_cmp_eq_u32_e32 vcc_lo, 5, v114
	;; [unrolled: 5-line block ×10, first 2 shown]
	v_cndmask_b32_e32 v60, v60, v55, vcc_lo
	v_cmp_eq_u32_e32 vcc_lo, 22, v114
	s_delay_alu instid0(VALU_DEP_2) | instskip(SKIP_2) | instid1(VALU_DEP_3)
	v_cndmask_b32_e32 v60, v60, v56, vcc_lo
	v_cmp_eq_u32_e32 vcc_lo, 23, v114
	v_add_nc_u64_e32 v[114:115], 1, v[114:115]
	v_cndmask_b32_e32 v60, v60, v57, vcc_lo
	v_cmp_eq_u32_e32 vcc_lo, 0, v58
	s_wait_dscnt 0x0
	s_delay_alu instid0(VALU_DEP_2) | instskip(SKIP_1) | instid1(SALU_CYCLE_1)
	v_fmac_f32_e32 v118, v60, v61
	s_or_b32 s2, vcc_lo, s2
	s_and_not1_b32 exec_lo, exec_lo, s2
	s_cbranch_execnz .LBB87_221
; %bb.222:
	s_or_b32 exec_lo, exec_lo, s2
.LBB87_223:
	s_delay_alu instid0(SALU_CYCLE_1)
	s_or_b32 exec_lo, exec_lo, s1
.LBB87_224:
	s_delay_alu instid0(SALU_CYCLE_1)
	s_or_b32 exec_lo, exec_lo, s5
	v_mov_b32_e32 v42, 0
	ds_load_b32 v42, v42 offset:32
	s_wait_dscnt 0x0
	v_mul_f32_e32 v42, v118, v42
.LBB87_225:
	s_or_b32 exec_lo, exec_lo, s4
	v_cmp_lt_u32_e64 s1, 7, v0
	ds_store_b32 v117, v41
	s_wait_dscnt 0x0
	s_barrier_signal -1
	s_barrier_wait -1
	s_and_saveexec_b32 s4, s1
	s_cbranch_execz .LBB87_241
; %bb.226:
	s_and_not1_b32 vcc_lo, exec_lo, s28
	s_cbranch_vccnz .LBB87_228
; %bb.227:
	v_cmp_eq_u32_e32 vcc_lo, 1, v0
	ds_load_b32 v115, v117
	v_cndmask_b32_e32 v114, v34, v35, vcc_lo
	v_cmp_eq_u32_e32 vcc_lo, 2, v0
	s_delay_alu instid0(VALU_DEP_2) | instskip(SKIP_1) | instid1(VALU_DEP_2)
	v_cndmask_b32_e32 v114, v114, v36, vcc_lo
	v_cmp_eq_u32_e32 vcc_lo, 3, v0
	v_cndmask_b32_e32 v114, v114, v37, vcc_lo
	v_cmp_eq_u32_e32 vcc_lo, 4, v0
	s_delay_alu instid0(VALU_DEP_2) | instskip(SKIP_1) | instid1(VALU_DEP_2)
	v_cndmask_b32_e32 v114, v114, v38, vcc_lo
	v_cmp_eq_u32_e32 vcc_lo, 5, v0
	;; [unrolled: 5-line block ×11, first 2 shown]
	v_cndmask_b32_e32 v114, v114, v57, vcc_lo
	s_wait_dscnt 0x0
	s_delay_alu instid0(VALU_DEP_1)
	v_mul_f32_e32 v118, v114, v115
	s_cbranch_execz .LBB87_229
	s_branch .LBB87_230
.LBB87_228:
                                        ; implicit-def: $vgpr118
.LBB87_229:
	ds_load_b32 v118, v117
.LBB87_230:
	s_and_saveexec_b32 s5, s0
	s_cbranch_execz .LBB87_240
; %bb.231:
	v_add_nc_u32_e32 v114, -9, v0
	s_delay_alu instid0(VALU_DEP_1)
	v_cmp_lt_u32_e32 vcc_lo, 6, v114
	v_mov_b32_e32 v114, 8
	s_and_saveexec_b32 s0, vcc_lo
	s_cbranch_execz .LBB87_235
; %bb.232:
	v_and_b32_e32 v114, 24, v0
	s_mov_b32 s6, 0
	s_mov_b64 s[2:3], 15
	s_movk_i32 s7, 0x80
	s_delay_alu instid0(VALU_DEP_1)
	v_sub_nc_u32_e32 v116, 0, v114
.LBB87_233:                             ; =>This Inner Loop Header: Depth=1
	s_add_co_i32 m0, s2, -7
	v_movrels_b32_e32 v115, v34
	v_mov_b32_e32 v114, s7
	s_add_co_i32 m0, s2, -6
	s_add_co_i32 s7, s7, 32
	v_movrels_b32_e32 v119, v34
	s_add_co_i32 m0, s2, -5
	ds_load_b128 v[120:123], v114
	ds_load_b128 v[124:127], v114 offset:16
	v_movrels_b32_e32 v114, v34
	s_add_co_i32 m0, s2, -4
	s_wait_dscnt 0x1
	v_fmac_f32_e32 v118, v115, v120
	v_movrels_b32_e32 v115, v34
	s_add_co_i32 m0, s2, -3
	s_delay_alu instid0(VALU_DEP_2) | instskip(NEXT) | instid1(VALU_DEP_1)
	v_fmac_f32_e32 v118, v119, v121
	v_fmac_f32_e32 v118, v114, v122
	v_movrels_b32_e32 v114, v34
	s_add_co_i32 m0, s2, -2
	s_delay_alu instid0(VALU_DEP_2) | instskip(SKIP_3) | instid1(VALU_DEP_2)
	v_fmac_f32_e32 v118, v115, v123
	v_movrels_b32_e32 v115, v34
	s_add_co_i32 m0, s2, -1
	s_wait_dscnt 0x0
	v_fmac_f32_e32 v118, v114, v124
	v_movrels_b32_e32 v114, v34
	s_mov_b32 m0, s2
	s_add_nc_u64 s[2:3], s[2:3], 8
	v_movrels_b32_e32 v119, v34
	v_dual_fmac_f32 v118, v115, v125 :: v_dual_add_nc_u32 v115, s2, v116
	s_add_co_i32 s8, s2, -7
	s_delay_alu instid0(VALU_DEP_1) | instskip(NEXT) | instid1(VALU_DEP_2)
	v_fmac_f32_e32 v118, v114, v126
	v_cmp_eq_u32_e32 vcc_lo, 7, v115
	s_delay_alu instid0(VALU_DEP_2) | instskip(SKIP_1) | instid1(SALU_CYCLE_1)
	v_dual_mov_b32 v114, s8 :: v_dual_fmac_f32 v118, v119, v127
	s_or_b32 s6, vcc_lo, s6
	s_and_not1_b32 exec_lo, exec_lo, s6
	s_cbranch_execnz .LBB87_233
; %bb.234:
	s_or_b32 exec_lo, exec_lo, s6
.LBB87_235:
	s_delay_alu instid0(SALU_CYCLE_1) | instskip(SKIP_3) | instid1(VALU_DEP_1)
	s_or_b32 exec_lo, exec_lo, s0
	v_and_b32_e32 v58, 7, v0
	s_mov_b32 s2, 0
	s_mov_b32 s0, exec_lo
	v_cmpx_ne_u32_e32 0, v58
	s_cbranch_execz .LBB87_239
; %bb.236:
	v_lshl_add_u32 v59, v114, 2, 0x60
	v_mov_b32_e32 v115, 0
.LBB87_237:                             ; =>This Inner Loop Header: Depth=1
	v_cmp_eq_u32_e32 vcc_lo, 1, v114
	ds_load_b32 v61, v59
	v_dual_add_nc_u32 v58, -1, v58 :: v_dual_add_nc_u32 v59, 4, v59
	v_cndmask_b32_e32 v60, v34, v35, vcc_lo
	v_cmp_eq_u32_e32 vcc_lo, 2, v114
	s_delay_alu instid0(VALU_DEP_2) | instskip(SKIP_1) | instid1(VALU_DEP_2)
	v_cndmask_b32_e32 v60, v60, v36, vcc_lo
	v_cmp_eq_u32_e32 vcc_lo, 3, v114
	v_cndmask_b32_e32 v60, v60, v37, vcc_lo
	v_cmp_eq_u32_e32 vcc_lo, 4, v114
	s_delay_alu instid0(VALU_DEP_2) | instskip(SKIP_1) | instid1(VALU_DEP_2)
	v_cndmask_b32_e32 v60, v60, v38, vcc_lo
	v_cmp_eq_u32_e32 vcc_lo, 5, v114
	;; [unrolled: 5-line block ×10, first 2 shown]
	v_cndmask_b32_e32 v60, v60, v55, vcc_lo
	v_cmp_eq_u32_e32 vcc_lo, 22, v114
	s_delay_alu instid0(VALU_DEP_2) | instskip(SKIP_2) | instid1(VALU_DEP_3)
	v_cndmask_b32_e32 v60, v60, v56, vcc_lo
	v_cmp_eq_u32_e32 vcc_lo, 23, v114
	v_add_nc_u64_e32 v[114:115], 1, v[114:115]
	v_cndmask_b32_e32 v60, v60, v57, vcc_lo
	v_cmp_eq_u32_e32 vcc_lo, 0, v58
	s_wait_dscnt 0x0
	s_delay_alu instid0(VALU_DEP_2) | instskip(SKIP_1) | instid1(SALU_CYCLE_1)
	v_fmac_f32_e32 v118, v60, v61
	s_or_b32 s2, vcc_lo, s2
	s_and_not1_b32 exec_lo, exec_lo, s2
	s_cbranch_execnz .LBB87_237
; %bb.238:
	s_or_b32 exec_lo, exec_lo, s2
.LBB87_239:
	s_delay_alu instid0(SALU_CYCLE_1)
	s_or_b32 exec_lo, exec_lo, s0
.LBB87_240:
	s_delay_alu instid0(SALU_CYCLE_1)
	s_or_b32 exec_lo, exec_lo, s5
	v_mov_b32_e32 v41, 0
	ds_load_b32 v41, v41 offset:28
	s_wait_dscnt 0x0
	v_mul_f32_e32 v41, v118, v41
.LBB87_241:
	s_or_b32 exec_lo, exec_lo, s4
	v_cmp_lt_u32_e64 s0, 6, v0
	ds_store_b32 v117, v40
	s_wait_dscnt 0x0
	s_barrier_signal -1
	s_barrier_wait -1
	s_and_saveexec_b32 s4, s0
	s_cbranch_execz .LBB87_257
; %bb.242:
	s_and_not1_b32 vcc_lo, exec_lo, s28
	s_cbranch_vccnz .LBB87_244
; %bb.243:
	v_cmp_eq_u32_e32 vcc_lo, 1, v0
	ds_load_b32 v115, v117
	v_cndmask_b32_e32 v114, v34, v35, vcc_lo
	v_cmp_eq_u32_e32 vcc_lo, 2, v0
	s_delay_alu instid0(VALU_DEP_2) | instskip(SKIP_1) | instid1(VALU_DEP_2)
	v_cndmask_b32_e32 v114, v114, v36, vcc_lo
	v_cmp_eq_u32_e32 vcc_lo, 3, v0
	v_cndmask_b32_e32 v114, v114, v37, vcc_lo
	v_cmp_eq_u32_e32 vcc_lo, 4, v0
	s_delay_alu instid0(VALU_DEP_2) | instskip(SKIP_1) | instid1(VALU_DEP_2)
	v_cndmask_b32_e32 v114, v114, v38, vcc_lo
	v_cmp_eq_u32_e32 vcc_lo, 5, v0
	;; [unrolled: 5-line block ×11, first 2 shown]
	v_cndmask_b32_e32 v114, v114, v57, vcc_lo
	s_wait_dscnt 0x0
	s_delay_alu instid0(VALU_DEP_1)
	v_mul_f32_e32 v118, v114, v115
	s_cbranch_execz .LBB87_245
	s_branch .LBB87_246
.LBB87_244:
                                        ; implicit-def: $vgpr118
.LBB87_245:
	ds_load_b32 v118, v117
.LBB87_246:
	s_and_saveexec_b32 s5, s1
	s_cbranch_execz .LBB87_256
; %bb.247:
	v_dual_add_nc_u32 v114, -8, v0 :: v_dual_add_nc_u32 v115, -7, v0
	s_delay_alu instid0(VALU_DEP_1)
	v_cmp_lt_u32_e32 vcc_lo, 6, v114
	v_mov_b32_e32 v114, 7
	s_and_saveexec_b32 s1, vcc_lo
	s_cbranch_execz .LBB87_251
; %bb.248:
	v_and_b32_e32 v114, -8, v115
	s_mov_b32 s6, 0
	s_mov_b64 s[2:3], 14
	s_movk_i32 s7, 0x7c
	s_delay_alu instid0(VALU_DEP_1)
	v_sub_nc_u32_e32 v116, 0, v114
.LBB87_249:                             ; =>This Inner Loop Header: Depth=1
	s_add_co_i32 m0, s2, -7
	v_movrels_b32_e32 v119, v34
	v_mov_b32_e32 v114, s7
	s_add_co_i32 m0, s2, -6
	s_add_co_i32 s7, s7, 32
	v_movrels_b32_e32 v128, v34
	ds_load_2addr_b32 v[120:121], v114 offset1:1
	ds_load_2addr_b32 v[122:123], v114 offset0:2 offset1:3
	s_add_co_i32 m0, s2, -5
	s_wait_dscnt 0x1
	v_fmac_f32_e32 v118, v119, v120
	ds_load_2addr_b32 v[124:125], v114 offset0:4 offset1:5
	ds_load_2addr_b32 v[126:127], v114 offset0:6 offset1:7
	v_movrels_b32_e32 v114, v34
	s_add_co_i32 m0, s2, -4
	v_fmac_f32_e32 v118, v128, v121
	v_movrels_b32_e32 v119, v34
	s_add_co_i32 m0, s2, -3
	s_wait_dscnt 0x2
	s_delay_alu instid0(VALU_DEP_2) | instskip(SKIP_2) | instid1(VALU_DEP_2)
	v_fmac_f32_e32 v118, v114, v122
	v_movrels_b32_e32 v114, v34
	s_add_co_i32 m0, s2, -2
	v_fmac_f32_e32 v118, v119, v123
	v_movrels_b32_e32 v119, v34
	s_add_co_i32 m0, s2, -1
	s_wait_dscnt 0x1
	s_delay_alu instid0(VALU_DEP_2)
	v_fmac_f32_e32 v118, v114, v124
	v_movrels_b32_e32 v114, v34
	s_mov_b32 m0, s2
	s_add_nc_u64 s[2:3], s[2:3], 8
	v_movrels_b32_e32 v120, v34
	v_dual_fmac_f32 v118, v119, v125 :: v_dual_add_nc_u32 v119, s2, v116
	s_add_co_i32 s8, s2, -7
	s_wait_dscnt 0x0
	s_delay_alu instid0(VALU_DEP_1) | instskip(NEXT) | instid1(VALU_DEP_2)
	v_fmac_f32_e32 v118, v114, v126
	v_cmp_eq_u32_e32 vcc_lo, 14, v119
	s_delay_alu instid0(VALU_DEP_2) | instskip(SKIP_1) | instid1(SALU_CYCLE_1)
	v_dual_mov_b32 v114, s8 :: v_dual_fmac_f32 v118, v120, v127
	s_or_b32 s6, vcc_lo, s6
	s_and_not1_b32 exec_lo, exec_lo, s6
	s_cbranch_execnz .LBB87_249
; %bb.250:
	s_or_b32 exec_lo, exec_lo, s6
.LBB87_251:
	s_delay_alu instid0(SALU_CYCLE_1) | instskip(SKIP_3) | instid1(VALU_DEP_1)
	s_or_b32 exec_lo, exec_lo, s1
	v_and_b32_e32 v58, 7, v115
	s_mov_b32 s2, 0
	s_mov_b32 s1, exec_lo
	v_cmpx_ne_u32_e32 0, v58
	s_cbranch_execz .LBB87_255
; %bb.252:
	v_lshl_add_u32 v59, v114, 2, 0x60
	v_mov_b32_e32 v115, 0
.LBB87_253:                             ; =>This Inner Loop Header: Depth=1
	v_cmp_eq_u32_e32 vcc_lo, 1, v114
	ds_load_b32 v61, v59
	v_dual_add_nc_u32 v58, -1, v58 :: v_dual_add_nc_u32 v59, 4, v59
	v_cndmask_b32_e32 v60, v34, v35, vcc_lo
	v_cmp_eq_u32_e32 vcc_lo, 2, v114
	s_delay_alu instid0(VALU_DEP_2) | instskip(SKIP_1) | instid1(VALU_DEP_2)
	v_cndmask_b32_e32 v60, v60, v36, vcc_lo
	v_cmp_eq_u32_e32 vcc_lo, 3, v114
	v_cndmask_b32_e32 v60, v60, v37, vcc_lo
	v_cmp_eq_u32_e32 vcc_lo, 4, v114
	s_delay_alu instid0(VALU_DEP_2) | instskip(SKIP_1) | instid1(VALU_DEP_2)
	v_cndmask_b32_e32 v60, v60, v38, vcc_lo
	v_cmp_eq_u32_e32 vcc_lo, 5, v114
	;; [unrolled: 5-line block ×10, first 2 shown]
	v_cndmask_b32_e32 v60, v60, v55, vcc_lo
	v_cmp_eq_u32_e32 vcc_lo, 22, v114
	s_delay_alu instid0(VALU_DEP_2) | instskip(SKIP_2) | instid1(VALU_DEP_3)
	v_cndmask_b32_e32 v60, v60, v56, vcc_lo
	v_cmp_eq_u32_e32 vcc_lo, 23, v114
	v_add_nc_u64_e32 v[114:115], 1, v[114:115]
	v_cndmask_b32_e32 v60, v60, v57, vcc_lo
	v_cmp_eq_u32_e32 vcc_lo, 0, v58
	s_wait_dscnt 0x0
	s_delay_alu instid0(VALU_DEP_2) | instskip(SKIP_1) | instid1(SALU_CYCLE_1)
	v_fmac_f32_e32 v118, v60, v61
	s_or_b32 s2, vcc_lo, s2
	s_and_not1_b32 exec_lo, exec_lo, s2
	s_cbranch_execnz .LBB87_253
; %bb.254:
	s_or_b32 exec_lo, exec_lo, s2
.LBB87_255:
	s_delay_alu instid0(SALU_CYCLE_1)
	s_or_b32 exec_lo, exec_lo, s1
.LBB87_256:
	s_delay_alu instid0(SALU_CYCLE_1)
	s_or_b32 exec_lo, exec_lo, s5
	v_mov_b32_e32 v40, 0
	ds_load_b32 v40, v40 offset:24
	s_wait_dscnt 0x0
	v_mul_f32_e32 v40, v118, v40
.LBB87_257:
	s_or_b32 exec_lo, exec_lo, s4
	v_cmp_lt_u32_e64 s1, 5, v0
	ds_store_b32 v117, v39
	s_wait_dscnt 0x0
	s_barrier_signal -1
	s_barrier_wait -1
	s_and_saveexec_b32 s4, s1
	s_cbranch_execz .LBB87_273
; %bb.258:
	s_and_not1_b32 vcc_lo, exec_lo, s28
	s_cbranch_vccnz .LBB87_260
; %bb.259:
	v_cmp_eq_u32_e32 vcc_lo, 1, v0
	ds_load_b32 v115, v117
	v_cndmask_b32_e32 v114, v34, v35, vcc_lo
	v_cmp_eq_u32_e32 vcc_lo, 2, v0
	s_delay_alu instid0(VALU_DEP_2) | instskip(SKIP_1) | instid1(VALU_DEP_2)
	v_cndmask_b32_e32 v114, v114, v36, vcc_lo
	v_cmp_eq_u32_e32 vcc_lo, 3, v0
	v_cndmask_b32_e32 v114, v114, v37, vcc_lo
	v_cmp_eq_u32_e32 vcc_lo, 4, v0
	s_delay_alu instid0(VALU_DEP_2) | instskip(SKIP_1) | instid1(VALU_DEP_2)
	v_cndmask_b32_e32 v114, v114, v38, vcc_lo
	v_cmp_eq_u32_e32 vcc_lo, 5, v0
	;; [unrolled: 5-line block ×11, first 2 shown]
	v_cndmask_b32_e32 v114, v114, v57, vcc_lo
	s_wait_dscnt 0x0
	s_delay_alu instid0(VALU_DEP_1)
	v_mul_f32_e32 v118, v114, v115
	s_cbranch_execz .LBB87_261
	s_branch .LBB87_262
.LBB87_260:
                                        ; implicit-def: $vgpr118
.LBB87_261:
	ds_load_b32 v118, v117
.LBB87_262:
	s_and_saveexec_b32 s5, s0
	s_cbranch_execz .LBB87_272
; %bb.263:
	v_dual_add_nc_u32 v116, -7, v0 :: v_dual_add_nc_u32 v115, -6, v0
	v_mov_b32_e32 v114, 6
	s_mov_b32 s0, exec_lo
	s_delay_alu instid0(VALU_DEP_2)
	v_cmpx_lt_u32_e32 6, v116
	s_cbranch_execz .LBB87_267
; %bb.264:
	v_and_b32_e32 v114, -8, v115
	s_mov_b32 s6, 0
	s_mov_b64 s[2:3], 13
	s_movk_i32 s7, 0x78
	s_delay_alu instid0(VALU_DEP_1)
	v_sub_nc_u32_e32 v116, 0, v114
.LBB87_265:                             ; =>This Inner Loop Header: Depth=1
	s_add_co_i32 m0, s2, -7
	v_movrels_b32_e32 v119, v34
	v_mov_b32_e32 v114, s7
	s_add_co_i32 m0, s2, -6
	s_add_co_i32 s7, s7, 32
	v_movrels_b32_e32 v128, v34
	s_add_co_i32 m0, s2, -5
	ds_load_2addr_b64 v[120:123], v114 offset1:1
	ds_load_2addr_b64 v[124:127], v114 offset0:2 offset1:3
	v_movrels_b32_e32 v114, v34
	s_add_co_i32 m0, s2, -4
	s_wait_dscnt 0x1
	v_fmac_f32_e32 v118, v119, v120
	v_movrels_b32_e32 v119, v34
	s_add_co_i32 m0, s2, -3
	s_delay_alu instid0(VALU_DEP_2) | instskip(NEXT) | instid1(VALU_DEP_1)
	v_fmac_f32_e32 v118, v128, v121
	v_fmac_f32_e32 v118, v114, v122
	v_movrels_b32_e32 v114, v34
	s_add_co_i32 m0, s2, -2
	s_delay_alu instid0(VALU_DEP_2) | instskip(SKIP_3) | instid1(VALU_DEP_2)
	v_fmac_f32_e32 v118, v119, v123
	v_movrels_b32_e32 v119, v34
	s_add_co_i32 m0, s2, -1
	s_wait_dscnt 0x0
	v_fmac_f32_e32 v118, v114, v124
	v_movrels_b32_e32 v114, v34
	s_mov_b32 m0, s2
	s_add_nc_u64 s[2:3], s[2:3], 8
	v_movrels_b32_e32 v120, v34
	v_dual_fmac_f32 v118, v119, v125 :: v_dual_add_nc_u32 v119, s2, v116
	s_add_co_i32 s8, s2, -7
	s_delay_alu instid0(VALU_DEP_1) | instskip(NEXT) | instid1(VALU_DEP_2)
	v_fmac_f32_e32 v118, v114, v126
	v_cmp_eq_u32_e32 vcc_lo, 13, v119
	s_delay_alu instid0(VALU_DEP_2) | instskip(SKIP_1) | instid1(SALU_CYCLE_1)
	v_dual_mov_b32 v114, s8 :: v_dual_fmac_f32 v118, v120, v127
	s_or_b32 s6, vcc_lo, s6
	s_and_not1_b32 exec_lo, exec_lo, s6
	s_cbranch_execnz .LBB87_265
; %bb.266:
	s_or_b32 exec_lo, exec_lo, s6
.LBB87_267:
	s_delay_alu instid0(SALU_CYCLE_1) | instskip(SKIP_3) | instid1(VALU_DEP_1)
	s_or_b32 exec_lo, exec_lo, s0
	v_and_b32_e32 v58, 7, v115
	s_mov_b32 s2, 0
	s_mov_b32 s0, exec_lo
	v_cmpx_ne_u32_e32 0, v58
	s_cbranch_execz .LBB87_271
; %bb.268:
	v_lshl_add_u32 v59, v114, 2, 0x60
	v_mov_b32_e32 v115, 0
.LBB87_269:                             ; =>This Inner Loop Header: Depth=1
	v_cmp_eq_u32_e32 vcc_lo, 1, v114
	ds_load_b32 v61, v59
	v_dual_add_nc_u32 v58, -1, v58 :: v_dual_add_nc_u32 v59, 4, v59
	v_cndmask_b32_e32 v60, v34, v35, vcc_lo
	v_cmp_eq_u32_e32 vcc_lo, 2, v114
	s_delay_alu instid0(VALU_DEP_2) | instskip(SKIP_1) | instid1(VALU_DEP_2)
	v_cndmask_b32_e32 v60, v60, v36, vcc_lo
	v_cmp_eq_u32_e32 vcc_lo, 3, v114
	v_cndmask_b32_e32 v60, v60, v37, vcc_lo
	v_cmp_eq_u32_e32 vcc_lo, 4, v114
	s_delay_alu instid0(VALU_DEP_2) | instskip(SKIP_1) | instid1(VALU_DEP_2)
	v_cndmask_b32_e32 v60, v60, v38, vcc_lo
	v_cmp_eq_u32_e32 vcc_lo, 5, v114
	;; [unrolled: 5-line block ×10, first 2 shown]
	v_cndmask_b32_e32 v60, v60, v55, vcc_lo
	v_cmp_eq_u32_e32 vcc_lo, 22, v114
	s_delay_alu instid0(VALU_DEP_2) | instskip(SKIP_2) | instid1(VALU_DEP_3)
	v_cndmask_b32_e32 v60, v60, v56, vcc_lo
	v_cmp_eq_u32_e32 vcc_lo, 23, v114
	v_add_nc_u64_e32 v[114:115], 1, v[114:115]
	v_cndmask_b32_e32 v60, v60, v57, vcc_lo
	v_cmp_eq_u32_e32 vcc_lo, 0, v58
	s_wait_dscnt 0x0
	s_delay_alu instid0(VALU_DEP_2) | instskip(SKIP_1) | instid1(SALU_CYCLE_1)
	v_fmac_f32_e32 v118, v60, v61
	s_or_b32 s2, vcc_lo, s2
	s_and_not1_b32 exec_lo, exec_lo, s2
	s_cbranch_execnz .LBB87_269
; %bb.270:
	s_or_b32 exec_lo, exec_lo, s2
.LBB87_271:
	s_delay_alu instid0(SALU_CYCLE_1)
	s_or_b32 exec_lo, exec_lo, s0
.LBB87_272:
	s_delay_alu instid0(SALU_CYCLE_1)
	s_or_b32 exec_lo, exec_lo, s5
	v_mov_b32_e32 v39, 0
	ds_load_b32 v39, v39 offset:20
	s_wait_dscnt 0x0
	v_mul_f32_e32 v39, v118, v39
.LBB87_273:
	s_or_b32 exec_lo, exec_lo, s4
	v_cmp_lt_u32_e64 s0, 4, v0
	ds_store_b32 v117, v38
	s_wait_dscnt 0x0
	s_barrier_signal -1
	s_barrier_wait -1
	s_and_saveexec_b32 s4, s0
	s_cbranch_execz .LBB87_289
; %bb.274:
	s_and_not1_b32 vcc_lo, exec_lo, s28
	s_cbranch_vccnz .LBB87_276
; %bb.275:
	v_cmp_eq_u32_e32 vcc_lo, 1, v0
	ds_load_b32 v115, v117
	v_cndmask_b32_e32 v114, v34, v35, vcc_lo
	v_cmp_eq_u32_e32 vcc_lo, 2, v0
	s_delay_alu instid0(VALU_DEP_2) | instskip(SKIP_1) | instid1(VALU_DEP_2)
	v_cndmask_b32_e32 v114, v114, v36, vcc_lo
	v_cmp_eq_u32_e32 vcc_lo, 3, v0
	v_cndmask_b32_e32 v114, v114, v37, vcc_lo
	v_cmp_eq_u32_e32 vcc_lo, 4, v0
	s_delay_alu instid0(VALU_DEP_2) | instskip(SKIP_1) | instid1(VALU_DEP_2)
	v_cndmask_b32_e32 v114, v114, v38, vcc_lo
	v_cmp_eq_u32_e32 vcc_lo, 5, v0
	;; [unrolled: 5-line block ×11, first 2 shown]
	v_cndmask_b32_e32 v114, v114, v57, vcc_lo
	s_wait_dscnt 0x0
	s_delay_alu instid0(VALU_DEP_1)
	v_mul_f32_e32 v118, v114, v115
	s_cbranch_execz .LBB87_277
	s_branch .LBB87_278
.LBB87_276:
                                        ; implicit-def: $vgpr118
.LBB87_277:
	ds_load_b32 v118, v117
.LBB87_278:
	s_and_saveexec_b32 s5, s1
	s_cbranch_execz .LBB87_288
; %bb.279:
	v_dual_add_nc_u32 v114, -6, v0 :: v_dual_add_nc_u32 v115, -5, v0
	s_delay_alu instid0(VALU_DEP_1)
	v_cmp_lt_u32_e32 vcc_lo, 6, v114
	v_mov_b32_e32 v114, 5
	s_and_saveexec_b32 s1, vcc_lo
	s_cbranch_execz .LBB87_283
; %bb.280:
	v_and_b32_e32 v114, -8, v115
	s_mov_b32 s6, 0
	s_mov_b64 s[2:3], 12
	s_movk_i32 s7, 0x74
	s_delay_alu instid0(VALU_DEP_1)
	v_sub_nc_u32_e32 v116, 0, v114
.LBB87_281:                             ; =>This Inner Loop Header: Depth=1
	s_add_co_i32 m0, s2, -7
	v_movrels_b32_e32 v119, v34
	v_mov_b32_e32 v114, s7
	s_add_co_i32 m0, s2, -6
	s_add_co_i32 s7, s7, 32
	v_movrels_b32_e32 v128, v34
	ds_load_2addr_b32 v[120:121], v114 offset1:1
	ds_load_2addr_b32 v[122:123], v114 offset0:2 offset1:3
	s_add_co_i32 m0, s2, -5
	s_wait_dscnt 0x1
	v_fmac_f32_e32 v118, v119, v120
	ds_load_2addr_b32 v[124:125], v114 offset0:4 offset1:5
	ds_load_2addr_b32 v[126:127], v114 offset0:6 offset1:7
	v_movrels_b32_e32 v114, v34
	s_add_co_i32 m0, s2, -4
	v_fmac_f32_e32 v118, v128, v121
	v_movrels_b32_e32 v119, v34
	s_add_co_i32 m0, s2, -3
	s_wait_dscnt 0x2
	s_delay_alu instid0(VALU_DEP_2) | instskip(SKIP_2) | instid1(VALU_DEP_2)
	v_fmac_f32_e32 v118, v114, v122
	v_movrels_b32_e32 v114, v34
	s_add_co_i32 m0, s2, -2
	v_fmac_f32_e32 v118, v119, v123
	v_movrels_b32_e32 v119, v34
	s_add_co_i32 m0, s2, -1
	s_wait_dscnt 0x1
	s_delay_alu instid0(VALU_DEP_2)
	v_fmac_f32_e32 v118, v114, v124
	v_movrels_b32_e32 v114, v34
	s_mov_b32 m0, s2
	s_add_nc_u64 s[2:3], s[2:3], 8
	v_movrels_b32_e32 v120, v34
	v_dual_fmac_f32 v118, v119, v125 :: v_dual_add_nc_u32 v119, s2, v116
	s_add_co_i32 s8, s2, -7
	s_wait_dscnt 0x0
	s_delay_alu instid0(VALU_DEP_1) | instskip(NEXT) | instid1(VALU_DEP_2)
	v_fmac_f32_e32 v118, v114, v126
	v_cmp_eq_u32_e32 vcc_lo, 12, v119
	s_delay_alu instid0(VALU_DEP_2) | instskip(SKIP_1) | instid1(SALU_CYCLE_1)
	v_dual_mov_b32 v114, s8 :: v_dual_fmac_f32 v118, v120, v127
	s_or_b32 s6, vcc_lo, s6
	s_and_not1_b32 exec_lo, exec_lo, s6
	s_cbranch_execnz .LBB87_281
; %bb.282:
	s_or_b32 exec_lo, exec_lo, s6
.LBB87_283:
	s_delay_alu instid0(SALU_CYCLE_1) | instskip(SKIP_3) | instid1(VALU_DEP_1)
	s_or_b32 exec_lo, exec_lo, s1
	v_and_b32_e32 v58, 7, v115
	s_mov_b32 s2, 0
	s_mov_b32 s1, exec_lo
	v_cmpx_ne_u32_e32 0, v58
	s_cbranch_execz .LBB87_287
; %bb.284:
	v_lshl_add_u32 v59, v114, 2, 0x60
	v_mov_b32_e32 v115, 0
.LBB87_285:                             ; =>This Inner Loop Header: Depth=1
	v_cmp_eq_u32_e32 vcc_lo, 1, v114
	ds_load_b32 v61, v59
	v_dual_add_nc_u32 v58, -1, v58 :: v_dual_add_nc_u32 v59, 4, v59
	v_cndmask_b32_e32 v60, v34, v35, vcc_lo
	v_cmp_eq_u32_e32 vcc_lo, 2, v114
	s_delay_alu instid0(VALU_DEP_2) | instskip(SKIP_1) | instid1(VALU_DEP_2)
	v_cndmask_b32_e32 v60, v60, v36, vcc_lo
	v_cmp_eq_u32_e32 vcc_lo, 3, v114
	v_cndmask_b32_e32 v60, v60, v37, vcc_lo
	v_cmp_eq_u32_e32 vcc_lo, 4, v114
	s_delay_alu instid0(VALU_DEP_2) | instskip(SKIP_1) | instid1(VALU_DEP_2)
	v_cndmask_b32_e32 v60, v60, v38, vcc_lo
	v_cmp_eq_u32_e32 vcc_lo, 5, v114
	v_cndmask_b32_e32 v60, v60, v39, vcc_lo
	v_cmp_eq_u32_e32 vcc_lo, 6, v114
	s_delay_alu instid0(VALU_DEP_2) | instskip(SKIP_1) | instid1(VALU_DEP_2)
	v_cndmask_b32_e32 v60, v60, v40, vcc_lo
	v_cmp_eq_u32_e32 vcc_lo, 7, v114
	v_cndmask_b32_e32 v60, v60, v41, vcc_lo
	v_cmp_eq_u32_e32 vcc_lo, 8, v114
	s_delay_alu instid0(VALU_DEP_2) | instskip(SKIP_1) | instid1(VALU_DEP_2)
	v_cndmask_b32_e32 v60, v60, v42, vcc_lo
	v_cmp_eq_u32_e32 vcc_lo, 9, v114
	v_cndmask_b32_e32 v60, v60, v43, vcc_lo
	v_cmp_eq_u32_e32 vcc_lo, 10, v114
	s_delay_alu instid0(VALU_DEP_2) | instskip(SKIP_1) | instid1(VALU_DEP_2)
	v_cndmask_b32_e32 v60, v60, v44, vcc_lo
	v_cmp_eq_u32_e32 vcc_lo, 11, v114
	v_cndmask_b32_e32 v60, v60, v45, vcc_lo
	v_cmp_eq_u32_e32 vcc_lo, 12, v114
	s_delay_alu instid0(VALU_DEP_2) | instskip(SKIP_1) | instid1(VALU_DEP_2)
	v_cndmask_b32_e32 v60, v60, v46, vcc_lo
	v_cmp_eq_u32_e32 vcc_lo, 13, v114
	v_cndmask_b32_e32 v60, v60, v47, vcc_lo
	v_cmp_eq_u32_e32 vcc_lo, 14, v114
	s_delay_alu instid0(VALU_DEP_2) | instskip(SKIP_1) | instid1(VALU_DEP_2)
	v_cndmask_b32_e32 v60, v60, v48, vcc_lo
	v_cmp_eq_u32_e32 vcc_lo, 15, v114
	v_cndmask_b32_e32 v60, v60, v49, vcc_lo
	v_cmp_eq_u32_e32 vcc_lo, 16, v114
	s_delay_alu instid0(VALU_DEP_2) | instskip(SKIP_1) | instid1(VALU_DEP_2)
	v_cndmask_b32_e32 v60, v60, v50, vcc_lo
	v_cmp_eq_u32_e32 vcc_lo, 17, v114
	v_cndmask_b32_e32 v60, v60, v51, vcc_lo
	v_cmp_eq_u32_e32 vcc_lo, 18, v114
	s_delay_alu instid0(VALU_DEP_2) | instskip(SKIP_1) | instid1(VALU_DEP_2)
	v_cndmask_b32_e32 v60, v60, v52, vcc_lo
	v_cmp_eq_u32_e32 vcc_lo, 19, v114
	v_cndmask_b32_e32 v60, v60, v53, vcc_lo
	v_cmp_eq_u32_e32 vcc_lo, 20, v114
	s_delay_alu instid0(VALU_DEP_2) | instskip(SKIP_1) | instid1(VALU_DEP_2)
	v_cndmask_b32_e32 v60, v60, v54, vcc_lo
	v_cmp_eq_u32_e32 vcc_lo, 21, v114
	v_cndmask_b32_e32 v60, v60, v55, vcc_lo
	v_cmp_eq_u32_e32 vcc_lo, 22, v114
	s_delay_alu instid0(VALU_DEP_2) | instskip(SKIP_2) | instid1(VALU_DEP_3)
	v_cndmask_b32_e32 v60, v60, v56, vcc_lo
	v_cmp_eq_u32_e32 vcc_lo, 23, v114
	v_add_nc_u64_e32 v[114:115], 1, v[114:115]
	v_cndmask_b32_e32 v60, v60, v57, vcc_lo
	v_cmp_eq_u32_e32 vcc_lo, 0, v58
	s_wait_dscnt 0x0
	s_delay_alu instid0(VALU_DEP_2) | instskip(SKIP_1) | instid1(SALU_CYCLE_1)
	v_fmac_f32_e32 v118, v60, v61
	s_or_b32 s2, vcc_lo, s2
	s_and_not1_b32 exec_lo, exec_lo, s2
	s_cbranch_execnz .LBB87_285
; %bb.286:
	s_or_b32 exec_lo, exec_lo, s2
.LBB87_287:
	s_delay_alu instid0(SALU_CYCLE_1)
	s_or_b32 exec_lo, exec_lo, s1
.LBB87_288:
	s_delay_alu instid0(SALU_CYCLE_1)
	s_or_b32 exec_lo, exec_lo, s5
	v_mov_b32_e32 v38, 0
	ds_load_b32 v38, v38 offset:16
	s_wait_dscnt 0x0
	v_mul_f32_e32 v38, v118, v38
.LBB87_289:
	s_or_b32 exec_lo, exec_lo, s4
	v_cmp_lt_u32_e64 s1, 3, v0
	ds_store_b32 v117, v37
	s_wait_dscnt 0x0
	s_barrier_signal -1
	s_barrier_wait -1
	s_and_saveexec_b32 s4, s1
	s_cbranch_execz .LBB87_305
; %bb.290:
	s_and_not1_b32 vcc_lo, exec_lo, s28
	s_cbranch_vccnz .LBB87_292
; %bb.291:
	v_cmp_eq_u32_e32 vcc_lo, 1, v0
	ds_load_b32 v115, v117
	v_cndmask_b32_e32 v114, v34, v35, vcc_lo
	v_cmp_eq_u32_e32 vcc_lo, 2, v0
	s_delay_alu instid0(VALU_DEP_2) | instskip(SKIP_1) | instid1(VALU_DEP_2)
	v_cndmask_b32_e32 v114, v114, v36, vcc_lo
	v_cmp_eq_u32_e32 vcc_lo, 3, v0
	v_cndmask_b32_e32 v114, v114, v37, vcc_lo
	v_cmp_eq_u32_e32 vcc_lo, 4, v0
	s_delay_alu instid0(VALU_DEP_2) | instskip(SKIP_1) | instid1(VALU_DEP_2)
	v_cndmask_b32_e32 v114, v114, v38, vcc_lo
	v_cmp_eq_u32_e32 vcc_lo, 5, v0
	;; [unrolled: 5-line block ×11, first 2 shown]
	v_cndmask_b32_e32 v114, v114, v57, vcc_lo
	s_wait_dscnt 0x0
	s_delay_alu instid0(VALU_DEP_1)
	v_mul_f32_e32 v118, v114, v115
	s_cbranch_execz .LBB87_293
	s_branch .LBB87_294
.LBB87_292:
                                        ; implicit-def: $vgpr118
.LBB87_293:
	ds_load_b32 v118, v117
.LBB87_294:
	s_and_saveexec_b32 s5, s0
	s_cbranch_execz .LBB87_304
; %bb.295:
	v_dual_add_nc_u32 v114, -5, v0 :: v_dual_add_nc_u32 v115, -4, v0
	s_delay_alu instid0(VALU_DEP_1)
	v_cmp_lt_u32_e32 vcc_lo, 6, v114
	v_mov_b32_e32 v114, 4
	s_and_saveexec_b32 s0, vcc_lo
	s_cbranch_execz .LBB87_299
; %bb.296:
	v_and_b32_e32 v114, -8, v115
	s_mov_b32 s6, 0
	s_mov_b64 s[2:3], 5
	s_movk_i32 s7, 0x70
	s_delay_alu instid0(VALU_DEP_1)
	v_sub_nc_u32_e32 v116, 0, v114
.LBB87_297:                             ; =>This Inner Loop Header: Depth=1
	s_add_co_i32 m0, s2, -1
	v_movrels_b32_e32 v119, v34
	v_mov_b32_e32 v114, s7
	s_mov_b32 m0, s2
	s_add_co_i32 s7, s7, 32
	v_movrels_b32_e32 v128, v34
	s_add_co_i32 m0, s2, 1
	ds_load_b128 v[120:123], v114
	ds_load_b128 v[124:127], v114 offset:16
	v_movrels_b32_e32 v114, v34
	s_add_co_i32 m0, s2, 2
	s_wait_dscnt 0x1
	v_fmac_f32_e32 v118, v119, v120
	v_movrels_b32_e32 v119, v34
	s_add_co_i32 m0, s2, 3
	s_delay_alu instid0(VALU_DEP_2) | instskip(NEXT) | instid1(VALU_DEP_1)
	v_fmac_f32_e32 v118, v128, v121
	v_fmac_f32_e32 v118, v114, v122
	v_movrels_b32_e32 v114, v34
	s_add_co_i32 m0, s2, 4
	s_delay_alu instid0(VALU_DEP_2) | instskip(SKIP_3) | instid1(VALU_DEP_2)
	v_fmac_f32_e32 v118, v119, v123
	v_movrels_b32_e32 v119, v34
	s_add_co_i32 m0, s2, 5
	s_wait_dscnt 0x0
	v_fmac_f32_e32 v118, v114, v124
	v_movrels_b32_e32 v114, v34
	s_add_co_i32 m0, s2, 6
	s_add_nc_u64 s[2:3], s[2:3], 8
	v_movrels_b32_e32 v120, v34
	v_dual_fmac_f32 v118, v119, v125 :: v_dual_add_nc_u32 v119, s2, v116
	s_add_co_i32 s8, s2, -1
	s_delay_alu instid0(VALU_DEP_1) | instskip(NEXT) | instid1(VALU_DEP_2)
	v_fmac_f32_e32 v118, v114, v126
	v_cmp_eq_u32_e32 vcc_lo, 5, v119
	s_delay_alu instid0(VALU_DEP_2) | instskip(SKIP_1) | instid1(SALU_CYCLE_1)
	v_dual_mov_b32 v114, s8 :: v_dual_fmac_f32 v118, v120, v127
	s_or_b32 s6, vcc_lo, s6
	s_and_not1_b32 exec_lo, exec_lo, s6
	s_cbranch_execnz .LBB87_297
; %bb.298:
	s_or_b32 exec_lo, exec_lo, s6
.LBB87_299:
	s_delay_alu instid0(SALU_CYCLE_1) | instskip(SKIP_3) | instid1(VALU_DEP_1)
	s_or_b32 exec_lo, exec_lo, s0
	v_and_b32_e32 v58, 7, v115
	s_mov_b32 s2, 0
	s_mov_b32 s0, exec_lo
	v_cmpx_ne_u32_e32 0, v58
	s_cbranch_execz .LBB87_303
; %bb.300:
	v_lshl_add_u32 v59, v114, 2, 0x60
	v_mov_b32_e32 v115, 0
.LBB87_301:                             ; =>This Inner Loop Header: Depth=1
	v_cmp_eq_u32_e32 vcc_lo, 1, v114
	ds_load_b32 v61, v59
	v_dual_add_nc_u32 v58, -1, v58 :: v_dual_add_nc_u32 v59, 4, v59
	v_cndmask_b32_e32 v60, v34, v35, vcc_lo
	v_cmp_eq_u32_e32 vcc_lo, 2, v114
	s_delay_alu instid0(VALU_DEP_2) | instskip(SKIP_1) | instid1(VALU_DEP_2)
	v_cndmask_b32_e32 v60, v60, v36, vcc_lo
	v_cmp_eq_u32_e32 vcc_lo, 3, v114
	v_cndmask_b32_e32 v60, v60, v37, vcc_lo
	v_cmp_eq_u32_e32 vcc_lo, 4, v114
	s_delay_alu instid0(VALU_DEP_2) | instskip(SKIP_1) | instid1(VALU_DEP_2)
	v_cndmask_b32_e32 v60, v60, v38, vcc_lo
	v_cmp_eq_u32_e32 vcc_lo, 5, v114
	;; [unrolled: 5-line block ×10, first 2 shown]
	v_cndmask_b32_e32 v60, v60, v55, vcc_lo
	v_cmp_eq_u32_e32 vcc_lo, 22, v114
	s_delay_alu instid0(VALU_DEP_2) | instskip(SKIP_2) | instid1(VALU_DEP_3)
	v_cndmask_b32_e32 v60, v60, v56, vcc_lo
	v_cmp_eq_u32_e32 vcc_lo, 23, v114
	v_add_nc_u64_e32 v[114:115], 1, v[114:115]
	v_cndmask_b32_e32 v60, v60, v57, vcc_lo
	v_cmp_eq_u32_e32 vcc_lo, 0, v58
	s_wait_dscnt 0x0
	s_delay_alu instid0(VALU_DEP_2) | instskip(SKIP_1) | instid1(SALU_CYCLE_1)
	v_fmac_f32_e32 v118, v60, v61
	s_or_b32 s2, vcc_lo, s2
	s_and_not1_b32 exec_lo, exec_lo, s2
	s_cbranch_execnz .LBB87_301
; %bb.302:
	s_or_b32 exec_lo, exec_lo, s2
.LBB87_303:
	s_delay_alu instid0(SALU_CYCLE_1)
	s_or_b32 exec_lo, exec_lo, s0
.LBB87_304:
	s_delay_alu instid0(SALU_CYCLE_1)
	s_or_b32 exec_lo, exec_lo, s5
	v_mov_b32_e32 v37, 0
	ds_load_b32 v37, v37 offset:12
	s_wait_dscnt 0x0
	v_mul_f32_e32 v37, v118, v37
.LBB87_305:
	s_or_b32 exec_lo, exec_lo, s4
	v_cmp_lt_u32_e64 s0, 2, v0
	ds_store_b32 v117, v36
	s_wait_dscnt 0x0
	s_barrier_signal -1
	s_barrier_wait -1
	s_and_saveexec_b32 s4, s0
	s_cbranch_execz .LBB87_321
; %bb.306:
	s_and_not1_b32 vcc_lo, exec_lo, s28
	s_cbranch_vccnz .LBB87_308
; %bb.307:
	v_cmp_eq_u32_e32 vcc_lo, 1, v0
	ds_load_b32 v115, v117
	v_cndmask_b32_e32 v114, v34, v35, vcc_lo
	v_cmp_eq_u32_e32 vcc_lo, 2, v0
	s_delay_alu instid0(VALU_DEP_2) | instskip(SKIP_1) | instid1(VALU_DEP_2)
	v_cndmask_b32_e32 v114, v114, v36, vcc_lo
	v_cmp_eq_u32_e32 vcc_lo, 3, v0
	v_cndmask_b32_e32 v114, v114, v37, vcc_lo
	v_cmp_eq_u32_e32 vcc_lo, 4, v0
	s_delay_alu instid0(VALU_DEP_2) | instskip(SKIP_1) | instid1(VALU_DEP_2)
	v_cndmask_b32_e32 v114, v114, v38, vcc_lo
	v_cmp_eq_u32_e32 vcc_lo, 5, v0
	;; [unrolled: 5-line block ×11, first 2 shown]
	v_cndmask_b32_e32 v114, v114, v57, vcc_lo
	s_wait_dscnt 0x0
	s_delay_alu instid0(VALU_DEP_1)
	v_mul_f32_e32 v118, v114, v115
	s_cbranch_execz .LBB87_309
	s_branch .LBB87_310
.LBB87_308:
                                        ; implicit-def: $vgpr118
.LBB87_309:
	ds_load_b32 v118, v117
.LBB87_310:
	s_and_saveexec_b32 s5, s1
	s_cbranch_execz .LBB87_320
; %bb.311:
	v_dual_add_nc_u32 v114, -4, v0 :: v_dual_add_nc_u32 v115, -3, v0
	s_delay_alu instid0(VALU_DEP_1)
	v_cmp_lt_u32_e32 vcc_lo, 6, v114
	v_mov_b32_e32 v114, 3
	s_and_saveexec_b32 s1, vcc_lo
	s_cbranch_execz .LBB87_315
; %bb.312:
	v_and_b32_e32 v114, -8, v115
	s_mov_b32 s6, 0
	s_mov_b64 s[2:3], 10
	s_movk_i32 s7, 0x6c
	s_delay_alu instid0(VALU_DEP_1)
	v_sub_nc_u32_e32 v116, 0, v114
.LBB87_313:                             ; =>This Inner Loop Header: Depth=1
	s_add_co_i32 m0, s2, -7
	v_movrels_b32_e32 v119, v34
	v_mov_b32_e32 v114, s7
	s_add_co_i32 m0, s2, -6
	s_add_co_i32 s7, s7, 32
	v_movrels_b32_e32 v128, v34
	ds_load_2addr_b32 v[120:121], v114 offset1:1
	ds_load_2addr_b32 v[122:123], v114 offset0:2 offset1:3
	s_add_co_i32 m0, s2, -5
	s_wait_dscnt 0x1
	v_fmac_f32_e32 v118, v119, v120
	ds_load_2addr_b32 v[124:125], v114 offset0:4 offset1:5
	ds_load_2addr_b32 v[126:127], v114 offset0:6 offset1:7
	v_movrels_b32_e32 v114, v34
	s_add_co_i32 m0, s2, -4
	v_fmac_f32_e32 v118, v128, v121
	v_movrels_b32_e32 v119, v34
	s_add_co_i32 m0, s2, -3
	s_wait_dscnt 0x2
	s_delay_alu instid0(VALU_DEP_2) | instskip(SKIP_2) | instid1(VALU_DEP_2)
	v_fmac_f32_e32 v118, v114, v122
	v_movrels_b32_e32 v114, v34
	s_add_co_i32 m0, s2, -2
	v_fmac_f32_e32 v118, v119, v123
	v_movrels_b32_e32 v119, v34
	s_add_co_i32 m0, s2, -1
	s_wait_dscnt 0x1
	s_delay_alu instid0(VALU_DEP_2)
	v_fmac_f32_e32 v118, v114, v124
	v_movrels_b32_e32 v114, v34
	s_mov_b32 m0, s2
	s_add_nc_u64 s[2:3], s[2:3], 8
	v_movrels_b32_e32 v120, v34
	v_dual_fmac_f32 v118, v119, v125 :: v_dual_add_nc_u32 v119, s2, v116
	s_add_co_i32 s8, s2, -7
	s_wait_dscnt 0x0
	s_delay_alu instid0(VALU_DEP_1) | instskip(NEXT) | instid1(VALU_DEP_2)
	v_fmac_f32_e32 v118, v114, v126
	v_cmp_eq_u32_e32 vcc_lo, 10, v119
	s_delay_alu instid0(VALU_DEP_2) | instskip(SKIP_1) | instid1(SALU_CYCLE_1)
	v_dual_mov_b32 v114, s8 :: v_dual_fmac_f32 v118, v120, v127
	s_or_b32 s6, vcc_lo, s6
	s_and_not1_b32 exec_lo, exec_lo, s6
	s_cbranch_execnz .LBB87_313
; %bb.314:
	s_or_b32 exec_lo, exec_lo, s6
.LBB87_315:
	s_delay_alu instid0(SALU_CYCLE_1) | instskip(SKIP_3) | instid1(VALU_DEP_1)
	s_or_b32 exec_lo, exec_lo, s1
	v_and_b32_e32 v58, 7, v115
	s_mov_b32 s2, 0
	s_mov_b32 s1, exec_lo
	v_cmpx_ne_u32_e32 0, v58
	s_cbranch_execz .LBB87_319
; %bb.316:
	v_lshl_add_u32 v59, v114, 2, 0x60
	v_mov_b32_e32 v115, 0
.LBB87_317:                             ; =>This Inner Loop Header: Depth=1
	v_cmp_eq_u32_e32 vcc_lo, 1, v114
	ds_load_b32 v61, v59
	v_dual_add_nc_u32 v58, -1, v58 :: v_dual_add_nc_u32 v59, 4, v59
	v_cndmask_b32_e32 v60, v34, v35, vcc_lo
	v_cmp_eq_u32_e32 vcc_lo, 2, v114
	s_delay_alu instid0(VALU_DEP_2) | instskip(SKIP_1) | instid1(VALU_DEP_2)
	v_cndmask_b32_e32 v60, v60, v36, vcc_lo
	v_cmp_eq_u32_e32 vcc_lo, 3, v114
	v_cndmask_b32_e32 v60, v60, v37, vcc_lo
	v_cmp_eq_u32_e32 vcc_lo, 4, v114
	s_delay_alu instid0(VALU_DEP_2) | instskip(SKIP_1) | instid1(VALU_DEP_2)
	v_cndmask_b32_e32 v60, v60, v38, vcc_lo
	v_cmp_eq_u32_e32 vcc_lo, 5, v114
	;; [unrolled: 5-line block ×10, first 2 shown]
	v_cndmask_b32_e32 v60, v60, v55, vcc_lo
	v_cmp_eq_u32_e32 vcc_lo, 22, v114
	s_delay_alu instid0(VALU_DEP_2) | instskip(SKIP_2) | instid1(VALU_DEP_3)
	v_cndmask_b32_e32 v60, v60, v56, vcc_lo
	v_cmp_eq_u32_e32 vcc_lo, 23, v114
	v_add_nc_u64_e32 v[114:115], 1, v[114:115]
	v_cndmask_b32_e32 v60, v60, v57, vcc_lo
	v_cmp_eq_u32_e32 vcc_lo, 0, v58
	s_wait_dscnt 0x0
	s_delay_alu instid0(VALU_DEP_2) | instskip(SKIP_1) | instid1(SALU_CYCLE_1)
	v_fmac_f32_e32 v118, v60, v61
	s_or_b32 s2, vcc_lo, s2
	s_and_not1_b32 exec_lo, exec_lo, s2
	s_cbranch_execnz .LBB87_317
; %bb.318:
	s_or_b32 exec_lo, exec_lo, s2
.LBB87_319:
	s_delay_alu instid0(SALU_CYCLE_1)
	s_or_b32 exec_lo, exec_lo, s1
.LBB87_320:
	s_delay_alu instid0(SALU_CYCLE_1)
	s_or_b32 exec_lo, exec_lo, s5
	v_mov_b32_e32 v36, 0
	ds_load_b32 v36, v36 offset:8
	s_wait_dscnt 0x0
	v_mul_f32_e32 v36, v118, v36
.LBB87_321:
	s_or_b32 exec_lo, exec_lo, s4
	v_cmp_lt_u32_e64 s1, 1, v0
	ds_store_b32 v117, v35
	s_wait_dscnt 0x0
	s_barrier_signal -1
	s_barrier_wait -1
	s_and_saveexec_b32 s4, s1
	s_cbranch_execz .LBB87_337
; %bb.322:
	s_and_not1_b32 vcc_lo, exec_lo, s28
	s_cbranch_vccnz .LBB87_324
; %bb.323:
	v_cmp_eq_u32_e32 vcc_lo, 1, v0
	ds_load_b32 v115, v117
	v_cndmask_b32_e32 v114, v34, v35, vcc_lo
	v_cmp_eq_u32_e32 vcc_lo, 2, v0
	s_delay_alu instid0(VALU_DEP_2) | instskip(SKIP_1) | instid1(VALU_DEP_2)
	v_cndmask_b32_e32 v114, v114, v36, vcc_lo
	v_cmp_eq_u32_e32 vcc_lo, 3, v0
	v_cndmask_b32_e32 v114, v114, v37, vcc_lo
	v_cmp_eq_u32_e32 vcc_lo, 4, v0
	s_delay_alu instid0(VALU_DEP_2) | instskip(SKIP_1) | instid1(VALU_DEP_2)
	v_cndmask_b32_e32 v114, v114, v38, vcc_lo
	v_cmp_eq_u32_e32 vcc_lo, 5, v0
	;; [unrolled: 5-line block ×11, first 2 shown]
	v_cndmask_b32_e32 v114, v114, v57, vcc_lo
	s_wait_dscnt 0x0
	s_delay_alu instid0(VALU_DEP_1)
	v_mul_f32_e32 v118, v114, v115
	s_cbranch_execz .LBB87_325
	s_branch .LBB87_326
.LBB87_324:
                                        ; implicit-def: $vgpr118
.LBB87_325:
	ds_load_b32 v118, v117
.LBB87_326:
	s_and_saveexec_b32 s5, s0
	s_cbranch_execz .LBB87_336
; %bb.327:
	v_dual_add_nc_u32 v114, -3, v0 :: v_dual_add_nc_u32 v115, -2, v0
	s_delay_alu instid0(VALU_DEP_1)
	v_cmp_lt_u32_e32 vcc_lo, 6, v114
	v_mov_b32_e32 v114, 2
	s_and_saveexec_b32 s0, vcc_lo
	s_cbranch_execz .LBB87_331
; %bb.328:
	v_and_b32_e32 v114, -8, v115
	s_mov_b32 s6, 0
	s_mov_b64 s[2:3], 9
	s_movk_i32 s7, 0x68
	s_delay_alu instid0(VALU_DEP_1)
	v_sub_nc_u32_e32 v116, 0, v114
.LBB87_329:                             ; =>This Inner Loop Header: Depth=1
	s_add_co_i32 m0, s2, -7
	v_movrels_b32_e32 v119, v34
	v_mov_b32_e32 v114, s7
	s_add_co_i32 m0, s2, -6
	s_add_co_i32 s7, s7, 32
	v_movrels_b32_e32 v128, v34
	s_add_co_i32 m0, s2, -5
	ds_load_2addr_b64 v[120:123], v114 offset1:1
	ds_load_2addr_b64 v[124:127], v114 offset0:2 offset1:3
	v_movrels_b32_e32 v114, v34
	s_add_co_i32 m0, s2, -4
	s_wait_dscnt 0x1
	v_fmac_f32_e32 v118, v119, v120
	v_movrels_b32_e32 v119, v34
	s_add_co_i32 m0, s2, -3
	s_delay_alu instid0(VALU_DEP_2) | instskip(NEXT) | instid1(VALU_DEP_1)
	v_fmac_f32_e32 v118, v128, v121
	v_fmac_f32_e32 v118, v114, v122
	v_movrels_b32_e32 v114, v34
	s_add_co_i32 m0, s2, -2
	s_delay_alu instid0(VALU_DEP_2) | instskip(SKIP_3) | instid1(VALU_DEP_2)
	v_fmac_f32_e32 v118, v119, v123
	v_movrels_b32_e32 v119, v34
	s_add_co_i32 m0, s2, -1
	s_wait_dscnt 0x0
	v_fmac_f32_e32 v118, v114, v124
	v_movrels_b32_e32 v114, v34
	s_mov_b32 m0, s2
	s_add_nc_u64 s[2:3], s[2:3], 8
	v_movrels_b32_e32 v120, v34
	v_dual_fmac_f32 v118, v119, v125 :: v_dual_add_nc_u32 v119, s2, v116
	s_add_co_i32 s8, s2, -7
	s_delay_alu instid0(VALU_DEP_1) | instskip(NEXT) | instid1(VALU_DEP_2)
	v_fmac_f32_e32 v118, v114, v126
	v_cmp_eq_u32_e32 vcc_lo, 9, v119
	s_delay_alu instid0(VALU_DEP_2) | instskip(SKIP_1) | instid1(SALU_CYCLE_1)
	v_dual_mov_b32 v114, s8 :: v_dual_fmac_f32 v118, v120, v127
	s_or_b32 s6, vcc_lo, s6
	s_and_not1_b32 exec_lo, exec_lo, s6
	s_cbranch_execnz .LBB87_329
; %bb.330:
	s_or_b32 exec_lo, exec_lo, s6
.LBB87_331:
	s_delay_alu instid0(SALU_CYCLE_1) | instskip(SKIP_3) | instid1(VALU_DEP_1)
	s_or_b32 exec_lo, exec_lo, s0
	v_and_b32_e32 v58, 7, v115
	s_mov_b32 s2, 0
	s_mov_b32 s0, exec_lo
	v_cmpx_ne_u32_e32 0, v58
	s_cbranch_execz .LBB87_335
; %bb.332:
	v_lshl_add_u32 v59, v114, 2, 0x60
	v_mov_b32_e32 v115, 0
.LBB87_333:                             ; =>This Inner Loop Header: Depth=1
	v_cmp_eq_u32_e32 vcc_lo, 1, v114
	ds_load_b32 v61, v59
	v_dual_add_nc_u32 v58, -1, v58 :: v_dual_add_nc_u32 v59, 4, v59
	v_cndmask_b32_e32 v60, v34, v35, vcc_lo
	v_cmp_eq_u32_e32 vcc_lo, 2, v114
	s_delay_alu instid0(VALU_DEP_2) | instskip(SKIP_1) | instid1(VALU_DEP_2)
	v_cndmask_b32_e32 v60, v60, v36, vcc_lo
	v_cmp_eq_u32_e32 vcc_lo, 3, v114
	v_cndmask_b32_e32 v60, v60, v37, vcc_lo
	v_cmp_eq_u32_e32 vcc_lo, 4, v114
	s_delay_alu instid0(VALU_DEP_2) | instskip(SKIP_1) | instid1(VALU_DEP_2)
	v_cndmask_b32_e32 v60, v60, v38, vcc_lo
	v_cmp_eq_u32_e32 vcc_lo, 5, v114
	;; [unrolled: 5-line block ×10, first 2 shown]
	v_cndmask_b32_e32 v60, v60, v55, vcc_lo
	v_cmp_eq_u32_e32 vcc_lo, 22, v114
	s_delay_alu instid0(VALU_DEP_2) | instskip(SKIP_2) | instid1(VALU_DEP_3)
	v_cndmask_b32_e32 v60, v60, v56, vcc_lo
	v_cmp_eq_u32_e32 vcc_lo, 23, v114
	v_add_nc_u64_e32 v[114:115], 1, v[114:115]
	v_cndmask_b32_e32 v60, v60, v57, vcc_lo
	v_cmp_eq_u32_e32 vcc_lo, 0, v58
	s_wait_dscnt 0x0
	s_delay_alu instid0(VALU_DEP_2) | instskip(SKIP_1) | instid1(SALU_CYCLE_1)
	v_fmac_f32_e32 v118, v60, v61
	s_or_b32 s2, vcc_lo, s2
	s_and_not1_b32 exec_lo, exec_lo, s2
	s_cbranch_execnz .LBB87_333
; %bb.334:
	s_or_b32 exec_lo, exec_lo, s2
.LBB87_335:
	s_delay_alu instid0(SALU_CYCLE_1)
	s_or_b32 exec_lo, exec_lo, s0
.LBB87_336:
	s_delay_alu instid0(SALU_CYCLE_1)
	s_or_b32 exec_lo, exec_lo, s5
	v_mov_b32_e32 v35, 0
	ds_load_b32 v35, v35 offset:4
	s_wait_dscnt 0x0
	v_mul_f32_e32 v35, v118, v35
.LBB87_337:
	s_or_b32 exec_lo, exec_lo, s4
	s_mov_b32 s2, 0
	s_mov_b32 s3, exec_lo
	ds_store_b32 v117, v34
	s_wait_dscnt 0x0
	s_barrier_signal -1
	s_barrier_wait -1
	v_cmpx_ne_u32_e32 0, v0
	s_cbranch_execz .LBB87_353
; %bb.338:
	s_and_not1_b32 vcc_lo, exec_lo, s28
	s_cbranch_vccnz .LBB87_340
; %bb.339:
	v_cmp_eq_u32_e32 vcc_lo, 1, v0
	ds_load_b32 v115, v117
	v_cndmask_b32_e32 v114, v34, v35, vcc_lo
	v_cmp_eq_u32_e32 vcc_lo, 2, v0
	s_delay_alu instid0(VALU_DEP_2) | instskip(SKIP_1) | instid1(VALU_DEP_2)
	v_cndmask_b32_e32 v114, v114, v36, vcc_lo
	v_cmp_eq_u32_e32 vcc_lo, 3, v0
	v_cndmask_b32_e32 v114, v114, v37, vcc_lo
	v_cmp_eq_u32_e32 vcc_lo, 4, v0
	s_delay_alu instid0(VALU_DEP_2) | instskip(SKIP_1) | instid1(VALU_DEP_2)
	v_cndmask_b32_e32 v114, v114, v38, vcc_lo
	v_cmp_eq_u32_e32 vcc_lo, 5, v0
	;; [unrolled: 5-line block ×11, first 2 shown]
	v_cndmask_b32_e32 v114, v114, v57, vcc_lo
	s_wait_dscnt 0x0
	s_delay_alu instid0(VALU_DEP_1)
	v_mul_f32_e32 v118, v114, v115
	s_cbranch_execz .LBB87_341
	s_branch .LBB87_342
.LBB87_340:
                                        ; implicit-def: $vgpr118
.LBB87_341:
	ds_load_b32 v118, v117
.LBB87_342:
	s_and_saveexec_b32 s4, s1
	s_cbranch_execz .LBB87_352
; %bb.343:
	v_dual_add_nc_u32 v114, -2, v0 :: v_dual_add_nc_u32 v115, -1, v0
	s_delay_alu instid0(VALU_DEP_1)
	v_cmp_lt_u32_e32 vcc_lo, 6, v114
	v_mov_b32_e32 v114, 1
	s_and_saveexec_b32 s5, vcc_lo
	s_cbranch_execz .LBB87_347
; %bb.344:
	v_and_b32_e32 v114, -8, v115
	s_mov_b32 s6, 0
	s_mov_b64 s[0:1], 8
	s_movk_i32 s7, 0x64
	s_delay_alu instid0(VALU_DEP_1)
	v_sub_nc_u32_e32 v116, 0, v114
.LBB87_345:                             ; =>This Inner Loop Header: Depth=1
	s_add_co_i32 m0, s0, -7
	v_movrels_b32_e32 v119, v34
	v_mov_b32_e32 v114, s7
	s_add_co_i32 m0, s0, -6
	s_add_co_i32 s7, s7, 32
	v_movrels_b32_e32 v128, v34
	ds_load_2addr_b32 v[120:121], v114 offset1:1
	ds_load_2addr_b32 v[122:123], v114 offset0:2 offset1:3
	s_add_co_i32 m0, s0, -5
	s_wait_dscnt 0x1
	v_fmac_f32_e32 v118, v119, v120
	ds_load_2addr_b32 v[124:125], v114 offset0:4 offset1:5
	ds_load_2addr_b32 v[126:127], v114 offset0:6 offset1:7
	v_movrels_b32_e32 v114, v34
	s_add_co_i32 m0, s0, -4
	v_fmac_f32_e32 v118, v128, v121
	v_movrels_b32_e32 v119, v34
	s_add_co_i32 m0, s0, -3
	s_wait_dscnt 0x2
	s_delay_alu instid0(VALU_DEP_2) | instskip(SKIP_2) | instid1(VALU_DEP_2)
	v_fmac_f32_e32 v118, v114, v122
	v_movrels_b32_e32 v114, v34
	s_add_co_i32 m0, s0, -2
	v_fmac_f32_e32 v118, v119, v123
	v_movrels_b32_e32 v119, v34
	s_add_co_i32 m0, s0, -1
	s_wait_dscnt 0x1
	s_delay_alu instid0(VALU_DEP_2)
	v_fmac_f32_e32 v118, v114, v124
	v_movrels_b32_e32 v114, v34
	s_mov_b32 m0, s0
	s_add_nc_u64 s[0:1], s[0:1], 8
	v_movrels_b32_e32 v120, v34
	v_dual_fmac_f32 v118, v119, v125 :: v_dual_add_nc_u32 v119, s0, v116
	s_add_co_i32 s8, s0, -7
	s_wait_dscnt 0x0
	s_delay_alu instid0(VALU_DEP_1) | instskip(NEXT) | instid1(VALU_DEP_2)
	v_fmac_f32_e32 v118, v114, v126
	v_cmp_eq_u32_e32 vcc_lo, 8, v119
	s_delay_alu instid0(VALU_DEP_2) | instskip(SKIP_1) | instid1(SALU_CYCLE_1)
	v_dual_mov_b32 v114, s8 :: v_dual_fmac_f32 v118, v120, v127
	s_or_b32 s6, vcc_lo, s6
	s_and_not1_b32 exec_lo, exec_lo, s6
	s_cbranch_execnz .LBB87_345
; %bb.346:
	s_or_b32 exec_lo, exec_lo, s6
.LBB87_347:
	s_delay_alu instid0(SALU_CYCLE_1) | instskip(SKIP_3) | instid1(VALU_DEP_1)
	s_or_b32 exec_lo, exec_lo, s5
	v_and_b32_e32 v58, 7, v115
	s_mov_b32 s1, 0
	s_mov_b32 s0, exec_lo
	v_cmpx_ne_u32_e32 0, v58
	s_cbranch_execz .LBB87_351
; %bb.348:
	v_lshl_add_u32 v59, v114, 2, 0x60
	v_mov_b32_e32 v115, 0
.LBB87_349:                             ; =>This Inner Loop Header: Depth=1
	v_cmp_eq_u32_e32 vcc_lo, 1, v114
	ds_load_b32 v61, v59
	v_dual_add_nc_u32 v58, -1, v58 :: v_dual_add_nc_u32 v59, 4, v59
	v_cndmask_b32_e32 v60, v34, v35, vcc_lo
	v_cmp_eq_u32_e32 vcc_lo, 2, v114
	s_delay_alu instid0(VALU_DEP_2) | instskip(SKIP_1) | instid1(VALU_DEP_2)
	v_cndmask_b32_e32 v60, v60, v36, vcc_lo
	v_cmp_eq_u32_e32 vcc_lo, 3, v114
	v_cndmask_b32_e32 v60, v60, v37, vcc_lo
	v_cmp_eq_u32_e32 vcc_lo, 4, v114
	s_delay_alu instid0(VALU_DEP_2) | instskip(SKIP_1) | instid1(VALU_DEP_2)
	v_cndmask_b32_e32 v60, v60, v38, vcc_lo
	v_cmp_eq_u32_e32 vcc_lo, 5, v114
	;; [unrolled: 5-line block ×10, first 2 shown]
	v_cndmask_b32_e32 v60, v60, v55, vcc_lo
	v_cmp_eq_u32_e32 vcc_lo, 22, v114
	s_delay_alu instid0(VALU_DEP_2) | instskip(SKIP_2) | instid1(VALU_DEP_3)
	v_cndmask_b32_e32 v60, v60, v56, vcc_lo
	v_cmp_eq_u32_e32 vcc_lo, 23, v114
	v_add_nc_u64_e32 v[114:115], 1, v[114:115]
	v_cndmask_b32_e32 v60, v60, v57, vcc_lo
	v_cmp_eq_u32_e32 vcc_lo, 0, v58
	s_wait_dscnt 0x0
	s_delay_alu instid0(VALU_DEP_2) | instskip(SKIP_1) | instid1(SALU_CYCLE_1)
	v_fmac_f32_e32 v118, v60, v61
	s_or_b32 s1, vcc_lo, s1
	s_and_not1_b32 exec_lo, exec_lo, s1
	s_cbranch_execnz .LBB87_349
; %bb.350:
	s_or_b32 exec_lo, exec_lo, s1
.LBB87_351:
	s_delay_alu instid0(SALU_CYCLE_1)
	s_or_b32 exec_lo, exec_lo, s0
.LBB87_352:
	s_delay_alu instid0(SALU_CYCLE_1)
	s_or_b32 exec_lo, exec_lo, s4
	v_mov_b32_e32 v34, 0
	ds_load_b32 v34, v34
	s_wait_dscnt 0x0
	v_mul_f32_e32 v34, v118, v34
.LBB87_353:
	s_or_b32 exec_lo, exec_lo, s3
	s_delay_alu instid0(SALU_CYCLE_1)
	s_and_b32 vcc_lo, exec_lo, s2
	s_cbranch_vccz .LBB87_587
.LBB87_354:
	v_cmp_eq_u32_e64 s0, 0, v0
	s_wait_loadcnt_dscnt 0x1718
	ds_store_b32 v117, v3
	s_wait_loadcnt_dscnt 0x0
	s_barrier_signal -1
	s_barrier_wait -1
	s_and_saveexec_b32 s1, s0
	s_cbranch_execz .LBB87_360
; %bb.355:
	s_and_b32 vcc_lo, exec_lo, s28
	s_cbranch_vccz .LBB87_357
; %bb.356:
	v_cmp_eq_u32_e32 vcc_lo, 1, v0
	ds_load_b32 v26, v117
	v_cndmask_b32_e32 v3, v2, v3, vcc_lo
	v_cmp_eq_u32_e32 vcc_lo, 2, v0
	s_delay_alu instid0(VALU_DEP_2) | instskip(SKIP_1) | instid1(VALU_DEP_2)
	v_cndmask_b32_e32 v3, v3, v4, vcc_lo
	v_cmp_eq_u32_e32 vcc_lo, 3, v0
	v_cndmask_b32_e32 v3, v3, v5, vcc_lo
	v_cmp_eq_u32_e32 vcc_lo, 4, v0
	s_delay_alu instid0(VALU_DEP_2) | instskip(SKIP_1) | instid1(VALU_DEP_2)
	v_cndmask_b32_e32 v3, v3, v6, vcc_lo
	v_cmp_eq_u32_e32 vcc_lo, 5, v0
	;; [unrolled: 5-line block ×11, first 2 shown]
	v_cndmask_b32_e32 v3, v3, v25, vcc_lo
	s_wait_dscnt 0x0
	s_delay_alu instid0(VALU_DEP_1)
	v_mul_f32_e32 v3, v3, v26
	s_cbranch_execz .LBB87_358
	s_branch .LBB87_359
.LBB87_357:
                                        ; implicit-def: $vgpr3
.LBB87_358:
	ds_load_b32 v3, v117
.LBB87_359:
	v_mov_b32_e32 v26, 0
	ds_load_b32 v26, v26 offset:4
	s_wait_dscnt 0x0
	v_mul_f32_e32 v3, v3, v26
.LBB87_360:
	s_or_b32 exec_lo, exec_lo, s1
	v_cndmask_b32_e64 v34, 0, 1, s28
	s_mov_b32 s1, exec_lo
	ds_store_b32 v117, v4
	s_wait_dscnt 0x0
	s_barrier_signal -1
	s_barrier_wait -1
	v_cmpx_gt_u32_e32 2, v0
	s_cbranch_execz .LBB87_366
; %bb.361:
	s_and_not1_b32 vcc_lo, exec_lo, s28
	s_cbranch_vccnz .LBB87_363
; %bb.362:
	v_cmp_eq_u32_e32 vcc_lo, 1, v0
	v_cndmask_b32_e32 v26, v2, v3, vcc_lo
	v_cmp_eq_u32_e32 vcc_lo, 2, v0
	s_delay_alu instid0(VALU_DEP_2) | instskip(SKIP_4) | instid1(VALU_DEP_2)
	v_cndmask_b32_e32 v4, v26, v4, vcc_lo
	v_cmp_eq_u32_e32 vcc_lo, 3, v0
	ds_load_b32 v26, v117
	v_cndmask_b32_e32 v4, v4, v5, vcc_lo
	v_cmp_eq_u32_e32 vcc_lo, 4, v0
	v_cndmask_b32_e32 v4, v4, v6, vcc_lo
	v_cmp_eq_u32_e32 vcc_lo, 5, v0
	s_delay_alu instid0(VALU_DEP_2) | instskip(SKIP_1) | instid1(VALU_DEP_2)
	v_cndmask_b32_e32 v4, v4, v7, vcc_lo
	v_cmp_eq_u32_e32 vcc_lo, 6, v0
	v_cndmask_b32_e32 v4, v4, v8, vcc_lo
	v_cmp_eq_u32_e32 vcc_lo, 7, v0
	s_delay_alu instid0(VALU_DEP_2) | instskip(SKIP_1) | instid1(VALU_DEP_2)
	;; [unrolled: 5-line block ×9, first 2 shown]
	v_cndmask_b32_e32 v4, v4, v23, vcc_lo
	v_cmp_eq_u32_e32 vcc_lo, 22, v0
	v_cndmask_b32_e32 v4, v4, v24, vcc_lo
	v_cmp_eq_u32_e32 vcc_lo, 23, v0
	s_delay_alu instid0(VALU_DEP_2) | instskip(SKIP_1) | instid1(VALU_DEP_1)
	v_cndmask_b32_e32 v4, v4, v25, vcc_lo
	s_wait_dscnt 0x0
	v_mul_f32_e32 v4, v4, v26
	s_cbranch_execz .LBB87_364
	s_branch .LBB87_365
.LBB87_363:
                                        ; implicit-def: $vgpr4
.LBB87_364:
	ds_load_b32 v4, v117
.LBB87_365:
	v_mov_b32_e32 v26, 0
	ds_load_2addr_b32 v[26:27], v26 offset0:2 offset1:25
	s_wait_dscnt 0x0
	v_fma_f32 v27, v3, v27, v4
	s_delay_alu instid0(VALU_DEP_1) | instskip(NEXT) | instid1(VALU_DEP_1)
	v_cndmask_b32_e64 v4, v4, v27, s0
	v_mul_f32_e32 v4, v4, v26
.LBB87_366:
	s_or_b32 exec_lo, exec_lo, s1
	v_add_nc_u32_e32 v35, 1, v0
	v_cmp_gt_u32_e64 s1, 3, v0
	ds_store_b32 v117, v5
	s_wait_dscnt 0x0
	s_barrier_signal -1
	s_barrier_wait -1
	s_and_saveexec_b32 s2, s1
	s_cbranch_execz .LBB87_374
; %bb.367:
	v_cmp_ne_u32_e32 vcc_lo, 1, v34
	s_cbranch_vccnz .LBB87_369
; %bb.368:
	v_cmp_eq_u32_e32 vcc_lo, 1, v0
	ds_load_b32 v27, v117
	v_cndmask_b32_e32 v26, v2, v3, vcc_lo
	v_cmp_eq_u32_e32 vcc_lo, 2, v0
	s_delay_alu instid0(VALU_DEP_2) | instskip(SKIP_1) | instid1(VALU_DEP_2)
	v_cndmask_b32_e32 v26, v26, v4, vcc_lo
	v_cmp_eq_u32_e32 vcc_lo, 3, v0
	v_cndmask_b32_e32 v26, v26, v5, vcc_lo
	v_cmp_eq_u32_e32 vcc_lo, 4, v0
	s_delay_alu instid0(VALU_DEP_2) | instskip(SKIP_1) | instid1(VALU_DEP_2)
	v_cndmask_b32_e32 v26, v26, v6, vcc_lo
	v_cmp_eq_u32_e32 vcc_lo, 5, v0
	;; [unrolled: 5-line block ×11, first 2 shown]
	v_cndmask_b32_e32 v26, v26, v25, vcc_lo
	s_wait_dscnt 0x0
	s_delay_alu instid0(VALU_DEP_1)
	v_mul_f32_e32 v26, v26, v27
	s_cbranch_execz .LBB87_370
	s_branch .LBB87_371
.LBB87_369:
                                        ; implicit-def: $vgpr26
.LBB87_370:
	ds_load_b32 v26, v117
.LBB87_371:
	s_mov_b32 s3, exec_lo
	v_cmpx_ne_u32_e32 2, v0
	s_cbranch_execz .LBB87_373
; %bb.372:
	v_cmp_eq_u32_e32 vcc_lo, 1, v35
	v_dual_mov_b32 v28, 0 :: v_dual_cndmask_b32 v27, v2, v3
	v_cmp_eq_u32_e32 vcc_lo, 2, v35
	ds_load_b32 v28, v28 offset:104
	v_cndmask_b32_e32 v27, v27, v4, vcc_lo
	v_cmp_eq_u32_e32 vcc_lo, 3, v35
	s_delay_alu instid0(VALU_DEP_2) | instskip(SKIP_4) | instid1(VALU_DEP_2)
	v_cndmask_b32_e32 v5, v27, v5, vcc_lo
	v_cmp_eq_u32_e32 vcc_lo, 4, v35
	ds_load_b32 v27, v117 offset:4
	v_cndmask_b32_e32 v5, v5, v6, vcc_lo
	v_cmp_eq_u32_e32 vcc_lo, 5, v35
	v_cndmask_b32_e32 v5, v5, v7, vcc_lo
	v_cmp_eq_u32_e32 vcc_lo, 6, v35
	s_delay_alu instid0(VALU_DEP_2) | instskip(SKIP_1) | instid1(VALU_DEP_2)
	v_cndmask_b32_e32 v5, v5, v8, vcc_lo
	v_cmp_eq_u32_e32 vcc_lo, 7, v35
	v_cndmask_b32_e32 v5, v5, v9, vcc_lo
	v_cmp_eq_u32_e32 vcc_lo, 8, v35
	s_delay_alu instid0(VALU_DEP_2) | instskip(SKIP_1) | instid1(VALU_DEP_2)
	v_cndmask_b32_e32 v5, v5, v10, vcc_lo
	v_cmp_eq_u32_e32 vcc_lo, 9, v35
	v_cndmask_b32_e32 v5, v5, v11, vcc_lo
	v_cmp_eq_u32_e32 vcc_lo, 10, v35
	s_delay_alu instid0(VALU_DEP_2) | instskip(SKIP_1) | instid1(VALU_DEP_2)
	v_cndmask_b32_e32 v5, v5, v12, vcc_lo
	v_cmp_eq_u32_e32 vcc_lo, 11, v35
	v_cndmask_b32_e32 v5, v5, v13, vcc_lo
	v_cmp_eq_u32_e32 vcc_lo, 12, v35
	s_delay_alu instid0(VALU_DEP_2) | instskip(SKIP_1) | instid1(VALU_DEP_2)
	v_cndmask_b32_e32 v5, v5, v14, vcc_lo
	v_cmp_eq_u32_e32 vcc_lo, 13, v35
	v_cndmask_b32_e32 v5, v5, v15, vcc_lo
	v_cmp_eq_u32_e32 vcc_lo, 14, v35
	s_delay_alu instid0(VALU_DEP_2) | instskip(SKIP_1) | instid1(VALU_DEP_2)
	v_cndmask_b32_e32 v5, v5, v16, vcc_lo
	v_cmp_eq_u32_e32 vcc_lo, 15, v35
	v_cndmask_b32_e32 v5, v5, v17, vcc_lo
	v_cmp_eq_u32_e32 vcc_lo, 16, v35
	s_delay_alu instid0(VALU_DEP_2) | instskip(SKIP_1) | instid1(VALU_DEP_2)
	v_cndmask_b32_e32 v5, v5, v18, vcc_lo
	v_cmp_eq_u32_e32 vcc_lo, 17, v35
	v_cndmask_b32_e32 v5, v5, v19, vcc_lo
	v_cmp_eq_u32_e32 vcc_lo, 18, v35
	s_delay_alu instid0(VALU_DEP_2) | instskip(SKIP_1) | instid1(VALU_DEP_2)
	v_cndmask_b32_e32 v5, v5, v20, vcc_lo
	v_cmp_eq_u32_e32 vcc_lo, 19, v35
	v_cndmask_b32_e32 v5, v5, v21, vcc_lo
	v_cmp_eq_u32_e32 vcc_lo, 20, v35
	s_delay_alu instid0(VALU_DEP_2) | instskip(SKIP_1) | instid1(VALU_DEP_2)
	v_cndmask_b32_e32 v5, v5, v22, vcc_lo
	v_cmp_eq_u32_e32 vcc_lo, 21, v35
	v_cndmask_b32_e32 v5, v5, v23, vcc_lo
	v_cmp_eq_u32_e32 vcc_lo, 22, v35
	s_delay_alu instid0(VALU_DEP_2) | instskip(SKIP_1) | instid1(VALU_DEP_2)
	v_cndmask_b32_e32 v5, v5, v24, vcc_lo
	v_cmp_eq_u32_e32 vcc_lo, 23, v35
	v_cndmask_b32_e32 v5, v5, v25, vcc_lo
	s_wait_dscnt 0x0
	s_delay_alu instid0(VALU_DEP_1) | instskip(NEXT) | instid1(VALU_DEP_1)
	v_fmac_f32_e32 v26, v5, v27
	v_fma_f32 v5, v4, v28, v26
	s_delay_alu instid0(VALU_DEP_1)
	v_cndmask_b32_e64 v26, v26, v5, s0
.LBB87_373:
	s_or_b32 exec_lo, exec_lo, s3
	v_mov_b32_e32 v5, 0
	ds_load_b32 v5, v5 offset:12
	s_wait_dscnt 0x0
	v_mul_f32_e32 v5, v26, v5
.LBB87_374:
	s_or_b32 exec_lo, exec_lo, s2
	s_delay_alu instid0(SALU_CYCLE_1)
	s_mov_b32 s2, exec_lo
	ds_store_b32 v117, v6
	s_wait_dscnt 0x0
	s_barrier_signal -1
	s_barrier_wait -1
	v_cmpx_gt_u32_e32 4, v0
	s_cbranch_execz .LBB87_384
; %bb.375:
	v_cmp_ne_u32_e32 vcc_lo, 1, v34
	s_cbranch_vccnz .LBB87_377
; %bb.376:
	v_cmp_eq_u32_e32 vcc_lo, 1, v0
	ds_load_b32 v27, v117
	v_cndmask_b32_e32 v26, v2, v3, vcc_lo
	v_cmp_eq_u32_e32 vcc_lo, 2, v0
	s_delay_alu instid0(VALU_DEP_2) | instskip(SKIP_1) | instid1(VALU_DEP_2)
	v_cndmask_b32_e32 v26, v26, v4, vcc_lo
	v_cmp_eq_u32_e32 vcc_lo, 3, v0
	v_cndmask_b32_e32 v26, v26, v5, vcc_lo
	v_cmp_eq_u32_e32 vcc_lo, 4, v0
	s_delay_alu instid0(VALU_DEP_2) | instskip(SKIP_1) | instid1(VALU_DEP_2)
	v_cndmask_b32_e32 v26, v26, v6, vcc_lo
	v_cmp_eq_u32_e32 vcc_lo, 5, v0
	;; [unrolled: 5-line block ×11, first 2 shown]
	v_cndmask_b32_e32 v26, v26, v25, vcc_lo
	s_wait_dscnt 0x0
	s_delay_alu instid0(VALU_DEP_1)
	v_mul_f32_e32 v28, v26, v27
	s_cbranch_execz .LBB87_378
	s_branch .LBB87_379
.LBB87_377:
                                        ; implicit-def: $vgpr28
.LBB87_378:
	ds_load_b32 v28, v117
.LBB87_379:
	s_mov_b32 s3, exec_lo
	v_cmpx_ne_u32_e32 3, v0
	s_cbranch_execz .LBB87_383
; %bb.380:
	v_mov_b64_e32 v[26:27], v[0:1]
	v_lshl_add_u32 v29, v0, 2, 0x64
	s_mov_b32 s4, 0
.LBB87_381:                             ; =>This Inner Loop Header: Depth=1
	s_delay_alu instid0(VALU_DEP_2)
	v_add_nc_u64_e32 v[26:27], 1, v[26:27]
	ds_load_b32 v31, v29
	v_add_nc_u32_e32 v29, 4, v29
	v_cmp_eq_u32_e32 vcc_lo, 1, v26
	v_cndmask_b32_e32 v30, v2, v3, vcc_lo
	v_cmp_eq_u32_e32 vcc_lo, 2, v26
	s_delay_alu instid0(VALU_DEP_2) | instskip(SKIP_1) | instid1(VALU_DEP_2)
	v_cndmask_b32_e32 v30, v30, v4, vcc_lo
	v_cmp_eq_u32_e32 vcc_lo, 3, v26
	v_cndmask_b32_e32 v30, v30, v5, vcc_lo
	v_cmp_eq_u32_e32 vcc_lo, 4, v26
	s_delay_alu instid0(VALU_DEP_2) | instskip(SKIP_1) | instid1(VALU_DEP_2)
	v_cndmask_b32_e32 v30, v30, v6, vcc_lo
	;; [unrolled: 5-line block ×11, first 2 shown]
	v_cmp_eq_u32_e32 vcc_lo, 23, v26
	v_cndmask_b32_e32 v30, v30, v25, vcc_lo
	v_cmp_lt_u32_e32 vcc_lo, 2, v26
	s_wait_dscnt 0x0
	s_delay_alu instid0(VALU_DEP_2) | instskip(SKIP_1) | instid1(SALU_CYCLE_1)
	v_fmac_f32_e32 v28, v30, v31
	s_or_b32 s4, vcc_lo, s4
	s_and_not1_b32 exec_lo, exec_lo, s4
	s_cbranch_execnz .LBB87_381
; %bb.382:
	s_or_b32 exec_lo, exec_lo, s4
.LBB87_383:
	s_delay_alu instid0(SALU_CYCLE_1)
	s_or_b32 exec_lo, exec_lo, s3
	v_mov_b32_e32 v6, 0
	ds_load_b32 v6, v6 offset:16
	s_wait_dscnt 0x0
	v_mul_f32_e32 v6, v28, v6
.LBB87_384:
	s_or_b32 exec_lo, exec_lo, s2
	v_cmp_gt_u32_e64 s2, 5, v0
	ds_store_b32 v117, v7
	s_wait_dscnt 0x0
	s_barrier_signal -1
	s_barrier_wait -1
	s_and_saveexec_b32 s3, s2
	s_cbranch_execz .LBB87_394
; %bb.385:
	v_cmp_ne_u32_e32 vcc_lo, 1, v34
	s_cbranch_vccnz .LBB87_387
; %bb.386:
	v_cmp_eq_u32_e32 vcc_lo, 1, v0
	ds_load_b32 v27, v117
	v_cndmask_b32_e32 v26, v2, v3, vcc_lo
	v_cmp_eq_u32_e32 vcc_lo, 2, v0
	s_delay_alu instid0(VALU_DEP_2) | instskip(SKIP_1) | instid1(VALU_DEP_2)
	v_cndmask_b32_e32 v26, v26, v4, vcc_lo
	v_cmp_eq_u32_e32 vcc_lo, 3, v0
	v_cndmask_b32_e32 v26, v26, v5, vcc_lo
	v_cmp_eq_u32_e32 vcc_lo, 4, v0
	s_delay_alu instid0(VALU_DEP_2) | instskip(SKIP_1) | instid1(VALU_DEP_2)
	v_cndmask_b32_e32 v26, v26, v6, vcc_lo
	v_cmp_eq_u32_e32 vcc_lo, 5, v0
	;; [unrolled: 5-line block ×11, first 2 shown]
	v_cndmask_b32_e32 v26, v26, v25, vcc_lo
	s_wait_dscnt 0x0
	s_delay_alu instid0(VALU_DEP_1)
	v_mul_f32_e32 v28, v26, v27
	s_cbranch_execz .LBB87_388
	s_branch .LBB87_389
.LBB87_387:
                                        ; implicit-def: $vgpr28
.LBB87_388:
	ds_load_b32 v28, v117
.LBB87_389:
	s_mov_b32 s4, exec_lo
	v_cmpx_ne_u32_e32 4, v0
	s_cbranch_execz .LBB87_393
; %bb.390:
	v_mov_b64_e32 v[26:27], v[0:1]
	v_lshl_add_u32 v29, v0, 2, 0x64
	s_mov_b32 s5, 0
.LBB87_391:                             ; =>This Inner Loop Header: Depth=1
	s_delay_alu instid0(VALU_DEP_2)
	v_add_nc_u64_e32 v[26:27], 1, v[26:27]
	ds_load_b32 v31, v29
	v_add_nc_u32_e32 v29, 4, v29
	v_cmp_eq_u32_e32 vcc_lo, 1, v26
	v_cndmask_b32_e32 v30, v2, v3, vcc_lo
	v_cmp_eq_u32_e32 vcc_lo, 2, v26
	s_delay_alu instid0(VALU_DEP_2) | instskip(SKIP_1) | instid1(VALU_DEP_2)
	v_cndmask_b32_e32 v30, v30, v4, vcc_lo
	v_cmp_eq_u32_e32 vcc_lo, 3, v26
	v_cndmask_b32_e32 v30, v30, v5, vcc_lo
	v_cmp_eq_u32_e32 vcc_lo, 4, v26
	s_delay_alu instid0(VALU_DEP_2) | instskip(SKIP_1) | instid1(VALU_DEP_2)
	v_cndmask_b32_e32 v30, v30, v6, vcc_lo
	;; [unrolled: 5-line block ×11, first 2 shown]
	v_cmp_eq_u32_e32 vcc_lo, 23, v26
	v_cndmask_b32_e32 v30, v30, v25, vcc_lo
	v_cmp_lt_u32_e32 vcc_lo, 3, v26
	s_wait_dscnt 0x0
	s_delay_alu instid0(VALU_DEP_2) | instskip(SKIP_1) | instid1(SALU_CYCLE_1)
	v_fmac_f32_e32 v28, v30, v31
	s_or_b32 s5, vcc_lo, s5
	s_and_not1_b32 exec_lo, exec_lo, s5
	s_cbranch_execnz .LBB87_391
; %bb.392:
	s_or_b32 exec_lo, exec_lo, s5
.LBB87_393:
	s_delay_alu instid0(SALU_CYCLE_1)
	s_or_b32 exec_lo, exec_lo, s4
	v_mov_b32_e32 v7, 0
	ds_load_b32 v7, v7 offset:20
	s_wait_dscnt 0x0
	v_mul_f32_e32 v7, v28, v7
.LBB87_394:
	s_or_b32 exec_lo, exec_lo, s3
	s_delay_alu instid0(SALU_CYCLE_1)
	s_mov_b32 s3, exec_lo
	ds_store_b32 v117, v8
	s_wait_dscnt 0x0
	s_barrier_signal -1
	s_barrier_wait -1
	v_cmpx_gt_u32_e32 6, v0
	s_cbranch_execz .LBB87_404
; %bb.395:
	v_cmp_ne_u32_e32 vcc_lo, 1, v34
	s_cbranch_vccnz .LBB87_397
; %bb.396:
	v_cmp_eq_u32_e32 vcc_lo, 1, v0
	ds_load_b32 v27, v117
	v_cndmask_b32_e32 v26, v2, v3, vcc_lo
	v_cmp_eq_u32_e32 vcc_lo, 2, v0
	s_delay_alu instid0(VALU_DEP_2) | instskip(SKIP_1) | instid1(VALU_DEP_2)
	v_cndmask_b32_e32 v26, v26, v4, vcc_lo
	v_cmp_eq_u32_e32 vcc_lo, 3, v0
	v_cndmask_b32_e32 v26, v26, v5, vcc_lo
	v_cmp_eq_u32_e32 vcc_lo, 4, v0
	s_delay_alu instid0(VALU_DEP_2) | instskip(SKIP_1) | instid1(VALU_DEP_2)
	v_cndmask_b32_e32 v26, v26, v6, vcc_lo
	v_cmp_eq_u32_e32 vcc_lo, 5, v0
	;; [unrolled: 5-line block ×11, first 2 shown]
	v_cndmask_b32_e32 v26, v26, v25, vcc_lo
	s_wait_dscnt 0x0
	s_delay_alu instid0(VALU_DEP_1)
	v_mul_f32_e32 v28, v26, v27
	s_cbranch_execz .LBB87_398
	s_branch .LBB87_399
.LBB87_397:
                                        ; implicit-def: $vgpr28
.LBB87_398:
	ds_load_b32 v28, v117
.LBB87_399:
	s_mov_b32 s4, exec_lo
	v_cmpx_ne_u32_e32 5, v0
	s_cbranch_execz .LBB87_403
; %bb.400:
	v_mov_b64_e32 v[26:27], v[0:1]
	v_lshl_add_u32 v29, v0, 2, 0x64
	s_mov_b32 s5, 0
.LBB87_401:                             ; =>This Inner Loop Header: Depth=1
	s_delay_alu instid0(VALU_DEP_2)
	v_add_nc_u64_e32 v[26:27], 1, v[26:27]
	ds_load_b32 v31, v29
	v_add_nc_u32_e32 v29, 4, v29
	v_cmp_eq_u32_e32 vcc_lo, 1, v26
	v_cndmask_b32_e32 v30, v2, v3, vcc_lo
	v_cmp_eq_u32_e32 vcc_lo, 2, v26
	s_delay_alu instid0(VALU_DEP_2) | instskip(SKIP_1) | instid1(VALU_DEP_2)
	v_cndmask_b32_e32 v30, v30, v4, vcc_lo
	v_cmp_eq_u32_e32 vcc_lo, 3, v26
	v_cndmask_b32_e32 v30, v30, v5, vcc_lo
	v_cmp_eq_u32_e32 vcc_lo, 4, v26
	s_delay_alu instid0(VALU_DEP_2) | instskip(SKIP_1) | instid1(VALU_DEP_2)
	v_cndmask_b32_e32 v30, v30, v6, vcc_lo
	;; [unrolled: 5-line block ×11, first 2 shown]
	v_cmp_eq_u32_e32 vcc_lo, 23, v26
	v_cndmask_b32_e32 v30, v30, v25, vcc_lo
	v_cmp_lt_u32_e32 vcc_lo, 4, v26
	s_wait_dscnt 0x0
	s_delay_alu instid0(VALU_DEP_2) | instskip(SKIP_1) | instid1(SALU_CYCLE_1)
	v_fmac_f32_e32 v28, v30, v31
	s_or_b32 s5, vcc_lo, s5
	s_and_not1_b32 exec_lo, exec_lo, s5
	s_cbranch_execnz .LBB87_401
; %bb.402:
	s_or_b32 exec_lo, exec_lo, s5
.LBB87_403:
	s_delay_alu instid0(SALU_CYCLE_1)
	s_or_b32 exec_lo, exec_lo, s4
	v_mov_b32_e32 v8, 0
	ds_load_b32 v8, v8 offset:24
	s_wait_dscnt 0x0
	v_mul_f32_e32 v8, v28, v8
.LBB87_404:
	s_or_b32 exec_lo, exec_lo, s3
	v_cmp_gt_u32_e64 s3, 7, v0
	ds_store_b32 v117, v9
	s_wait_dscnt 0x0
	s_barrier_signal -1
	s_barrier_wait -1
	s_and_saveexec_b32 s4, s3
	s_cbranch_execz .LBB87_414
; %bb.405:
	v_cmp_ne_u32_e32 vcc_lo, 1, v34
	s_cbranch_vccnz .LBB87_407
; %bb.406:
	v_cmp_eq_u32_e32 vcc_lo, 1, v0
	ds_load_b32 v27, v117
	v_cndmask_b32_e32 v26, v2, v3, vcc_lo
	v_cmp_eq_u32_e32 vcc_lo, 2, v0
	s_delay_alu instid0(VALU_DEP_2) | instskip(SKIP_1) | instid1(VALU_DEP_2)
	v_cndmask_b32_e32 v26, v26, v4, vcc_lo
	v_cmp_eq_u32_e32 vcc_lo, 3, v0
	v_cndmask_b32_e32 v26, v26, v5, vcc_lo
	v_cmp_eq_u32_e32 vcc_lo, 4, v0
	s_delay_alu instid0(VALU_DEP_2) | instskip(SKIP_1) | instid1(VALU_DEP_2)
	v_cndmask_b32_e32 v26, v26, v6, vcc_lo
	v_cmp_eq_u32_e32 vcc_lo, 5, v0
	;; [unrolled: 5-line block ×11, first 2 shown]
	v_cndmask_b32_e32 v26, v26, v25, vcc_lo
	s_wait_dscnt 0x0
	s_delay_alu instid0(VALU_DEP_1)
	v_mul_f32_e32 v28, v26, v27
	s_cbranch_execz .LBB87_408
	s_branch .LBB87_409
.LBB87_407:
                                        ; implicit-def: $vgpr28
.LBB87_408:
	ds_load_b32 v28, v117
.LBB87_409:
	s_mov_b32 s5, exec_lo
	v_cmpx_ne_u32_e32 6, v0
	s_cbranch_execz .LBB87_413
; %bb.410:
	v_mov_b64_e32 v[26:27], v[0:1]
	v_lshl_add_u32 v29, v0, 2, 0x64
	s_mov_b32 s6, 0
.LBB87_411:                             ; =>This Inner Loop Header: Depth=1
	s_delay_alu instid0(VALU_DEP_2)
	v_add_nc_u64_e32 v[26:27], 1, v[26:27]
	ds_load_b32 v31, v29
	v_add_nc_u32_e32 v29, 4, v29
	v_cmp_eq_u32_e32 vcc_lo, 1, v26
	v_cndmask_b32_e32 v30, v2, v3, vcc_lo
	v_cmp_eq_u32_e32 vcc_lo, 2, v26
	s_delay_alu instid0(VALU_DEP_2) | instskip(SKIP_1) | instid1(VALU_DEP_2)
	v_cndmask_b32_e32 v30, v30, v4, vcc_lo
	v_cmp_eq_u32_e32 vcc_lo, 3, v26
	v_cndmask_b32_e32 v30, v30, v5, vcc_lo
	v_cmp_eq_u32_e32 vcc_lo, 4, v26
	s_delay_alu instid0(VALU_DEP_2) | instskip(SKIP_1) | instid1(VALU_DEP_2)
	v_cndmask_b32_e32 v30, v30, v6, vcc_lo
	;; [unrolled: 5-line block ×11, first 2 shown]
	v_cmp_eq_u32_e32 vcc_lo, 23, v26
	v_cndmask_b32_e32 v30, v30, v25, vcc_lo
	v_cmp_lt_u32_e32 vcc_lo, 5, v26
	s_wait_dscnt 0x0
	s_delay_alu instid0(VALU_DEP_2) | instskip(SKIP_1) | instid1(SALU_CYCLE_1)
	v_fmac_f32_e32 v28, v30, v31
	s_or_b32 s6, vcc_lo, s6
	s_and_not1_b32 exec_lo, exec_lo, s6
	s_cbranch_execnz .LBB87_411
; %bb.412:
	s_or_b32 exec_lo, exec_lo, s6
.LBB87_413:
	s_delay_alu instid0(SALU_CYCLE_1)
	s_or_b32 exec_lo, exec_lo, s5
	v_mov_b32_e32 v9, 0
	ds_load_b32 v9, v9 offset:28
	s_wait_dscnt 0x0
	v_mul_f32_e32 v9, v28, v9
.LBB87_414:
	s_or_b32 exec_lo, exec_lo, s4
	s_delay_alu instid0(SALU_CYCLE_1)
	s_mov_b32 s4, exec_lo
	ds_store_b32 v117, v10
	s_wait_dscnt 0x0
	s_barrier_signal -1
	s_barrier_wait -1
	v_cmpx_gt_u32_e32 8, v0
	s_cbranch_execz .LBB87_424
; %bb.415:
	v_cmp_ne_u32_e32 vcc_lo, 1, v34
	s_cbranch_vccnz .LBB87_417
; %bb.416:
	v_cmp_eq_u32_e32 vcc_lo, 1, v0
	ds_load_b32 v27, v117
	v_cndmask_b32_e32 v26, v2, v3, vcc_lo
	v_cmp_eq_u32_e32 vcc_lo, 2, v0
	s_delay_alu instid0(VALU_DEP_2) | instskip(SKIP_1) | instid1(VALU_DEP_2)
	v_cndmask_b32_e32 v26, v26, v4, vcc_lo
	v_cmp_eq_u32_e32 vcc_lo, 3, v0
	v_cndmask_b32_e32 v26, v26, v5, vcc_lo
	v_cmp_eq_u32_e32 vcc_lo, 4, v0
	s_delay_alu instid0(VALU_DEP_2) | instskip(SKIP_1) | instid1(VALU_DEP_2)
	v_cndmask_b32_e32 v26, v26, v6, vcc_lo
	v_cmp_eq_u32_e32 vcc_lo, 5, v0
	;; [unrolled: 5-line block ×11, first 2 shown]
	v_cndmask_b32_e32 v26, v26, v25, vcc_lo
	s_wait_dscnt 0x0
	s_delay_alu instid0(VALU_DEP_1)
	v_mul_f32_e32 v28, v26, v27
	s_cbranch_execz .LBB87_418
	s_branch .LBB87_419
.LBB87_417:
                                        ; implicit-def: $vgpr28
.LBB87_418:
	ds_load_b32 v28, v117
.LBB87_419:
	s_mov_b32 s5, exec_lo
	v_cmpx_ne_u32_e32 7, v0
	s_cbranch_execz .LBB87_423
; %bb.420:
	v_mov_b64_e32 v[26:27], v[0:1]
	v_lshl_add_u32 v29, v0, 2, 0x64
	s_mov_b32 s6, 0
.LBB87_421:                             ; =>This Inner Loop Header: Depth=1
	s_delay_alu instid0(VALU_DEP_2)
	v_add_nc_u64_e32 v[26:27], 1, v[26:27]
	ds_load_b32 v31, v29
	v_add_nc_u32_e32 v29, 4, v29
	v_cmp_eq_u32_e32 vcc_lo, 1, v26
	v_cndmask_b32_e32 v30, v2, v3, vcc_lo
	v_cmp_eq_u32_e32 vcc_lo, 2, v26
	s_delay_alu instid0(VALU_DEP_2) | instskip(SKIP_1) | instid1(VALU_DEP_2)
	v_cndmask_b32_e32 v30, v30, v4, vcc_lo
	v_cmp_eq_u32_e32 vcc_lo, 3, v26
	v_cndmask_b32_e32 v30, v30, v5, vcc_lo
	v_cmp_eq_u32_e32 vcc_lo, 4, v26
	s_delay_alu instid0(VALU_DEP_2) | instskip(SKIP_1) | instid1(VALU_DEP_2)
	v_cndmask_b32_e32 v30, v30, v6, vcc_lo
	;; [unrolled: 5-line block ×11, first 2 shown]
	v_cmp_eq_u32_e32 vcc_lo, 23, v26
	v_cndmask_b32_e32 v30, v30, v25, vcc_lo
	v_cmp_lt_u32_e32 vcc_lo, 6, v26
	s_wait_dscnt 0x0
	s_delay_alu instid0(VALU_DEP_2) | instskip(SKIP_1) | instid1(SALU_CYCLE_1)
	v_fmac_f32_e32 v28, v30, v31
	s_or_b32 s6, vcc_lo, s6
	s_and_not1_b32 exec_lo, exec_lo, s6
	s_cbranch_execnz .LBB87_421
; %bb.422:
	s_or_b32 exec_lo, exec_lo, s6
.LBB87_423:
	s_delay_alu instid0(SALU_CYCLE_1)
	s_or_b32 exec_lo, exec_lo, s5
	v_mov_b32_e32 v10, 0
	ds_load_b32 v10, v10 offset:32
	s_wait_dscnt 0x0
	v_mul_f32_e32 v10, v28, v10
.LBB87_424:
	s_or_b32 exec_lo, exec_lo, s4
	s_delay_alu instid0(SALU_CYCLE_1)
	s_mov_b32 s4, exec_lo
	ds_store_b32 v117, v11
	s_wait_dscnt 0x0
	s_barrier_signal -1
	s_barrier_wait -1
	v_cmpx_gt_u32_e32 9, v0
	s_cbranch_execz .LBB87_446
; %bb.425:
	v_cmp_ne_u32_e32 vcc_lo, 1, v34
	s_cbranch_vccnz .LBB87_427
; %bb.426:
	v_cmp_eq_u32_e32 vcc_lo, 1, v0
	ds_load_b32 v27, v117
	v_cndmask_b32_e32 v26, v2, v3, vcc_lo
	v_cmp_eq_u32_e32 vcc_lo, 2, v0
	s_delay_alu instid0(VALU_DEP_2) | instskip(SKIP_1) | instid1(VALU_DEP_2)
	v_cndmask_b32_e32 v26, v26, v4, vcc_lo
	v_cmp_eq_u32_e32 vcc_lo, 3, v0
	v_cndmask_b32_e32 v26, v26, v5, vcc_lo
	v_cmp_eq_u32_e32 vcc_lo, 4, v0
	s_delay_alu instid0(VALU_DEP_2) | instskip(SKIP_1) | instid1(VALU_DEP_2)
	v_cndmask_b32_e32 v26, v26, v6, vcc_lo
	v_cmp_eq_u32_e32 vcc_lo, 5, v0
	;; [unrolled: 5-line block ×11, first 2 shown]
	v_cndmask_b32_e32 v26, v26, v25, vcc_lo
	s_wait_dscnt 0x0
	s_delay_alu instid0(VALU_DEP_1)
	v_mul_f32_e32 v26, v26, v27
	s_cbranch_execz .LBB87_428
	s_branch .LBB87_429
.LBB87_427:
                                        ; implicit-def: $vgpr26
.LBB87_428:
	ds_load_b32 v26, v117
.LBB87_429:
	s_mov_b32 s5, exec_lo
	v_cmpx_ne_u32_e32 8, v0
	s_cbranch_execz .LBB87_445
; %bb.430:
	v_cmp_eq_u32_e32 vcc_lo, 1, v35
	ds_load_b32 v28, v117 offset:4
	v_cndmask_b32_e32 v27, v2, v3, vcc_lo
	v_cmp_eq_u32_e32 vcc_lo, 2, v35
	s_delay_alu instid0(VALU_DEP_2) | instskip(SKIP_1) | instid1(VALU_DEP_2)
	v_cndmask_b32_e32 v27, v27, v4, vcc_lo
	v_cmp_eq_u32_e32 vcc_lo, 3, v35
	v_cndmask_b32_e32 v27, v27, v5, vcc_lo
	v_cmp_eq_u32_e32 vcc_lo, 4, v35
	s_delay_alu instid0(VALU_DEP_2) | instskip(SKIP_1) | instid1(VALU_DEP_2)
	v_cndmask_b32_e32 v27, v27, v6, vcc_lo
	v_cmp_eq_u32_e32 vcc_lo, 5, v35
	;; [unrolled: 5-line block ×11, first 2 shown]
	v_cndmask_b32_e32 v27, v27, v25, vcc_lo
	s_wait_dscnt 0x0
	s_delay_alu instid0(VALU_DEP_1)
	v_fmac_f32_e32 v26, v27, v28
	s_and_saveexec_b32 s6, s3
	s_cbranch_execz .LBB87_444
; %bb.431:
	v_add_nc_u32_e32 v27, 2, v0
	ds_load_b32 v29, v117 offset:8
	s_mov_b32 s3, exec_lo
	v_cmp_eq_u32_e32 vcc_lo, 1, v27
	v_cndmask_b32_e32 v28, v2, v3, vcc_lo
	v_cmp_eq_u32_e32 vcc_lo, 2, v27
	s_delay_alu instid0(VALU_DEP_2) | instskip(SKIP_1) | instid1(VALU_DEP_2)
	v_cndmask_b32_e32 v28, v28, v4, vcc_lo
	v_cmp_eq_u32_e32 vcc_lo, 3, v27
	v_cndmask_b32_e32 v28, v28, v5, vcc_lo
	v_cmp_eq_u32_e32 vcc_lo, 4, v27
	s_delay_alu instid0(VALU_DEP_2) | instskip(SKIP_1) | instid1(VALU_DEP_2)
	v_cndmask_b32_e32 v28, v28, v6, vcc_lo
	;; [unrolled: 5-line block ×11, first 2 shown]
	v_cmp_eq_u32_e32 vcc_lo, 23, v27
	v_cndmask_b32_e32 v27, v28, v25, vcc_lo
	s_wait_dscnt 0x0
	s_delay_alu instid0(VALU_DEP_1)
	v_fmac_f32_e32 v26, v27, v29
	v_cmpx_ne_u32_e32 6, v0
	s_cbranch_execz .LBB87_443
; %bb.432:
	v_add_nc_u32_e32 v27, 3, v0
	ds_load_b32 v29, v117 offset:12
	v_cmp_eq_u32_e32 vcc_lo, 1, v27
	v_cndmask_b32_e32 v28, v2, v3, vcc_lo
	v_cmp_eq_u32_e32 vcc_lo, 2, v27
	s_delay_alu instid0(VALU_DEP_2) | instskip(SKIP_1) | instid1(VALU_DEP_2)
	v_cndmask_b32_e32 v28, v28, v4, vcc_lo
	v_cmp_eq_u32_e32 vcc_lo, 3, v27
	v_cndmask_b32_e32 v28, v28, v5, vcc_lo
	v_cmp_eq_u32_e32 vcc_lo, 4, v27
	s_delay_alu instid0(VALU_DEP_2) | instskip(SKIP_1) | instid1(VALU_DEP_2)
	v_cndmask_b32_e32 v28, v28, v6, vcc_lo
	;; [unrolled: 5-line block ×11, first 2 shown]
	v_cmp_eq_u32_e32 vcc_lo, 23, v27
	v_cndmask_b32_e32 v27, v28, v25, vcc_lo
	s_wait_dscnt 0x0
	s_delay_alu instid0(VALU_DEP_1)
	v_fmac_f32_e32 v26, v27, v29
	s_and_saveexec_b32 s7, s2
	s_cbranch_execz .LBB87_442
; %bb.433:
	v_add_nc_u32_e32 v27, 4, v0
	ds_load_b32 v29, v117 offset:16
	s_mov_b32 s2, exec_lo
	v_cmp_eq_u32_e32 vcc_lo, 1, v27
	v_cndmask_b32_e32 v28, v2, v3, vcc_lo
	v_cmp_eq_u32_e32 vcc_lo, 2, v27
	s_delay_alu instid0(VALU_DEP_2) | instskip(SKIP_1) | instid1(VALU_DEP_2)
	v_cndmask_b32_e32 v28, v28, v4, vcc_lo
	v_cmp_eq_u32_e32 vcc_lo, 3, v27
	v_cndmask_b32_e32 v28, v28, v5, vcc_lo
	v_cmp_eq_u32_e32 vcc_lo, 4, v27
	s_delay_alu instid0(VALU_DEP_2) | instskip(SKIP_1) | instid1(VALU_DEP_2)
	v_cndmask_b32_e32 v28, v28, v6, vcc_lo
	;; [unrolled: 5-line block ×11, first 2 shown]
	v_cmp_eq_u32_e32 vcc_lo, 23, v27
	v_cndmask_b32_e32 v27, v28, v25, vcc_lo
	s_wait_dscnt 0x0
	s_delay_alu instid0(VALU_DEP_1)
	v_fmac_f32_e32 v26, v27, v29
	v_cmpx_ne_u32_e32 4, v0
	s_cbranch_execz .LBB87_441
; %bb.434:
	v_add_nc_u32_e32 v27, 5, v0
	ds_load_b32 v29, v117 offset:20
	v_cmp_eq_u32_e32 vcc_lo, 1, v27
	v_cndmask_b32_e32 v28, v2, v3, vcc_lo
	v_cmp_eq_u32_e32 vcc_lo, 2, v27
	s_delay_alu instid0(VALU_DEP_2) | instskip(SKIP_1) | instid1(VALU_DEP_2)
	v_cndmask_b32_e32 v28, v28, v4, vcc_lo
	v_cmp_eq_u32_e32 vcc_lo, 3, v27
	v_cndmask_b32_e32 v28, v28, v5, vcc_lo
	v_cmp_eq_u32_e32 vcc_lo, 4, v27
	s_delay_alu instid0(VALU_DEP_2) | instskip(SKIP_1) | instid1(VALU_DEP_2)
	v_cndmask_b32_e32 v28, v28, v6, vcc_lo
	;; [unrolled: 5-line block ×11, first 2 shown]
	v_cmp_eq_u32_e32 vcc_lo, 23, v27
	v_cndmask_b32_e32 v27, v28, v25, vcc_lo
	s_wait_dscnt 0x0
	s_delay_alu instid0(VALU_DEP_1)
	v_fmac_f32_e32 v26, v27, v29
	s_and_saveexec_b32 s8, s1
	s_cbranch_execz .LBB87_440
; %bb.435:
	v_add_nc_u32_e32 v27, 6, v0
	ds_load_b32 v29, v117 offset:24
	s_mov_b32 s1, exec_lo
	v_cmp_eq_u32_e32 vcc_lo, 1, v27
	v_cndmask_b32_e32 v28, v2, v3, vcc_lo
	v_cmp_eq_u32_e32 vcc_lo, 2, v27
	s_delay_alu instid0(VALU_DEP_2) | instskip(SKIP_1) | instid1(VALU_DEP_2)
	v_cndmask_b32_e32 v28, v28, v4, vcc_lo
	v_cmp_eq_u32_e32 vcc_lo, 3, v27
	v_cndmask_b32_e32 v28, v28, v5, vcc_lo
	v_cmp_eq_u32_e32 vcc_lo, 4, v27
	s_delay_alu instid0(VALU_DEP_2) | instskip(SKIP_1) | instid1(VALU_DEP_2)
	v_cndmask_b32_e32 v28, v28, v6, vcc_lo
	v_cmp_eq_u32_e32 vcc_lo, 5, v27
	v_cndmask_b32_e32 v28, v28, v7, vcc_lo
	v_cmp_eq_u32_e32 vcc_lo, 6, v27
	s_delay_alu instid0(VALU_DEP_2) | instskip(SKIP_1) | instid1(VALU_DEP_2)
	v_cndmask_b32_e32 v28, v28, v8, vcc_lo
	v_cmp_eq_u32_e32 vcc_lo, 7, v27
	v_cndmask_b32_e32 v28, v28, v9, vcc_lo
	v_cmp_eq_u32_e32 vcc_lo, 8, v27
	s_delay_alu instid0(VALU_DEP_2) | instskip(SKIP_1) | instid1(VALU_DEP_2)
	v_cndmask_b32_e32 v28, v28, v10, vcc_lo
	v_cmp_eq_u32_e32 vcc_lo, 9, v27
	v_cndmask_b32_e32 v28, v28, v11, vcc_lo
	v_cmp_eq_u32_e32 vcc_lo, 10, v27
	s_delay_alu instid0(VALU_DEP_2) | instskip(SKIP_1) | instid1(VALU_DEP_2)
	v_cndmask_b32_e32 v28, v28, v12, vcc_lo
	v_cmp_eq_u32_e32 vcc_lo, 11, v27
	v_cndmask_b32_e32 v28, v28, v13, vcc_lo
	v_cmp_eq_u32_e32 vcc_lo, 12, v27
	s_delay_alu instid0(VALU_DEP_2) | instskip(SKIP_1) | instid1(VALU_DEP_2)
	v_cndmask_b32_e32 v28, v28, v14, vcc_lo
	v_cmp_eq_u32_e32 vcc_lo, 13, v27
	v_cndmask_b32_e32 v28, v28, v15, vcc_lo
	v_cmp_eq_u32_e32 vcc_lo, 14, v27
	s_delay_alu instid0(VALU_DEP_2) | instskip(SKIP_1) | instid1(VALU_DEP_2)
	v_cndmask_b32_e32 v28, v28, v16, vcc_lo
	v_cmp_eq_u32_e32 vcc_lo, 15, v27
	v_cndmask_b32_e32 v28, v28, v17, vcc_lo
	v_cmp_eq_u32_e32 vcc_lo, 16, v27
	s_delay_alu instid0(VALU_DEP_2) | instskip(SKIP_1) | instid1(VALU_DEP_2)
	v_cndmask_b32_e32 v28, v28, v18, vcc_lo
	v_cmp_eq_u32_e32 vcc_lo, 17, v27
	v_cndmask_b32_e32 v28, v28, v19, vcc_lo
	v_cmp_eq_u32_e32 vcc_lo, 18, v27
	s_delay_alu instid0(VALU_DEP_2) | instskip(SKIP_1) | instid1(VALU_DEP_2)
	v_cndmask_b32_e32 v28, v28, v20, vcc_lo
	v_cmp_eq_u32_e32 vcc_lo, 19, v27
	v_cndmask_b32_e32 v28, v28, v21, vcc_lo
	v_cmp_eq_u32_e32 vcc_lo, 20, v27
	s_delay_alu instid0(VALU_DEP_2) | instskip(SKIP_1) | instid1(VALU_DEP_2)
	v_cndmask_b32_e32 v28, v28, v22, vcc_lo
	v_cmp_eq_u32_e32 vcc_lo, 21, v27
	v_cndmask_b32_e32 v28, v28, v23, vcc_lo
	v_cmp_eq_u32_e32 vcc_lo, 22, v27
	s_delay_alu instid0(VALU_DEP_2) | instskip(SKIP_1) | instid1(VALU_DEP_2)
	v_cndmask_b32_e32 v28, v28, v24, vcc_lo
	v_cmp_eq_u32_e32 vcc_lo, 23, v27
	v_cndmask_b32_e32 v27, v28, v25, vcc_lo
	s_wait_dscnt 0x0
	s_delay_alu instid0(VALU_DEP_1)
	v_fmac_f32_e32 v26, v27, v29
	v_cmpx_ne_u32_e32 2, v0
	s_cbranch_execz .LBB87_439
; %bb.436:
	v_add_nc_u32_e32 v27, 7, v0
	s_delay_alu instid0(VALU_DEP_1) | instskip(SKIP_2) | instid1(VALU_DEP_2)
	v_cmp_eq_u32_e32 vcc_lo, 1, v27
	v_cndmask_b32_e32 v28, v2, v3, vcc_lo
	v_cmp_eq_u32_e32 vcc_lo, 2, v27
	v_cndmask_b32_e32 v28, v28, v4, vcc_lo
	v_cmp_eq_u32_e32 vcc_lo, 3, v27
	s_delay_alu instid0(VALU_DEP_2) | instskip(SKIP_1) | instid1(VALU_DEP_2)
	v_cndmask_b32_e32 v28, v28, v5, vcc_lo
	v_cmp_eq_u32_e32 vcc_lo, 4, v27
	v_cndmask_b32_e32 v28, v28, v6, vcc_lo
	v_cmp_eq_u32_e32 vcc_lo, 5, v27
	s_delay_alu instid0(VALU_DEP_2) | instskip(SKIP_1) | instid1(VALU_DEP_2)
	;; [unrolled: 5-line block ×3, first 2 shown]
	v_cndmask_b32_e32 v28, v28, v9, vcc_lo
	v_cmp_eq_u32_e32 vcc_lo, 8, v27
	v_cndmask_b32_e32 v28, v28, v10, vcc_lo
	v_cmp_eq_u32_e32 vcc_lo, 9, v27
	s_delay_alu instid0(VALU_DEP_2) | instskip(SKIP_4) | instid1(VALU_DEP_2)
	v_cndmask_b32_e32 v11, v28, v11, vcc_lo
	v_cmp_eq_u32_e32 vcc_lo, 10, v27
	ds_load_b32 v28, v117 offset:28
	v_cndmask_b32_e32 v11, v11, v12, vcc_lo
	v_cmp_eq_u32_e32 vcc_lo, 11, v27
	v_cndmask_b32_e32 v11, v11, v13, vcc_lo
	v_cmp_eq_u32_e32 vcc_lo, 12, v27
	s_delay_alu instid0(VALU_DEP_2) | instskip(SKIP_1) | instid1(VALU_DEP_2)
	v_cndmask_b32_e32 v11, v11, v14, vcc_lo
	v_cmp_eq_u32_e32 vcc_lo, 13, v27
	v_cndmask_b32_e32 v11, v11, v15, vcc_lo
	v_cmp_eq_u32_e32 vcc_lo, 14, v27
	s_delay_alu instid0(VALU_DEP_2) | instskip(SKIP_1) | instid1(VALU_DEP_2)
	;; [unrolled: 5-line block ×6, first 2 shown]
	v_cndmask_b32_e32 v11, v11, v24, vcc_lo
	v_cmp_eq_u32_e32 vcc_lo, 23, v27
	v_cndmask_b32_e32 v11, v11, v25, vcc_lo
	s_wait_dscnt 0x0
	s_delay_alu instid0(VALU_DEP_1)
	v_fmac_f32_e32 v26, v11, v28
	s_and_saveexec_b32 s9, s0
	s_cbranch_execz .LBB87_438
; %bb.437:
	ds_load_b32 v11, v117 offset:32
	s_wait_dscnt 0x0
	v_fmac_f32_e32 v26, v10, v11
.LBB87_438:
	s_or_b32 exec_lo, exec_lo, s9
.LBB87_439:
	s_delay_alu instid0(SALU_CYCLE_1)
	s_or_b32 exec_lo, exec_lo, s1
.LBB87_440:
	s_delay_alu instid0(SALU_CYCLE_1)
	s_or_b32 exec_lo, exec_lo, s8
.LBB87_441:
	s_delay_alu instid0(SALU_CYCLE_1)
	s_or_b32 exec_lo, exec_lo, s2
.LBB87_442:
	s_delay_alu instid0(SALU_CYCLE_1)
	s_or_b32 exec_lo, exec_lo, s7
.LBB87_443:
	s_delay_alu instid0(SALU_CYCLE_1)
	s_or_b32 exec_lo, exec_lo, s3
.LBB87_444:
	s_delay_alu instid0(SALU_CYCLE_1)
	s_or_b32 exec_lo, exec_lo, s6
.LBB87_445:
	s_delay_alu instid0(SALU_CYCLE_1)
	s_or_b32 exec_lo, exec_lo, s5
	v_mov_b32_e32 v11, 0
	ds_load_b32 v11, v11 offset:36
	s_wait_dscnt 0x0
	v_mul_f32_e32 v11, v26, v11
.LBB87_446:
	s_or_b32 exec_lo, exec_lo, s4
	s_delay_alu instid0(SALU_CYCLE_1)
	s_mov_b32 s0, exec_lo
	ds_store_b32 v117, v12
	s_wait_dscnt 0x0
	s_barrier_signal -1
	s_barrier_wait -1
	v_cmpx_gt_u32_e32 10, v0
	s_cbranch_execz .LBB87_456
; %bb.447:
	v_cmp_ne_u32_e32 vcc_lo, 1, v34
	s_cbranch_vccnz .LBB87_449
; %bb.448:
	v_cmp_eq_u32_e32 vcc_lo, 1, v0
	ds_load_b32 v27, v117
	v_cndmask_b32_e32 v26, v2, v3, vcc_lo
	v_cmp_eq_u32_e32 vcc_lo, 2, v0
	s_delay_alu instid0(VALU_DEP_2) | instskip(SKIP_1) | instid1(VALU_DEP_2)
	v_cndmask_b32_e32 v26, v26, v4, vcc_lo
	v_cmp_eq_u32_e32 vcc_lo, 3, v0
	v_cndmask_b32_e32 v26, v26, v5, vcc_lo
	v_cmp_eq_u32_e32 vcc_lo, 4, v0
	s_delay_alu instid0(VALU_DEP_2) | instskip(SKIP_1) | instid1(VALU_DEP_2)
	v_cndmask_b32_e32 v26, v26, v6, vcc_lo
	v_cmp_eq_u32_e32 vcc_lo, 5, v0
	;; [unrolled: 5-line block ×11, first 2 shown]
	v_cndmask_b32_e32 v26, v26, v25, vcc_lo
	s_wait_dscnt 0x0
	s_delay_alu instid0(VALU_DEP_1)
	v_mul_f32_e32 v28, v26, v27
	s_cbranch_execz .LBB87_450
	s_branch .LBB87_451
.LBB87_449:
                                        ; implicit-def: $vgpr28
.LBB87_450:
	ds_load_b32 v28, v117
.LBB87_451:
	s_mov_b32 s1, exec_lo
	v_cmpx_ne_u32_e32 9, v0
	s_cbranch_execz .LBB87_455
; %bb.452:
	v_mov_b64_e32 v[26:27], v[0:1]
	v_lshl_add_u32 v29, v0, 2, 0x64
	s_mov_b32 s2, 0
.LBB87_453:                             ; =>This Inner Loop Header: Depth=1
	s_delay_alu instid0(VALU_DEP_2)
	v_add_nc_u64_e32 v[26:27], 1, v[26:27]
	ds_load_b32 v31, v29
	v_add_nc_u32_e32 v29, 4, v29
	v_cmp_eq_u32_e32 vcc_lo, 1, v26
	v_cndmask_b32_e32 v30, v2, v3, vcc_lo
	v_cmp_eq_u32_e32 vcc_lo, 2, v26
	s_delay_alu instid0(VALU_DEP_2) | instskip(SKIP_1) | instid1(VALU_DEP_2)
	v_cndmask_b32_e32 v30, v30, v4, vcc_lo
	v_cmp_eq_u32_e32 vcc_lo, 3, v26
	v_cndmask_b32_e32 v30, v30, v5, vcc_lo
	v_cmp_eq_u32_e32 vcc_lo, 4, v26
	s_delay_alu instid0(VALU_DEP_2) | instskip(SKIP_1) | instid1(VALU_DEP_2)
	v_cndmask_b32_e32 v30, v30, v6, vcc_lo
	;; [unrolled: 5-line block ×11, first 2 shown]
	v_cmp_eq_u32_e32 vcc_lo, 23, v26
	v_cndmask_b32_e32 v30, v30, v25, vcc_lo
	v_cmp_lt_u32_e32 vcc_lo, 8, v26
	s_wait_dscnt 0x0
	s_delay_alu instid0(VALU_DEP_2) | instskip(SKIP_1) | instid1(SALU_CYCLE_1)
	v_fmac_f32_e32 v28, v30, v31
	s_or_b32 s2, vcc_lo, s2
	s_and_not1_b32 exec_lo, exec_lo, s2
	s_cbranch_execnz .LBB87_453
; %bb.454:
	s_or_b32 exec_lo, exec_lo, s2
.LBB87_455:
	s_delay_alu instid0(SALU_CYCLE_1)
	s_or_b32 exec_lo, exec_lo, s1
	v_mov_b32_e32 v12, 0
	ds_load_b32 v12, v12 offset:40
	s_wait_dscnt 0x0
	v_mul_f32_e32 v12, v28, v12
.LBB87_456:
	s_or_b32 exec_lo, exec_lo, s0
	s_delay_alu instid0(SALU_CYCLE_1)
	s_mov_b32 s0, exec_lo
	ds_store_b32 v117, v13
	s_wait_dscnt 0x0
	s_barrier_signal -1
	s_barrier_wait -1
	v_cmpx_gt_u32_e32 11, v0
	s_cbranch_execz .LBB87_466
; %bb.457:
	v_cmp_ne_u32_e32 vcc_lo, 1, v34
	s_cbranch_vccnz .LBB87_459
; %bb.458:
	v_cmp_eq_u32_e32 vcc_lo, 1, v0
	ds_load_b32 v27, v117
	v_cndmask_b32_e32 v26, v2, v3, vcc_lo
	v_cmp_eq_u32_e32 vcc_lo, 2, v0
	s_delay_alu instid0(VALU_DEP_2) | instskip(SKIP_1) | instid1(VALU_DEP_2)
	v_cndmask_b32_e32 v26, v26, v4, vcc_lo
	v_cmp_eq_u32_e32 vcc_lo, 3, v0
	v_cndmask_b32_e32 v26, v26, v5, vcc_lo
	v_cmp_eq_u32_e32 vcc_lo, 4, v0
	s_delay_alu instid0(VALU_DEP_2) | instskip(SKIP_1) | instid1(VALU_DEP_2)
	v_cndmask_b32_e32 v26, v26, v6, vcc_lo
	v_cmp_eq_u32_e32 vcc_lo, 5, v0
	;; [unrolled: 5-line block ×11, first 2 shown]
	v_cndmask_b32_e32 v26, v26, v25, vcc_lo
	s_wait_dscnt 0x0
	s_delay_alu instid0(VALU_DEP_1)
	v_mul_f32_e32 v28, v26, v27
	s_cbranch_execz .LBB87_460
	s_branch .LBB87_461
.LBB87_459:
                                        ; implicit-def: $vgpr28
.LBB87_460:
	ds_load_b32 v28, v117
.LBB87_461:
	s_mov_b32 s1, exec_lo
	v_cmpx_ne_u32_e32 10, v0
	s_cbranch_execz .LBB87_465
; %bb.462:
	v_mov_b64_e32 v[26:27], v[0:1]
	v_lshl_add_u32 v29, v0, 2, 0x64
	s_mov_b32 s2, 0
.LBB87_463:                             ; =>This Inner Loop Header: Depth=1
	s_delay_alu instid0(VALU_DEP_2)
	v_add_nc_u64_e32 v[26:27], 1, v[26:27]
	ds_load_b32 v31, v29
	v_add_nc_u32_e32 v29, 4, v29
	v_cmp_eq_u32_e32 vcc_lo, 1, v26
	v_cndmask_b32_e32 v30, v2, v3, vcc_lo
	v_cmp_eq_u32_e32 vcc_lo, 2, v26
	s_delay_alu instid0(VALU_DEP_2) | instskip(SKIP_1) | instid1(VALU_DEP_2)
	v_cndmask_b32_e32 v30, v30, v4, vcc_lo
	v_cmp_eq_u32_e32 vcc_lo, 3, v26
	v_cndmask_b32_e32 v30, v30, v5, vcc_lo
	v_cmp_eq_u32_e32 vcc_lo, 4, v26
	s_delay_alu instid0(VALU_DEP_2) | instskip(SKIP_1) | instid1(VALU_DEP_2)
	v_cndmask_b32_e32 v30, v30, v6, vcc_lo
	;; [unrolled: 5-line block ×11, first 2 shown]
	v_cmp_eq_u32_e32 vcc_lo, 23, v26
	v_cndmask_b32_e32 v30, v30, v25, vcc_lo
	v_cmp_lt_u32_e32 vcc_lo, 9, v26
	s_wait_dscnt 0x0
	s_delay_alu instid0(VALU_DEP_2) | instskip(SKIP_1) | instid1(SALU_CYCLE_1)
	v_fmac_f32_e32 v28, v30, v31
	s_or_b32 s2, vcc_lo, s2
	s_and_not1_b32 exec_lo, exec_lo, s2
	s_cbranch_execnz .LBB87_463
; %bb.464:
	s_or_b32 exec_lo, exec_lo, s2
.LBB87_465:
	s_delay_alu instid0(SALU_CYCLE_1)
	s_or_b32 exec_lo, exec_lo, s1
	v_mov_b32_e32 v13, 0
	ds_load_b32 v13, v13 offset:44
	s_wait_dscnt 0x0
	v_mul_f32_e32 v13, v28, v13
.LBB87_466:
	s_or_b32 exec_lo, exec_lo, s0
	s_delay_alu instid0(SALU_CYCLE_1)
	s_mov_b32 s0, exec_lo
	ds_store_b32 v117, v14
	s_wait_dscnt 0x0
	s_barrier_signal -1
	s_barrier_wait -1
	v_cmpx_gt_u32_e32 12, v0
	s_cbranch_execz .LBB87_476
; %bb.467:
	v_cmp_ne_u32_e32 vcc_lo, 1, v34
	s_cbranch_vccnz .LBB87_469
; %bb.468:
	v_cmp_eq_u32_e32 vcc_lo, 1, v0
	ds_load_b32 v27, v117
	v_cndmask_b32_e32 v26, v2, v3, vcc_lo
	v_cmp_eq_u32_e32 vcc_lo, 2, v0
	s_delay_alu instid0(VALU_DEP_2) | instskip(SKIP_1) | instid1(VALU_DEP_2)
	v_cndmask_b32_e32 v26, v26, v4, vcc_lo
	v_cmp_eq_u32_e32 vcc_lo, 3, v0
	v_cndmask_b32_e32 v26, v26, v5, vcc_lo
	v_cmp_eq_u32_e32 vcc_lo, 4, v0
	s_delay_alu instid0(VALU_DEP_2) | instskip(SKIP_1) | instid1(VALU_DEP_2)
	v_cndmask_b32_e32 v26, v26, v6, vcc_lo
	v_cmp_eq_u32_e32 vcc_lo, 5, v0
	;; [unrolled: 5-line block ×11, first 2 shown]
	v_cndmask_b32_e32 v26, v26, v25, vcc_lo
	s_wait_dscnt 0x0
	s_delay_alu instid0(VALU_DEP_1)
	v_mul_f32_e32 v28, v26, v27
	s_cbranch_execz .LBB87_470
	s_branch .LBB87_471
.LBB87_469:
                                        ; implicit-def: $vgpr28
.LBB87_470:
	ds_load_b32 v28, v117
.LBB87_471:
	s_mov_b32 s1, exec_lo
	v_cmpx_ne_u32_e32 11, v0
	s_cbranch_execz .LBB87_475
; %bb.472:
	v_mov_b64_e32 v[26:27], v[0:1]
	v_lshl_add_u32 v29, v0, 2, 0x64
	s_mov_b32 s2, 0
.LBB87_473:                             ; =>This Inner Loop Header: Depth=1
	s_delay_alu instid0(VALU_DEP_2)
	v_add_nc_u64_e32 v[26:27], 1, v[26:27]
	ds_load_b32 v31, v29
	v_add_nc_u32_e32 v29, 4, v29
	v_cmp_eq_u32_e32 vcc_lo, 1, v26
	v_cndmask_b32_e32 v30, v2, v3, vcc_lo
	v_cmp_eq_u32_e32 vcc_lo, 2, v26
	s_delay_alu instid0(VALU_DEP_2) | instskip(SKIP_1) | instid1(VALU_DEP_2)
	v_cndmask_b32_e32 v30, v30, v4, vcc_lo
	v_cmp_eq_u32_e32 vcc_lo, 3, v26
	v_cndmask_b32_e32 v30, v30, v5, vcc_lo
	v_cmp_eq_u32_e32 vcc_lo, 4, v26
	s_delay_alu instid0(VALU_DEP_2) | instskip(SKIP_1) | instid1(VALU_DEP_2)
	v_cndmask_b32_e32 v30, v30, v6, vcc_lo
	;; [unrolled: 5-line block ×11, first 2 shown]
	v_cmp_eq_u32_e32 vcc_lo, 23, v26
	v_cndmask_b32_e32 v30, v30, v25, vcc_lo
	v_cmp_lt_u32_e32 vcc_lo, 10, v26
	s_wait_dscnt 0x0
	s_delay_alu instid0(VALU_DEP_2) | instskip(SKIP_1) | instid1(SALU_CYCLE_1)
	v_fmac_f32_e32 v28, v30, v31
	s_or_b32 s2, vcc_lo, s2
	s_and_not1_b32 exec_lo, exec_lo, s2
	s_cbranch_execnz .LBB87_473
; %bb.474:
	s_or_b32 exec_lo, exec_lo, s2
.LBB87_475:
	s_delay_alu instid0(SALU_CYCLE_1)
	s_or_b32 exec_lo, exec_lo, s1
	v_mov_b32_e32 v14, 0
	ds_load_b32 v14, v14 offset:48
	s_wait_dscnt 0x0
	v_mul_f32_e32 v14, v28, v14
.LBB87_476:
	s_or_b32 exec_lo, exec_lo, s0
	s_delay_alu instid0(SALU_CYCLE_1)
	s_mov_b32 s0, exec_lo
	ds_store_b32 v117, v15
	s_wait_dscnt 0x0
	s_barrier_signal -1
	s_barrier_wait -1
	v_cmpx_gt_u32_e32 13, v0
	s_cbranch_execz .LBB87_486
; %bb.477:
	v_cmp_ne_u32_e32 vcc_lo, 1, v34
	s_cbranch_vccnz .LBB87_479
; %bb.478:
	v_cmp_eq_u32_e32 vcc_lo, 1, v0
	ds_load_b32 v27, v117
	v_cndmask_b32_e32 v26, v2, v3, vcc_lo
	v_cmp_eq_u32_e32 vcc_lo, 2, v0
	s_delay_alu instid0(VALU_DEP_2) | instskip(SKIP_1) | instid1(VALU_DEP_2)
	v_cndmask_b32_e32 v26, v26, v4, vcc_lo
	v_cmp_eq_u32_e32 vcc_lo, 3, v0
	v_cndmask_b32_e32 v26, v26, v5, vcc_lo
	v_cmp_eq_u32_e32 vcc_lo, 4, v0
	s_delay_alu instid0(VALU_DEP_2) | instskip(SKIP_1) | instid1(VALU_DEP_2)
	v_cndmask_b32_e32 v26, v26, v6, vcc_lo
	v_cmp_eq_u32_e32 vcc_lo, 5, v0
	;; [unrolled: 5-line block ×11, first 2 shown]
	v_cndmask_b32_e32 v26, v26, v25, vcc_lo
	s_wait_dscnt 0x0
	s_delay_alu instid0(VALU_DEP_1)
	v_mul_f32_e32 v28, v26, v27
	s_cbranch_execz .LBB87_480
	s_branch .LBB87_481
.LBB87_479:
                                        ; implicit-def: $vgpr28
.LBB87_480:
	ds_load_b32 v28, v117
.LBB87_481:
	s_mov_b32 s1, exec_lo
	v_cmpx_ne_u32_e32 12, v0
	s_cbranch_execz .LBB87_485
; %bb.482:
	v_mov_b64_e32 v[26:27], v[0:1]
	v_lshl_add_u32 v29, v0, 2, 0x64
	s_mov_b32 s2, 0
.LBB87_483:                             ; =>This Inner Loop Header: Depth=1
	s_delay_alu instid0(VALU_DEP_2)
	v_add_nc_u64_e32 v[26:27], 1, v[26:27]
	ds_load_b32 v31, v29
	v_add_nc_u32_e32 v29, 4, v29
	v_cmp_eq_u32_e32 vcc_lo, 1, v26
	v_cndmask_b32_e32 v30, v2, v3, vcc_lo
	v_cmp_eq_u32_e32 vcc_lo, 2, v26
	s_delay_alu instid0(VALU_DEP_2) | instskip(SKIP_1) | instid1(VALU_DEP_2)
	v_cndmask_b32_e32 v30, v30, v4, vcc_lo
	v_cmp_eq_u32_e32 vcc_lo, 3, v26
	v_cndmask_b32_e32 v30, v30, v5, vcc_lo
	v_cmp_eq_u32_e32 vcc_lo, 4, v26
	s_delay_alu instid0(VALU_DEP_2) | instskip(SKIP_1) | instid1(VALU_DEP_2)
	v_cndmask_b32_e32 v30, v30, v6, vcc_lo
	v_cmp_eq_u32_e32 vcc_lo, 5, v26
	v_cndmask_b32_e32 v30, v30, v7, vcc_lo
	v_cmp_eq_u32_e32 vcc_lo, 6, v26
	s_delay_alu instid0(VALU_DEP_2) | instskip(SKIP_1) | instid1(VALU_DEP_2)
	v_cndmask_b32_e32 v30, v30, v8, vcc_lo
	v_cmp_eq_u32_e32 vcc_lo, 7, v26
	v_cndmask_b32_e32 v30, v30, v9, vcc_lo
	v_cmp_eq_u32_e32 vcc_lo, 8, v26
	s_delay_alu instid0(VALU_DEP_2) | instskip(SKIP_1) | instid1(VALU_DEP_2)
	v_cndmask_b32_e32 v30, v30, v10, vcc_lo
	v_cmp_eq_u32_e32 vcc_lo, 9, v26
	v_cndmask_b32_e32 v30, v30, v11, vcc_lo
	v_cmp_eq_u32_e32 vcc_lo, 10, v26
	s_delay_alu instid0(VALU_DEP_2) | instskip(SKIP_1) | instid1(VALU_DEP_2)
	v_cndmask_b32_e32 v30, v30, v12, vcc_lo
	v_cmp_eq_u32_e32 vcc_lo, 11, v26
	v_cndmask_b32_e32 v30, v30, v13, vcc_lo
	v_cmp_eq_u32_e32 vcc_lo, 12, v26
	s_delay_alu instid0(VALU_DEP_2) | instskip(SKIP_1) | instid1(VALU_DEP_2)
	v_cndmask_b32_e32 v30, v30, v14, vcc_lo
	v_cmp_eq_u32_e32 vcc_lo, 13, v26
	v_cndmask_b32_e32 v30, v30, v15, vcc_lo
	v_cmp_eq_u32_e32 vcc_lo, 14, v26
	s_delay_alu instid0(VALU_DEP_2) | instskip(SKIP_1) | instid1(VALU_DEP_2)
	v_cndmask_b32_e32 v30, v30, v16, vcc_lo
	v_cmp_eq_u32_e32 vcc_lo, 15, v26
	v_cndmask_b32_e32 v30, v30, v17, vcc_lo
	v_cmp_eq_u32_e32 vcc_lo, 16, v26
	s_delay_alu instid0(VALU_DEP_2) | instskip(SKIP_1) | instid1(VALU_DEP_2)
	v_cndmask_b32_e32 v30, v30, v18, vcc_lo
	v_cmp_eq_u32_e32 vcc_lo, 17, v26
	v_cndmask_b32_e32 v30, v30, v19, vcc_lo
	v_cmp_eq_u32_e32 vcc_lo, 18, v26
	s_delay_alu instid0(VALU_DEP_2) | instskip(SKIP_1) | instid1(VALU_DEP_2)
	v_cndmask_b32_e32 v30, v30, v20, vcc_lo
	v_cmp_eq_u32_e32 vcc_lo, 19, v26
	v_cndmask_b32_e32 v30, v30, v21, vcc_lo
	v_cmp_eq_u32_e32 vcc_lo, 20, v26
	s_delay_alu instid0(VALU_DEP_2) | instskip(SKIP_1) | instid1(VALU_DEP_2)
	v_cndmask_b32_e32 v30, v30, v22, vcc_lo
	v_cmp_eq_u32_e32 vcc_lo, 21, v26
	v_cndmask_b32_e32 v30, v30, v23, vcc_lo
	v_cmp_eq_u32_e32 vcc_lo, 22, v26
	s_delay_alu instid0(VALU_DEP_2) | instskip(SKIP_1) | instid1(VALU_DEP_2)
	v_cndmask_b32_e32 v30, v30, v24, vcc_lo
	v_cmp_eq_u32_e32 vcc_lo, 23, v26
	v_cndmask_b32_e32 v30, v30, v25, vcc_lo
	v_cmp_lt_u32_e32 vcc_lo, 11, v26
	s_wait_dscnt 0x0
	s_delay_alu instid0(VALU_DEP_2) | instskip(SKIP_1) | instid1(SALU_CYCLE_1)
	v_fmac_f32_e32 v28, v30, v31
	s_or_b32 s2, vcc_lo, s2
	s_and_not1_b32 exec_lo, exec_lo, s2
	s_cbranch_execnz .LBB87_483
; %bb.484:
	s_or_b32 exec_lo, exec_lo, s2
.LBB87_485:
	s_delay_alu instid0(SALU_CYCLE_1)
	s_or_b32 exec_lo, exec_lo, s1
	v_mov_b32_e32 v15, 0
	ds_load_b32 v15, v15 offset:52
	s_wait_dscnt 0x0
	v_mul_f32_e32 v15, v28, v15
.LBB87_486:
	s_or_b32 exec_lo, exec_lo, s0
	s_delay_alu instid0(SALU_CYCLE_1)
	s_mov_b32 s0, exec_lo
	ds_store_b32 v117, v16
	s_wait_dscnt 0x0
	s_barrier_signal -1
	s_barrier_wait -1
	v_cmpx_gt_u32_e32 14, v0
	s_cbranch_execz .LBB87_496
; %bb.487:
	v_cmp_ne_u32_e32 vcc_lo, 1, v34
	s_cbranch_vccnz .LBB87_489
; %bb.488:
	v_cmp_eq_u32_e32 vcc_lo, 1, v0
	ds_load_b32 v27, v117
	v_cndmask_b32_e32 v26, v2, v3, vcc_lo
	v_cmp_eq_u32_e32 vcc_lo, 2, v0
	s_delay_alu instid0(VALU_DEP_2) | instskip(SKIP_1) | instid1(VALU_DEP_2)
	v_cndmask_b32_e32 v26, v26, v4, vcc_lo
	v_cmp_eq_u32_e32 vcc_lo, 3, v0
	v_cndmask_b32_e32 v26, v26, v5, vcc_lo
	v_cmp_eq_u32_e32 vcc_lo, 4, v0
	s_delay_alu instid0(VALU_DEP_2) | instskip(SKIP_1) | instid1(VALU_DEP_2)
	v_cndmask_b32_e32 v26, v26, v6, vcc_lo
	v_cmp_eq_u32_e32 vcc_lo, 5, v0
	;; [unrolled: 5-line block ×11, first 2 shown]
	v_cndmask_b32_e32 v26, v26, v25, vcc_lo
	s_wait_dscnt 0x0
	s_delay_alu instid0(VALU_DEP_1)
	v_mul_f32_e32 v28, v26, v27
	s_cbranch_execz .LBB87_490
	s_branch .LBB87_491
.LBB87_489:
                                        ; implicit-def: $vgpr28
.LBB87_490:
	ds_load_b32 v28, v117
.LBB87_491:
	s_mov_b32 s1, exec_lo
	v_cmpx_ne_u32_e32 13, v0
	s_cbranch_execz .LBB87_495
; %bb.492:
	v_mov_b64_e32 v[26:27], v[0:1]
	v_lshl_add_u32 v29, v0, 2, 0x64
	s_mov_b32 s2, 0
.LBB87_493:                             ; =>This Inner Loop Header: Depth=1
	s_delay_alu instid0(VALU_DEP_2)
	v_add_nc_u64_e32 v[26:27], 1, v[26:27]
	ds_load_b32 v31, v29
	v_add_nc_u32_e32 v29, 4, v29
	v_cmp_eq_u32_e32 vcc_lo, 1, v26
	v_cndmask_b32_e32 v30, v2, v3, vcc_lo
	v_cmp_eq_u32_e32 vcc_lo, 2, v26
	s_delay_alu instid0(VALU_DEP_2) | instskip(SKIP_1) | instid1(VALU_DEP_2)
	v_cndmask_b32_e32 v30, v30, v4, vcc_lo
	v_cmp_eq_u32_e32 vcc_lo, 3, v26
	v_cndmask_b32_e32 v30, v30, v5, vcc_lo
	v_cmp_eq_u32_e32 vcc_lo, 4, v26
	s_delay_alu instid0(VALU_DEP_2) | instskip(SKIP_1) | instid1(VALU_DEP_2)
	v_cndmask_b32_e32 v30, v30, v6, vcc_lo
	;; [unrolled: 5-line block ×11, first 2 shown]
	v_cmp_eq_u32_e32 vcc_lo, 23, v26
	v_cndmask_b32_e32 v30, v30, v25, vcc_lo
	v_cmp_lt_u32_e32 vcc_lo, 12, v26
	s_wait_dscnt 0x0
	s_delay_alu instid0(VALU_DEP_2) | instskip(SKIP_1) | instid1(SALU_CYCLE_1)
	v_fmac_f32_e32 v28, v30, v31
	s_or_b32 s2, vcc_lo, s2
	s_and_not1_b32 exec_lo, exec_lo, s2
	s_cbranch_execnz .LBB87_493
; %bb.494:
	s_or_b32 exec_lo, exec_lo, s2
.LBB87_495:
	s_delay_alu instid0(SALU_CYCLE_1)
	s_or_b32 exec_lo, exec_lo, s1
	v_mov_b32_e32 v16, 0
	ds_load_b32 v16, v16 offset:56
	s_wait_dscnt 0x0
	v_mul_f32_e32 v16, v28, v16
.LBB87_496:
	s_or_b32 exec_lo, exec_lo, s0
	s_delay_alu instid0(SALU_CYCLE_1)
	s_mov_b32 s0, exec_lo
	ds_store_b32 v117, v17
	s_wait_dscnt 0x0
	s_barrier_signal -1
	s_barrier_wait -1
	v_cmpx_gt_u32_e32 15, v0
	s_cbranch_execz .LBB87_506
; %bb.497:
	v_cmp_ne_u32_e32 vcc_lo, 1, v34
	s_cbranch_vccnz .LBB87_499
; %bb.498:
	v_cmp_eq_u32_e32 vcc_lo, 1, v0
	ds_load_b32 v27, v117
	v_cndmask_b32_e32 v26, v2, v3, vcc_lo
	v_cmp_eq_u32_e32 vcc_lo, 2, v0
	s_delay_alu instid0(VALU_DEP_2) | instskip(SKIP_1) | instid1(VALU_DEP_2)
	v_cndmask_b32_e32 v26, v26, v4, vcc_lo
	v_cmp_eq_u32_e32 vcc_lo, 3, v0
	v_cndmask_b32_e32 v26, v26, v5, vcc_lo
	v_cmp_eq_u32_e32 vcc_lo, 4, v0
	s_delay_alu instid0(VALU_DEP_2) | instskip(SKIP_1) | instid1(VALU_DEP_2)
	v_cndmask_b32_e32 v26, v26, v6, vcc_lo
	v_cmp_eq_u32_e32 vcc_lo, 5, v0
	;; [unrolled: 5-line block ×11, first 2 shown]
	v_cndmask_b32_e32 v26, v26, v25, vcc_lo
	s_wait_dscnt 0x0
	s_delay_alu instid0(VALU_DEP_1)
	v_mul_f32_e32 v28, v26, v27
	s_cbranch_execz .LBB87_500
	s_branch .LBB87_501
.LBB87_499:
                                        ; implicit-def: $vgpr28
.LBB87_500:
	ds_load_b32 v28, v117
.LBB87_501:
	s_mov_b32 s1, exec_lo
	v_cmpx_ne_u32_e32 14, v0
	s_cbranch_execz .LBB87_505
; %bb.502:
	v_mov_b64_e32 v[26:27], v[0:1]
	v_lshl_add_u32 v29, v0, 2, 0x64
	s_mov_b32 s2, 0
.LBB87_503:                             ; =>This Inner Loop Header: Depth=1
	s_delay_alu instid0(VALU_DEP_2)
	v_add_nc_u64_e32 v[26:27], 1, v[26:27]
	ds_load_b32 v31, v29
	v_add_nc_u32_e32 v29, 4, v29
	v_cmp_eq_u32_e32 vcc_lo, 1, v26
	v_cndmask_b32_e32 v30, v2, v3, vcc_lo
	v_cmp_eq_u32_e32 vcc_lo, 2, v26
	s_delay_alu instid0(VALU_DEP_2) | instskip(SKIP_1) | instid1(VALU_DEP_2)
	v_cndmask_b32_e32 v30, v30, v4, vcc_lo
	v_cmp_eq_u32_e32 vcc_lo, 3, v26
	v_cndmask_b32_e32 v30, v30, v5, vcc_lo
	v_cmp_eq_u32_e32 vcc_lo, 4, v26
	s_delay_alu instid0(VALU_DEP_2) | instskip(SKIP_1) | instid1(VALU_DEP_2)
	v_cndmask_b32_e32 v30, v30, v6, vcc_lo
	;; [unrolled: 5-line block ×11, first 2 shown]
	v_cmp_eq_u32_e32 vcc_lo, 23, v26
	v_cndmask_b32_e32 v30, v30, v25, vcc_lo
	v_cmp_lt_u32_e32 vcc_lo, 13, v26
	s_wait_dscnt 0x0
	s_delay_alu instid0(VALU_DEP_2) | instskip(SKIP_1) | instid1(SALU_CYCLE_1)
	v_fmac_f32_e32 v28, v30, v31
	s_or_b32 s2, vcc_lo, s2
	s_and_not1_b32 exec_lo, exec_lo, s2
	s_cbranch_execnz .LBB87_503
; %bb.504:
	s_or_b32 exec_lo, exec_lo, s2
.LBB87_505:
	s_delay_alu instid0(SALU_CYCLE_1)
	s_or_b32 exec_lo, exec_lo, s1
	v_mov_b32_e32 v17, 0
	ds_load_b32 v17, v17 offset:60
	s_wait_dscnt 0x0
	v_mul_f32_e32 v17, v28, v17
.LBB87_506:
	s_or_b32 exec_lo, exec_lo, s0
	s_delay_alu instid0(SALU_CYCLE_1)
	s_mov_b32 s0, exec_lo
	ds_store_b32 v117, v18
	s_wait_dscnt 0x0
	s_barrier_signal -1
	s_barrier_wait -1
	v_cmpx_gt_u32_e32 16, v0
	s_cbranch_execz .LBB87_516
; %bb.507:
	v_cmp_ne_u32_e32 vcc_lo, 1, v34
	s_cbranch_vccnz .LBB87_509
; %bb.508:
	v_cmp_eq_u32_e32 vcc_lo, 1, v0
	ds_load_b32 v27, v117
	v_cndmask_b32_e32 v26, v2, v3, vcc_lo
	v_cmp_eq_u32_e32 vcc_lo, 2, v0
	s_delay_alu instid0(VALU_DEP_2) | instskip(SKIP_1) | instid1(VALU_DEP_2)
	v_cndmask_b32_e32 v26, v26, v4, vcc_lo
	v_cmp_eq_u32_e32 vcc_lo, 3, v0
	v_cndmask_b32_e32 v26, v26, v5, vcc_lo
	v_cmp_eq_u32_e32 vcc_lo, 4, v0
	s_delay_alu instid0(VALU_DEP_2) | instskip(SKIP_1) | instid1(VALU_DEP_2)
	v_cndmask_b32_e32 v26, v26, v6, vcc_lo
	v_cmp_eq_u32_e32 vcc_lo, 5, v0
	;; [unrolled: 5-line block ×11, first 2 shown]
	v_cndmask_b32_e32 v26, v26, v25, vcc_lo
	s_wait_dscnt 0x0
	s_delay_alu instid0(VALU_DEP_1)
	v_mul_f32_e32 v28, v26, v27
	s_cbranch_execz .LBB87_510
	s_branch .LBB87_511
.LBB87_509:
                                        ; implicit-def: $vgpr28
.LBB87_510:
	ds_load_b32 v28, v117
.LBB87_511:
	s_mov_b32 s1, exec_lo
	v_cmpx_ne_u32_e32 15, v0
	s_cbranch_execz .LBB87_515
; %bb.512:
	v_mov_b64_e32 v[26:27], v[0:1]
	v_lshl_add_u32 v29, v0, 2, 0x64
	s_mov_b32 s2, 0
.LBB87_513:                             ; =>This Inner Loop Header: Depth=1
	s_delay_alu instid0(VALU_DEP_2)
	v_add_nc_u64_e32 v[26:27], 1, v[26:27]
	ds_load_b32 v31, v29
	v_add_nc_u32_e32 v29, 4, v29
	v_cmp_eq_u32_e32 vcc_lo, 1, v26
	v_cndmask_b32_e32 v30, v2, v3, vcc_lo
	v_cmp_eq_u32_e32 vcc_lo, 2, v26
	s_delay_alu instid0(VALU_DEP_2) | instskip(SKIP_1) | instid1(VALU_DEP_2)
	v_cndmask_b32_e32 v30, v30, v4, vcc_lo
	v_cmp_eq_u32_e32 vcc_lo, 3, v26
	v_cndmask_b32_e32 v30, v30, v5, vcc_lo
	v_cmp_eq_u32_e32 vcc_lo, 4, v26
	s_delay_alu instid0(VALU_DEP_2) | instskip(SKIP_1) | instid1(VALU_DEP_2)
	v_cndmask_b32_e32 v30, v30, v6, vcc_lo
	v_cmp_eq_u32_e32 vcc_lo, 5, v26
	v_cndmask_b32_e32 v30, v30, v7, vcc_lo
	v_cmp_eq_u32_e32 vcc_lo, 6, v26
	s_delay_alu instid0(VALU_DEP_2) | instskip(SKIP_1) | instid1(VALU_DEP_2)
	v_cndmask_b32_e32 v30, v30, v8, vcc_lo
	v_cmp_eq_u32_e32 vcc_lo, 7, v26
	v_cndmask_b32_e32 v30, v30, v9, vcc_lo
	v_cmp_eq_u32_e32 vcc_lo, 8, v26
	s_delay_alu instid0(VALU_DEP_2) | instskip(SKIP_1) | instid1(VALU_DEP_2)
	v_cndmask_b32_e32 v30, v30, v10, vcc_lo
	v_cmp_eq_u32_e32 vcc_lo, 9, v26
	v_cndmask_b32_e32 v30, v30, v11, vcc_lo
	v_cmp_eq_u32_e32 vcc_lo, 10, v26
	s_delay_alu instid0(VALU_DEP_2) | instskip(SKIP_1) | instid1(VALU_DEP_2)
	v_cndmask_b32_e32 v30, v30, v12, vcc_lo
	v_cmp_eq_u32_e32 vcc_lo, 11, v26
	v_cndmask_b32_e32 v30, v30, v13, vcc_lo
	v_cmp_eq_u32_e32 vcc_lo, 12, v26
	s_delay_alu instid0(VALU_DEP_2) | instskip(SKIP_1) | instid1(VALU_DEP_2)
	v_cndmask_b32_e32 v30, v30, v14, vcc_lo
	v_cmp_eq_u32_e32 vcc_lo, 13, v26
	v_cndmask_b32_e32 v30, v30, v15, vcc_lo
	v_cmp_eq_u32_e32 vcc_lo, 14, v26
	s_delay_alu instid0(VALU_DEP_2) | instskip(SKIP_1) | instid1(VALU_DEP_2)
	v_cndmask_b32_e32 v30, v30, v16, vcc_lo
	v_cmp_eq_u32_e32 vcc_lo, 15, v26
	v_cndmask_b32_e32 v30, v30, v17, vcc_lo
	v_cmp_eq_u32_e32 vcc_lo, 16, v26
	s_delay_alu instid0(VALU_DEP_2) | instskip(SKIP_1) | instid1(VALU_DEP_2)
	v_cndmask_b32_e32 v30, v30, v18, vcc_lo
	v_cmp_eq_u32_e32 vcc_lo, 17, v26
	v_cndmask_b32_e32 v30, v30, v19, vcc_lo
	v_cmp_eq_u32_e32 vcc_lo, 18, v26
	s_delay_alu instid0(VALU_DEP_2) | instskip(SKIP_1) | instid1(VALU_DEP_2)
	v_cndmask_b32_e32 v30, v30, v20, vcc_lo
	v_cmp_eq_u32_e32 vcc_lo, 19, v26
	v_cndmask_b32_e32 v30, v30, v21, vcc_lo
	v_cmp_eq_u32_e32 vcc_lo, 20, v26
	s_delay_alu instid0(VALU_DEP_2) | instskip(SKIP_1) | instid1(VALU_DEP_2)
	v_cndmask_b32_e32 v30, v30, v22, vcc_lo
	v_cmp_eq_u32_e32 vcc_lo, 21, v26
	v_cndmask_b32_e32 v30, v30, v23, vcc_lo
	v_cmp_eq_u32_e32 vcc_lo, 22, v26
	s_delay_alu instid0(VALU_DEP_2) | instskip(SKIP_1) | instid1(VALU_DEP_2)
	v_cndmask_b32_e32 v30, v30, v24, vcc_lo
	v_cmp_eq_u32_e32 vcc_lo, 23, v26
	v_cndmask_b32_e32 v30, v30, v25, vcc_lo
	v_cmp_lt_u32_e32 vcc_lo, 14, v26
	s_wait_dscnt 0x0
	s_delay_alu instid0(VALU_DEP_2) | instskip(SKIP_1) | instid1(SALU_CYCLE_1)
	v_fmac_f32_e32 v28, v30, v31
	s_or_b32 s2, vcc_lo, s2
	s_and_not1_b32 exec_lo, exec_lo, s2
	s_cbranch_execnz .LBB87_513
; %bb.514:
	s_or_b32 exec_lo, exec_lo, s2
.LBB87_515:
	s_delay_alu instid0(SALU_CYCLE_1)
	s_or_b32 exec_lo, exec_lo, s1
	v_mov_b32_e32 v18, 0
	ds_load_b32 v18, v18 offset:64
	s_wait_dscnt 0x0
	v_mul_f32_e32 v18, v28, v18
.LBB87_516:
	s_or_b32 exec_lo, exec_lo, s0
	s_delay_alu instid0(SALU_CYCLE_1)
	s_mov_b32 s0, exec_lo
	ds_store_b32 v117, v19
	s_wait_dscnt 0x0
	s_barrier_signal -1
	s_barrier_wait -1
	v_cmpx_gt_u32_e32 17, v0
	s_cbranch_execz .LBB87_526
; %bb.517:
	v_cmp_ne_u32_e32 vcc_lo, 1, v34
	s_cbranch_vccnz .LBB87_519
; %bb.518:
	v_cmp_eq_u32_e32 vcc_lo, 1, v0
	ds_load_b32 v27, v117
	v_cndmask_b32_e32 v26, v2, v3, vcc_lo
	v_cmp_eq_u32_e32 vcc_lo, 2, v0
	s_delay_alu instid0(VALU_DEP_2) | instskip(SKIP_1) | instid1(VALU_DEP_2)
	v_cndmask_b32_e32 v26, v26, v4, vcc_lo
	v_cmp_eq_u32_e32 vcc_lo, 3, v0
	v_cndmask_b32_e32 v26, v26, v5, vcc_lo
	v_cmp_eq_u32_e32 vcc_lo, 4, v0
	s_delay_alu instid0(VALU_DEP_2) | instskip(SKIP_1) | instid1(VALU_DEP_2)
	v_cndmask_b32_e32 v26, v26, v6, vcc_lo
	v_cmp_eq_u32_e32 vcc_lo, 5, v0
	v_cndmask_b32_e32 v26, v26, v7, vcc_lo
	v_cmp_eq_u32_e32 vcc_lo, 6, v0
	s_delay_alu instid0(VALU_DEP_2) | instskip(SKIP_1) | instid1(VALU_DEP_2)
	v_cndmask_b32_e32 v26, v26, v8, vcc_lo
	v_cmp_eq_u32_e32 vcc_lo, 7, v0
	v_cndmask_b32_e32 v26, v26, v9, vcc_lo
	v_cmp_eq_u32_e32 vcc_lo, 8, v0
	s_delay_alu instid0(VALU_DEP_2) | instskip(SKIP_1) | instid1(VALU_DEP_2)
	v_cndmask_b32_e32 v26, v26, v10, vcc_lo
	v_cmp_eq_u32_e32 vcc_lo, 9, v0
	v_cndmask_b32_e32 v26, v26, v11, vcc_lo
	v_cmp_eq_u32_e32 vcc_lo, 10, v0
	s_delay_alu instid0(VALU_DEP_2) | instskip(SKIP_1) | instid1(VALU_DEP_2)
	v_cndmask_b32_e32 v26, v26, v12, vcc_lo
	v_cmp_eq_u32_e32 vcc_lo, 11, v0
	v_cndmask_b32_e32 v26, v26, v13, vcc_lo
	v_cmp_eq_u32_e32 vcc_lo, 12, v0
	s_delay_alu instid0(VALU_DEP_2) | instskip(SKIP_1) | instid1(VALU_DEP_2)
	v_cndmask_b32_e32 v26, v26, v14, vcc_lo
	v_cmp_eq_u32_e32 vcc_lo, 13, v0
	v_cndmask_b32_e32 v26, v26, v15, vcc_lo
	v_cmp_eq_u32_e32 vcc_lo, 14, v0
	s_delay_alu instid0(VALU_DEP_2) | instskip(SKIP_1) | instid1(VALU_DEP_2)
	v_cndmask_b32_e32 v26, v26, v16, vcc_lo
	v_cmp_eq_u32_e32 vcc_lo, 15, v0
	v_cndmask_b32_e32 v26, v26, v17, vcc_lo
	v_cmp_eq_u32_e32 vcc_lo, 16, v0
	s_delay_alu instid0(VALU_DEP_2) | instskip(SKIP_1) | instid1(VALU_DEP_2)
	v_cndmask_b32_e32 v26, v26, v18, vcc_lo
	v_cmp_eq_u32_e32 vcc_lo, 17, v0
	v_cndmask_b32_e32 v26, v26, v19, vcc_lo
	v_cmp_eq_u32_e32 vcc_lo, 18, v0
	s_delay_alu instid0(VALU_DEP_2) | instskip(SKIP_1) | instid1(VALU_DEP_2)
	v_cndmask_b32_e32 v26, v26, v20, vcc_lo
	v_cmp_eq_u32_e32 vcc_lo, 19, v0
	v_cndmask_b32_e32 v26, v26, v21, vcc_lo
	v_cmp_eq_u32_e32 vcc_lo, 20, v0
	s_delay_alu instid0(VALU_DEP_2) | instskip(SKIP_1) | instid1(VALU_DEP_2)
	v_cndmask_b32_e32 v26, v26, v22, vcc_lo
	v_cmp_eq_u32_e32 vcc_lo, 21, v0
	v_cndmask_b32_e32 v26, v26, v23, vcc_lo
	v_cmp_eq_u32_e32 vcc_lo, 22, v0
	s_delay_alu instid0(VALU_DEP_2) | instskip(SKIP_1) | instid1(VALU_DEP_2)
	v_cndmask_b32_e32 v26, v26, v24, vcc_lo
	v_cmp_eq_u32_e32 vcc_lo, 23, v0
	v_cndmask_b32_e32 v26, v26, v25, vcc_lo
	s_wait_dscnt 0x0
	s_delay_alu instid0(VALU_DEP_1)
	v_mul_f32_e32 v28, v26, v27
	s_cbranch_execz .LBB87_520
	s_branch .LBB87_521
.LBB87_519:
                                        ; implicit-def: $vgpr28
.LBB87_520:
	ds_load_b32 v28, v117
.LBB87_521:
	s_mov_b32 s1, exec_lo
	v_cmpx_ne_u32_e32 16, v0
	s_cbranch_execz .LBB87_525
; %bb.522:
	v_mov_b64_e32 v[26:27], v[0:1]
	v_lshl_add_u32 v29, v0, 2, 0x64
	s_mov_b32 s2, 0
.LBB87_523:                             ; =>This Inner Loop Header: Depth=1
	s_delay_alu instid0(VALU_DEP_2)
	v_add_nc_u64_e32 v[26:27], 1, v[26:27]
	ds_load_b32 v31, v29
	v_add_nc_u32_e32 v29, 4, v29
	v_cmp_eq_u32_e32 vcc_lo, 1, v26
	v_cndmask_b32_e32 v30, v2, v3, vcc_lo
	v_cmp_eq_u32_e32 vcc_lo, 2, v26
	s_delay_alu instid0(VALU_DEP_2) | instskip(SKIP_1) | instid1(VALU_DEP_2)
	v_cndmask_b32_e32 v30, v30, v4, vcc_lo
	v_cmp_eq_u32_e32 vcc_lo, 3, v26
	v_cndmask_b32_e32 v30, v30, v5, vcc_lo
	v_cmp_eq_u32_e32 vcc_lo, 4, v26
	s_delay_alu instid0(VALU_DEP_2) | instskip(SKIP_1) | instid1(VALU_DEP_2)
	v_cndmask_b32_e32 v30, v30, v6, vcc_lo
	;; [unrolled: 5-line block ×11, first 2 shown]
	v_cmp_eq_u32_e32 vcc_lo, 23, v26
	v_cndmask_b32_e32 v30, v30, v25, vcc_lo
	v_cmp_lt_u32_e32 vcc_lo, 15, v26
	s_wait_dscnt 0x0
	s_delay_alu instid0(VALU_DEP_2) | instskip(SKIP_1) | instid1(SALU_CYCLE_1)
	v_fmac_f32_e32 v28, v30, v31
	s_or_b32 s2, vcc_lo, s2
	s_and_not1_b32 exec_lo, exec_lo, s2
	s_cbranch_execnz .LBB87_523
; %bb.524:
	s_or_b32 exec_lo, exec_lo, s2
.LBB87_525:
	s_delay_alu instid0(SALU_CYCLE_1)
	s_or_b32 exec_lo, exec_lo, s1
	v_mov_b32_e32 v19, 0
	ds_load_b32 v19, v19 offset:68
	s_wait_dscnt 0x0
	v_mul_f32_e32 v19, v28, v19
.LBB87_526:
	s_or_b32 exec_lo, exec_lo, s0
	s_delay_alu instid0(SALU_CYCLE_1)
	s_mov_b32 s0, exec_lo
	ds_store_b32 v117, v20
	s_wait_dscnt 0x0
	s_barrier_signal -1
	s_barrier_wait -1
	v_cmpx_gt_u32_e32 18, v0
	s_cbranch_execz .LBB87_536
; %bb.527:
	v_cmp_ne_u32_e32 vcc_lo, 1, v34
	s_cbranch_vccnz .LBB87_529
; %bb.528:
	v_cmp_eq_u32_e32 vcc_lo, 1, v0
	ds_load_b32 v27, v117
	v_cndmask_b32_e32 v26, v2, v3, vcc_lo
	v_cmp_eq_u32_e32 vcc_lo, 2, v0
	s_delay_alu instid0(VALU_DEP_2) | instskip(SKIP_1) | instid1(VALU_DEP_2)
	v_cndmask_b32_e32 v26, v26, v4, vcc_lo
	v_cmp_eq_u32_e32 vcc_lo, 3, v0
	v_cndmask_b32_e32 v26, v26, v5, vcc_lo
	v_cmp_eq_u32_e32 vcc_lo, 4, v0
	s_delay_alu instid0(VALU_DEP_2) | instskip(SKIP_1) | instid1(VALU_DEP_2)
	v_cndmask_b32_e32 v26, v26, v6, vcc_lo
	v_cmp_eq_u32_e32 vcc_lo, 5, v0
	v_cndmask_b32_e32 v26, v26, v7, vcc_lo
	v_cmp_eq_u32_e32 vcc_lo, 6, v0
	s_delay_alu instid0(VALU_DEP_2) | instskip(SKIP_1) | instid1(VALU_DEP_2)
	v_cndmask_b32_e32 v26, v26, v8, vcc_lo
	v_cmp_eq_u32_e32 vcc_lo, 7, v0
	v_cndmask_b32_e32 v26, v26, v9, vcc_lo
	v_cmp_eq_u32_e32 vcc_lo, 8, v0
	s_delay_alu instid0(VALU_DEP_2) | instskip(SKIP_1) | instid1(VALU_DEP_2)
	v_cndmask_b32_e32 v26, v26, v10, vcc_lo
	v_cmp_eq_u32_e32 vcc_lo, 9, v0
	v_cndmask_b32_e32 v26, v26, v11, vcc_lo
	v_cmp_eq_u32_e32 vcc_lo, 10, v0
	s_delay_alu instid0(VALU_DEP_2) | instskip(SKIP_1) | instid1(VALU_DEP_2)
	v_cndmask_b32_e32 v26, v26, v12, vcc_lo
	v_cmp_eq_u32_e32 vcc_lo, 11, v0
	v_cndmask_b32_e32 v26, v26, v13, vcc_lo
	v_cmp_eq_u32_e32 vcc_lo, 12, v0
	s_delay_alu instid0(VALU_DEP_2) | instskip(SKIP_1) | instid1(VALU_DEP_2)
	v_cndmask_b32_e32 v26, v26, v14, vcc_lo
	v_cmp_eq_u32_e32 vcc_lo, 13, v0
	v_cndmask_b32_e32 v26, v26, v15, vcc_lo
	v_cmp_eq_u32_e32 vcc_lo, 14, v0
	s_delay_alu instid0(VALU_DEP_2) | instskip(SKIP_1) | instid1(VALU_DEP_2)
	v_cndmask_b32_e32 v26, v26, v16, vcc_lo
	v_cmp_eq_u32_e32 vcc_lo, 15, v0
	v_cndmask_b32_e32 v26, v26, v17, vcc_lo
	v_cmp_eq_u32_e32 vcc_lo, 16, v0
	s_delay_alu instid0(VALU_DEP_2) | instskip(SKIP_1) | instid1(VALU_DEP_2)
	v_cndmask_b32_e32 v26, v26, v18, vcc_lo
	v_cmp_eq_u32_e32 vcc_lo, 17, v0
	v_cndmask_b32_e32 v26, v26, v19, vcc_lo
	v_cmp_eq_u32_e32 vcc_lo, 18, v0
	s_delay_alu instid0(VALU_DEP_2) | instskip(SKIP_1) | instid1(VALU_DEP_2)
	v_cndmask_b32_e32 v26, v26, v20, vcc_lo
	v_cmp_eq_u32_e32 vcc_lo, 19, v0
	v_cndmask_b32_e32 v26, v26, v21, vcc_lo
	v_cmp_eq_u32_e32 vcc_lo, 20, v0
	s_delay_alu instid0(VALU_DEP_2) | instskip(SKIP_1) | instid1(VALU_DEP_2)
	v_cndmask_b32_e32 v26, v26, v22, vcc_lo
	v_cmp_eq_u32_e32 vcc_lo, 21, v0
	v_cndmask_b32_e32 v26, v26, v23, vcc_lo
	v_cmp_eq_u32_e32 vcc_lo, 22, v0
	s_delay_alu instid0(VALU_DEP_2) | instskip(SKIP_1) | instid1(VALU_DEP_2)
	v_cndmask_b32_e32 v26, v26, v24, vcc_lo
	v_cmp_eq_u32_e32 vcc_lo, 23, v0
	v_cndmask_b32_e32 v26, v26, v25, vcc_lo
	s_wait_dscnt 0x0
	s_delay_alu instid0(VALU_DEP_1)
	v_mul_f32_e32 v28, v26, v27
	s_cbranch_execz .LBB87_530
	s_branch .LBB87_531
.LBB87_529:
                                        ; implicit-def: $vgpr28
.LBB87_530:
	ds_load_b32 v28, v117
.LBB87_531:
	s_mov_b32 s1, exec_lo
	v_cmpx_ne_u32_e32 17, v0
	s_cbranch_execz .LBB87_535
; %bb.532:
	v_mov_b64_e32 v[26:27], v[0:1]
	v_lshl_add_u32 v29, v0, 2, 0x64
	s_mov_b32 s2, 0
.LBB87_533:                             ; =>This Inner Loop Header: Depth=1
	s_delay_alu instid0(VALU_DEP_2)
	v_add_nc_u64_e32 v[26:27], 1, v[26:27]
	ds_load_b32 v31, v29
	v_add_nc_u32_e32 v29, 4, v29
	v_cmp_eq_u32_e32 vcc_lo, 1, v26
	v_cndmask_b32_e32 v30, v2, v3, vcc_lo
	v_cmp_eq_u32_e32 vcc_lo, 2, v26
	s_delay_alu instid0(VALU_DEP_2) | instskip(SKIP_1) | instid1(VALU_DEP_2)
	v_cndmask_b32_e32 v30, v30, v4, vcc_lo
	v_cmp_eq_u32_e32 vcc_lo, 3, v26
	v_cndmask_b32_e32 v30, v30, v5, vcc_lo
	v_cmp_eq_u32_e32 vcc_lo, 4, v26
	s_delay_alu instid0(VALU_DEP_2) | instskip(SKIP_1) | instid1(VALU_DEP_2)
	v_cndmask_b32_e32 v30, v30, v6, vcc_lo
	;; [unrolled: 5-line block ×11, first 2 shown]
	v_cmp_eq_u32_e32 vcc_lo, 23, v26
	v_cndmask_b32_e32 v30, v30, v25, vcc_lo
	v_cmp_lt_u32_e32 vcc_lo, 16, v26
	s_wait_dscnt 0x0
	s_delay_alu instid0(VALU_DEP_2) | instskip(SKIP_1) | instid1(SALU_CYCLE_1)
	v_fmac_f32_e32 v28, v30, v31
	s_or_b32 s2, vcc_lo, s2
	s_and_not1_b32 exec_lo, exec_lo, s2
	s_cbranch_execnz .LBB87_533
; %bb.534:
	s_or_b32 exec_lo, exec_lo, s2
.LBB87_535:
	s_delay_alu instid0(SALU_CYCLE_1)
	s_or_b32 exec_lo, exec_lo, s1
	v_mov_b32_e32 v20, 0
	ds_load_b32 v20, v20 offset:72
	s_wait_dscnt 0x0
	v_mul_f32_e32 v20, v28, v20
.LBB87_536:
	s_or_b32 exec_lo, exec_lo, s0
	s_delay_alu instid0(SALU_CYCLE_1)
	s_mov_b32 s0, exec_lo
	ds_store_b32 v117, v21
	s_wait_dscnt 0x0
	s_barrier_signal -1
	s_barrier_wait -1
	v_cmpx_gt_u32_e32 19, v0
	s_cbranch_execz .LBB87_546
; %bb.537:
	v_cmp_ne_u32_e32 vcc_lo, 1, v34
	s_cbranch_vccnz .LBB87_539
; %bb.538:
	v_cmp_eq_u32_e32 vcc_lo, 1, v0
	ds_load_b32 v27, v117
	v_cndmask_b32_e32 v26, v2, v3, vcc_lo
	v_cmp_eq_u32_e32 vcc_lo, 2, v0
	s_delay_alu instid0(VALU_DEP_2) | instskip(SKIP_1) | instid1(VALU_DEP_2)
	v_cndmask_b32_e32 v26, v26, v4, vcc_lo
	v_cmp_eq_u32_e32 vcc_lo, 3, v0
	v_cndmask_b32_e32 v26, v26, v5, vcc_lo
	v_cmp_eq_u32_e32 vcc_lo, 4, v0
	s_delay_alu instid0(VALU_DEP_2) | instskip(SKIP_1) | instid1(VALU_DEP_2)
	v_cndmask_b32_e32 v26, v26, v6, vcc_lo
	v_cmp_eq_u32_e32 vcc_lo, 5, v0
	v_cndmask_b32_e32 v26, v26, v7, vcc_lo
	v_cmp_eq_u32_e32 vcc_lo, 6, v0
	s_delay_alu instid0(VALU_DEP_2) | instskip(SKIP_1) | instid1(VALU_DEP_2)
	v_cndmask_b32_e32 v26, v26, v8, vcc_lo
	v_cmp_eq_u32_e32 vcc_lo, 7, v0
	v_cndmask_b32_e32 v26, v26, v9, vcc_lo
	v_cmp_eq_u32_e32 vcc_lo, 8, v0
	s_delay_alu instid0(VALU_DEP_2) | instskip(SKIP_1) | instid1(VALU_DEP_2)
	v_cndmask_b32_e32 v26, v26, v10, vcc_lo
	v_cmp_eq_u32_e32 vcc_lo, 9, v0
	v_cndmask_b32_e32 v26, v26, v11, vcc_lo
	v_cmp_eq_u32_e32 vcc_lo, 10, v0
	s_delay_alu instid0(VALU_DEP_2) | instskip(SKIP_1) | instid1(VALU_DEP_2)
	v_cndmask_b32_e32 v26, v26, v12, vcc_lo
	v_cmp_eq_u32_e32 vcc_lo, 11, v0
	v_cndmask_b32_e32 v26, v26, v13, vcc_lo
	v_cmp_eq_u32_e32 vcc_lo, 12, v0
	s_delay_alu instid0(VALU_DEP_2) | instskip(SKIP_1) | instid1(VALU_DEP_2)
	v_cndmask_b32_e32 v26, v26, v14, vcc_lo
	v_cmp_eq_u32_e32 vcc_lo, 13, v0
	v_cndmask_b32_e32 v26, v26, v15, vcc_lo
	v_cmp_eq_u32_e32 vcc_lo, 14, v0
	s_delay_alu instid0(VALU_DEP_2) | instskip(SKIP_1) | instid1(VALU_DEP_2)
	v_cndmask_b32_e32 v26, v26, v16, vcc_lo
	v_cmp_eq_u32_e32 vcc_lo, 15, v0
	v_cndmask_b32_e32 v26, v26, v17, vcc_lo
	v_cmp_eq_u32_e32 vcc_lo, 16, v0
	s_delay_alu instid0(VALU_DEP_2) | instskip(SKIP_1) | instid1(VALU_DEP_2)
	v_cndmask_b32_e32 v26, v26, v18, vcc_lo
	v_cmp_eq_u32_e32 vcc_lo, 17, v0
	v_cndmask_b32_e32 v26, v26, v19, vcc_lo
	v_cmp_eq_u32_e32 vcc_lo, 18, v0
	s_delay_alu instid0(VALU_DEP_2) | instskip(SKIP_1) | instid1(VALU_DEP_2)
	v_cndmask_b32_e32 v26, v26, v20, vcc_lo
	v_cmp_eq_u32_e32 vcc_lo, 19, v0
	v_cndmask_b32_e32 v26, v26, v21, vcc_lo
	v_cmp_eq_u32_e32 vcc_lo, 20, v0
	s_delay_alu instid0(VALU_DEP_2) | instskip(SKIP_1) | instid1(VALU_DEP_2)
	v_cndmask_b32_e32 v26, v26, v22, vcc_lo
	v_cmp_eq_u32_e32 vcc_lo, 21, v0
	v_cndmask_b32_e32 v26, v26, v23, vcc_lo
	v_cmp_eq_u32_e32 vcc_lo, 22, v0
	s_delay_alu instid0(VALU_DEP_2) | instskip(SKIP_1) | instid1(VALU_DEP_2)
	v_cndmask_b32_e32 v26, v26, v24, vcc_lo
	v_cmp_eq_u32_e32 vcc_lo, 23, v0
	v_cndmask_b32_e32 v26, v26, v25, vcc_lo
	s_wait_dscnt 0x0
	s_delay_alu instid0(VALU_DEP_1)
	v_mul_f32_e32 v28, v26, v27
	s_cbranch_execz .LBB87_540
	s_branch .LBB87_541
.LBB87_539:
                                        ; implicit-def: $vgpr28
.LBB87_540:
	ds_load_b32 v28, v117
.LBB87_541:
	s_mov_b32 s1, exec_lo
	v_cmpx_ne_u32_e32 18, v0
	s_cbranch_execz .LBB87_545
; %bb.542:
	v_mov_b64_e32 v[26:27], v[0:1]
	v_lshl_add_u32 v29, v0, 2, 0x64
	s_mov_b32 s2, 0
.LBB87_543:                             ; =>This Inner Loop Header: Depth=1
	s_delay_alu instid0(VALU_DEP_2)
	v_add_nc_u64_e32 v[26:27], 1, v[26:27]
	ds_load_b32 v31, v29
	v_add_nc_u32_e32 v29, 4, v29
	v_cmp_eq_u32_e32 vcc_lo, 1, v26
	v_cndmask_b32_e32 v30, v2, v3, vcc_lo
	v_cmp_eq_u32_e32 vcc_lo, 2, v26
	s_delay_alu instid0(VALU_DEP_2) | instskip(SKIP_1) | instid1(VALU_DEP_2)
	v_cndmask_b32_e32 v30, v30, v4, vcc_lo
	v_cmp_eq_u32_e32 vcc_lo, 3, v26
	v_cndmask_b32_e32 v30, v30, v5, vcc_lo
	v_cmp_eq_u32_e32 vcc_lo, 4, v26
	s_delay_alu instid0(VALU_DEP_2) | instskip(SKIP_1) | instid1(VALU_DEP_2)
	v_cndmask_b32_e32 v30, v30, v6, vcc_lo
	;; [unrolled: 5-line block ×11, first 2 shown]
	v_cmp_eq_u32_e32 vcc_lo, 23, v26
	v_cndmask_b32_e32 v30, v30, v25, vcc_lo
	v_cmp_lt_u32_e32 vcc_lo, 17, v26
	s_wait_dscnt 0x0
	s_delay_alu instid0(VALU_DEP_2) | instskip(SKIP_1) | instid1(SALU_CYCLE_1)
	v_fmac_f32_e32 v28, v30, v31
	s_or_b32 s2, vcc_lo, s2
	s_and_not1_b32 exec_lo, exec_lo, s2
	s_cbranch_execnz .LBB87_543
; %bb.544:
	s_or_b32 exec_lo, exec_lo, s2
.LBB87_545:
	s_delay_alu instid0(SALU_CYCLE_1)
	s_or_b32 exec_lo, exec_lo, s1
	v_mov_b32_e32 v21, 0
	ds_load_b32 v21, v21 offset:76
	s_wait_dscnt 0x0
	v_mul_f32_e32 v21, v28, v21
.LBB87_546:
	s_or_b32 exec_lo, exec_lo, s0
	s_delay_alu instid0(SALU_CYCLE_1)
	s_mov_b32 s0, exec_lo
	ds_store_b32 v117, v22
	s_wait_dscnt 0x0
	s_barrier_signal -1
	s_barrier_wait -1
	v_cmpx_gt_u32_e32 20, v0
	s_cbranch_execz .LBB87_556
; %bb.547:
	v_cmp_ne_u32_e32 vcc_lo, 1, v34
	s_cbranch_vccnz .LBB87_549
; %bb.548:
	v_cmp_eq_u32_e32 vcc_lo, 1, v0
	ds_load_b32 v27, v117
	v_cndmask_b32_e32 v26, v2, v3, vcc_lo
	v_cmp_eq_u32_e32 vcc_lo, 2, v0
	s_delay_alu instid0(VALU_DEP_2) | instskip(SKIP_1) | instid1(VALU_DEP_2)
	v_cndmask_b32_e32 v26, v26, v4, vcc_lo
	v_cmp_eq_u32_e32 vcc_lo, 3, v0
	v_cndmask_b32_e32 v26, v26, v5, vcc_lo
	v_cmp_eq_u32_e32 vcc_lo, 4, v0
	s_delay_alu instid0(VALU_DEP_2) | instskip(SKIP_1) | instid1(VALU_DEP_2)
	v_cndmask_b32_e32 v26, v26, v6, vcc_lo
	v_cmp_eq_u32_e32 vcc_lo, 5, v0
	;; [unrolled: 5-line block ×11, first 2 shown]
	v_cndmask_b32_e32 v26, v26, v25, vcc_lo
	s_wait_dscnt 0x0
	s_delay_alu instid0(VALU_DEP_1)
	v_mul_f32_e32 v28, v26, v27
	s_cbranch_execz .LBB87_550
	s_branch .LBB87_551
.LBB87_549:
                                        ; implicit-def: $vgpr28
.LBB87_550:
	ds_load_b32 v28, v117
.LBB87_551:
	s_mov_b32 s1, exec_lo
	v_cmpx_ne_u32_e32 19, v0
	s_cbranch_execz .LBB87_555
; %bb.552:
	v_mov_b64_e32 v[26:27], v[0:1]
	v_lshl_add_u32 v29, v0, 2, 0x64
	s_mov_b32 s2, 0
.LBB87_553:                             ; =>This Inner Loop Header: Depth=1
	s_delay_alu instid0(VALU_DEP_2)
	v_add_nc_u64_e32 v[26:27], 1, v[26:27]
	ds_load_b32 v31, v29
	v_add_nc_u32_e32 v29, 4, v29
	v_cmp_eq_u32_e32 vcc_lo, 1, v26
	v_cndmask_b32_e32 v30, v2, v3, vcc_lo
	v_cmp_eq_u32_e32 vcc_lo, 2, v26
	s_delay_alu instid0(VALU_DEP_2) | instskip(SKIP_1) | instid1(VALU_DEP_2)
	v_cndmask_b32_e32 v30, v30, v4, vcc_lo
	v_cmp_eq_u32_e32 vcc_lo, 3, v26
	v_cndmask_b32_e32 v30, v30, v5, vcc_lo
	v_cmp_eq_u32_e32 vcc_lo, 4, v26
	s_delay_alu instid0(VALU_DEP_2) | instskip(SKIP_1) | instid1(VALU_DEP_2)
	v_cndmask_b32_e32 v30, v30, v6, vcc_lo
	;; [unrolled: 5-line block ×11, first 2 shown]
	v_cmp_eq_u32_e32 vcc_lo, 23, v26
	v_cndmask_b32_e32 v30, v30, v25, vcc_lo
	v_cmp_lt_u32_e32 vcc_lo, 18, v26
	s_wait_dscnt 0x0
	s_delay_alu instid0(VALU_DEP_2) | instskip(SKIP_1) | instid1(SALU_CYCLE_1)
	v_fmac_f32_e32 v28, v30, v31
	s_or_b32 s2, vcc_lo, s2
	s_and_not1_b32 exec_lo, exec_lo, s2
	s_cbranch_execnz .LBB87_553
; %bb.554:
	s_or_b32 exec_lo, exec_lo, s2
.LBB87_555:
	s_delay_alu instid0(SALU_CYCLE_1)
	s_or_b32 exec_lo, exec_lo, s1
	v_mov_b32_e32 v22, 0
	ds_load_b32 v22, v22 offset:80
	s_wait_dscnt 0x0
	v_mul_f32_e32 v22, v28, v22
.LBB87_556:
	s_or_b32 exec_lo, exec_lo, s0
	s_delay_alu instid0(SALU_CYCLE_1)
	s_mov_b32 s0, exec_lo
	ds_store_b32 v117, v23
	s_wait_dscnt 0x0
	s_barrier_signal -1
	s_barrier_wait -1
	v_cmpx_gt_u32_e32 21, v0
	s_cbranch_execz .LBB87_566
; %bb.557:
	v_cmp_ne_u32_e32 vcc_lo, 1, v34
	s_cbranch_vccnz .LBB87_559
; %bb.558:
	v_cmp_eq_u32_e32 vcc_lo, 1, v0
	ds_load_b32 v27, v117
	v_cndmask_b32_e32 v26, v2, v3, vcc_lo
	v_cmp_eq_u32_e32 vcc_lo, 2, v0
	s_delay_alu instid0(VALU_DEP_2) | instskip(SKIP_1) | instid1(VALU_DEP_2)
	v_cndmask_b32_e32 v26, v26, v4, vcc_lo
	v_cmp_eq_u32_e32 vcc_lo, 3, v0
	v_cndmask_b32_e32 v26, v26, v5, vcc_lo
	v_cmp_eq_u32_e32 vcc_lo, 4, v0
	s_delay_alu instid0(VALU_DEP_2) | instskip(SKIP_1) | instid1(VALU_DEP_2)
	v_cndmask_b32_e32 v26, v26, v6, vcc_lo
	v_cmp_eq_u32_e32 vcc_lo, 5, v0
	;; [unrolled: 5-line block ×11, first 2 shown]
	v_cndmask_b32_e32 v26, v26, v25, vcc_lo
	s_wait_dscnt 0x0
	s_delay_alu instid0(VALU_DEP_1)
	v_mul_f32_e32 v28, v26, v27
	s_cbranch_execz .LBB87_560
	s_branch .LBB87_561
.LBB87_559:
                                        ; implicit-def: $vgpr28
.LBB87_560:
	ds_load_b32 v28, v117
.LBB87_561:
	s_mov_b32 s1, exec_lo
	v_cmpx_ne_u32_e32 20, v0
	s_cbranch_execz .LBB87_565
; %bb.562:
	v_mov_b64_e32 v[26:27], v[0:1]
	v_lshl_add_u32 v29, v0, 2, 0x64
	s_mov_b32 s2, 0
.LBB87_563:                             ; =>This Inner Loop Header: Depth=1
	s_delay_alu instid0(VALU_DEP_2)
	v_add_nc_u64_e32 v[26:27], 1, v[26:27]
	ds_load_b32 v31, v29
	v_add_nc_u32_e32 v29, 4, v29
	v_cmp_eq_u32_e32 vcc_lo, 1, v26
	v_cndmask_b32_e32 v30, v2, v3, vcc_lo
	v_cmp_eq_u32_e32 vcc_lo, 2, v26
	s_delay_alu instid0(VALU_DEP_2) | instskip(SKIP_1) | instid1(VALU_DEP_2)
	v_cndmask_b32_e32 v30, v30, v4, vcc_lo
	v_cmp_eq_u32_e32 vcc_lo, 3, v26
	v_cndmask_b32_e32 v30, v30, v5, vcc_lo
	v_cmp_eq_u32_e32 vcc_lo, 4, v26
	s_delay_alu instid0(VALU_DEP_2) | instskip(SKIP_1) | instid1(VALU_DEP_2)
	v_cndmask_b32_e32 v30, v30, v6, vcc_lo
	;; [unrolled: 5-line block ×11, first 2 shown]
	v_cmp_eq_u32_e32 vcc_lo, 23, v26
	v_cndmask_b32_e32 v30, v30, v25, vcc_lo
	v_cmp_lt_u32_e32 vcc_lo, 19, v26
	s_wait_dscnt 0x0
	s_delay_alu instid0(VALU_DEP_2) | instskip(SKIP_1) | instid1(SALU_CYCLE_1)
	v_fmac_f32_e32 v28, v30, v31
	s_or_b32 s2, vcc_lo, s2
	s_and_not1_b32 exec_lo, exec_lo, s2
	s_cbranch_execnz .LBB87_563
; %bb.564:
	s_or_b32 exec_lo, exec_lo, s2
.LBB87_565:
	s_delay_alu instid0(SALU_CYCLE_1)
	s_or_b32 exec_lo, exec_lo, s1
	v_mov_b32_e32 v23, 0
	ds_load_b32 v23, v23 offset:84
	s_wait_dscnt 0x0
	v_mul_f32_e32 v23, v28, v23
.LBB87_566:
	s_or_b32 exec_lo, exec_lo, s0
	v_cmp_gt_u32_e64 s0, 22, v0
	ds_store_b32 v117, v24
	s_wait_dscnt 0x0
	s_barrier_signal -1
	s_barrier_wait -1
	s_and_saveexec_b32 s1, s0
	s_cbranch_execz .LBB87_576
; %bb.567:
	v_cmp_ne_u32_e32 vcc_lo, 1, v34
	s_cbranch_vccnz .LBB87_569
; %bb.568:
	v_cmp_eq_u32_e32 vcc_lo, 1, v0
	ds_load_b32 v27, v117
	v_cndmask_b32_e32 v26, v2, v3, vcc_lo
	v_cmp_eq_u32_e32 vcc_lo, 2, v0
	s_delay_alu instid0(VALU_DEP_2) | instskip(SKIP_1) | instid1(VALU_DEP_2)
	v_cndmask_b32_e32 v26, v26, v4, vcc_lo
	v_cmp_eq_u32_e32 vcc_lo, 3, v0
	v_cndmask_b32_e32 v26, v26, v5, vcc_lo
	v_cmp_eq_u32_e32 vcc_lo, 4, v0
	s_delay_alu instid0(VALU_DEP_2) | instskip(SKIP_1) | instid1(VALU_DEP_2)
	v_cndmask_b32_e32 v26, v26, v6, vcc_lo
	v_cmp_eq_u32_e32 vcc_lo, 5, v0
	;; [unrolled: 5-line block ×11, first 2 shown]
	v_cndmask_b32_e32 v26, v26, v25, vcc_lo
	s_wait_dscnt 0x0
	s_delay_alu instid0(VALU_DEP_1)
	v_mul_f32_e32 v28, v26, v27
	s_cbranch_execz .LBB87_570
	s_branch .LBB87_571
.LBB87_569:
                                        ; implicit-def: $vgpr28
.LBB87_570:
	ds_load_b32 v28, v117
.LBB87_571:
	s_mov_b32 s2, exec_lo
	v_cmpx_ne_u32_e32 21, v0
	s_cbranch_execz .LBB87_575
; %bb.572:
	v_mov_b64_e32 v[26:27], v[0:1]
	v_lshl_add_u32 v29, v0, 2, 0x64
	s_mov_b32 s3, 0
.LBB87_573:                             ; =>This Inner Loop Header: Depth=1
	s_delay_alu instid0(VALU_DEP_2)
	v_add_nc_u64_e32 v[26:27], 1, v[26:27]
	ds_load_b32 v31, v29
	v_add_nc_u32_e32 v29, 4, v29
	v_cmp_eq_u32_e32 vcc_lo, 1, v26
	v_cndmask_b32_e32 v30, v2, v3, vcc_lo
	v_cmp_eq_u32_e32 vcc_lo, 2, v26
	s_delay_alu instid0(VALU_DEP_2) | instskip(SKIP_1) | instid1(VALU_DEP_2)
	v_cndmask_b32_e32 v30, v30, v4, vcc_lo
	v_cmp_eq_u32_e32 vcc_lo, 3, v26
	v_cndmask_b32_e32 v30, v30, v5, vcc_lo
	v_cmp_eq_u32_e32 vcc_lo, 4, v26
	s_delay_alu instid0(VALU_DEP_2) | instskip(SKIP_1) | instid1(VALU_DEP_2)
	v_cndmask_b32_e32 v30, v30, v6, vcc_lo
	;; [unrolled: 5-line block ×11, first 2 shown]
	v_cmp_eq_u32_e32 vcc_lo, 23, v26
	v_cndmask_b32_e32 v30, v30, v25, vcc_lo
	v_cmp_lt_u32_e32 vcc_lo, 20, v26
	s_wait_dscnt 0x0
	s_delay_alu instid0(VALU_DEP_2) | instskip(SKIP_1) | instid1(SALU_CYCLE_1)
	v_fmac_f32_e32 v28, v30, v31
	s_or_b32 s3, vcc_lo, s3
	s_and_not1_b32 exec_lo, exec_lo, s3
	s_cbranch_execnz .LBB87_573
; %bb.574:
	s_or_b32 exec_lo, exec_lo, s3
.LBB87_575:
	s_delay_alu instid0(SALU_CYCLE_1)
	s_or_b32 exec_lo, exec_lo, s2
	v_mov_b32_e32 v24, 0
	ds_load_b32 v24, v24 offset:88
	s_wait_dscnt 0x0
	v_mul_f32_e32 v24, v28, v24
.LBB87_576:
	s_or_b32 exec_lo, exec_lo, s1
	s_delay_alu instid0(SALU_CYCLE_1)
	s_mov_b32 s1, exec_lo
	ds_store_b32 v117, v25
	s_wait_dscnt 0x0
	s_barrier_signal -1
	s_barrier_wait -1
	v_cmpx_ne_u32_e32 23, v0
	s_cbranch_execz .LBB87_586
; %bb.577:
	v_cmp_ne_u32_e32 vcc_lo, 1, v34
	s_cbranch_vccnz .LBB87_579
; %bb.578:
	v_cmp_eq_u32_e32 vcc_lo, 1, v0
	ds_load_b32 v27, v117
	v_cndmask_b32_e32 v26, v2, v3, vcc_lo
	v_cmp_eq_u32_e32 vcc_lo, 2, v0
	s_delay_alu instid0(VALU_DEP_2) | instskip(SKIP_1) | instid1(VALU_DEP_2)
	v_cndmask_b32_e32 v26, v26, v4, vcc_lo
	v_cmp_eq_u32_e32 vcc_lo, 3, v0
	v_cndmask_b32_e32 v26, v26, v5, vcc_lo
	v_cmp_eq_u32_e32 vcc_lo, 4, v0
	s_delay_alu instid0(VALU_DEP_2) | instskip(SKIP_1) | instid1(VALU_DEP_2)
	v_cndmask_b32_e32 v26, v26, v6, vcc_lo
	v_cmp_eq_u32_e32 vcc_lo, 5, v0
	;; [unrolled: 5-line block ×11, first 2 shown]
	v_cndmask_b32_e32 v26, v26, v25, vcc_lo
	s_wait_dscnt 0x0
	s_delay_alu instid0(VALU_DEP_1)
	v_mul_f32_e32 v26, v26, v27
	s_cbranch_execz .LBB87_580
	s_branch .LBB87_581
.LBB87_579:
                                        ; implicit-def: $vgpr26
.LBB87_580:
	ds_load_b32 v26, v117
.LBB87_581:
	s_and_saveexec_b32 s2, s0
	s_cbranch_execz .LBB87_585
; %bb.582:
	v_lshl_add_u32 v27, v0, 2, 0x64
	s_mov_b32 s0, 0
.LBB87_583:                             ; =>This Inner Loop Header: Depth=1
	v_add_nc_u64_e32 v[0:1], 1, v[0:1]
	ds_load_b32 v29, v27
	v_add_nc_u32_e32 v27, 4, v27
	v_cmp_eq_u32_e32 vcc_lo, 1, v0
	v_cndmask_b32_e32 v28, v2, v3, vcc_lo
	v_cmp_eq_u32_e32 vcc_lo, 2, v0
	s_delay_alu instid0(VALU_DEP_2) | instskip(SKIP_1) | instid1(VALU_DEP_2)
	v_cndmask_b32_e32 v28, v28, v4, vcc_lo
	v_cmp_eq_u32_e32 vcc_lo, 3, v0
	v_cndmask_b32_e32 v28, v28, v5, vcc_lo
	v_cmp_eq_u32_e32 vcc_lo, 4, v0
	s_delay_alu instid0(VALU_DEP_2) | instskip(SKIP_1) | instid1(VALU_DEP_2)
	v_cndmask_b32_e32 v28, v28, v6, vcc_lo
	;; [unrolled: 5-line block ×11, first 2 shown]
	v_cmp_eq_u32_e32 vcc_lo, 23, v0
	v_cndmask_b32_e32 v28, v28, v25, vcc_lo
	v_cmp_lt_u32_e32 vcc_lo, 21, v0
	s_wait_dscnt 0x0
	s_delay_alu instid0(VALU_DEP_2) | instskip(SKIP_1) | instid1(SALU_CYCLE_1)
	v_fmac_f32_e32 v26, v28, v29
	s_or_b32 s0, vcc_lo, s0
	s_and_not1_b32 exec_lo, exec_lo, s0
	s_cbranch_execnz .LBB87_583
; %bb.584:
	s_or_b32 exec_lo, exec_lo, s0
.LBB87_585:
	s_delay_alu instid0(SALU_CYCLE_1)
	s_or_b32 exec_lo, exec_lo, s2
	v_mov_b32_e32 v0, 0
	ds_load_b32 v0, v0 offset:92
	s_wait_dscnt 0x0
	v_mul_f32_e32 v25, v26, v0
.LBB87_586:
	s_or_b32 exec_lo, exec_lo, s1
	v_mov_b64_e32 v[64:65], v[32:33]
	s_delay_alu instid0(VALU_DEP_2)
	v_mov_b64_e32 v[56:57], v[24:25]
	v_mov_b64_e32 v[54:55], v[22:23]
	;; [unrolled: 1-line block ×15, first 2 shown]
.LBB87_587:
	s_wait_xcnt 0x7
	v_lshl_add_u64 v[0:1], v[66:67], 2, s[26:27]
	s_wait_loadcnt_dscnt 0x708
	v_lshl_add_u64 v[2:3], v[68:69], 2, s[26:27]
	v_lshl_add_u64 v[4:5], v[70:71], 2, s[26:27]
	;; [unrolled: 1-line block ×8, first 2 shown]
	s_wait_loadcnt_dscnt 0x607
	v_lshl_add_u64 v[18:19], v[84:85], 2, s[26:27]
	s_wait_loadcnt_dscnt 0x405
	v_lshl_add_u64 v[20:21], v[86:87], 2, s[26:27]
	;; [unrolled: 2-line block ×4, first 2 shown]
	v_lshl_add_u64 v[26:27], v[92:93], 2, s[26:27]
	v_lshl_add_u64 v[28:29], v[94:95], 2, s[26:27]
	v_lshl_add_u64 v[30:31], v[98:99], 2, s[26:27]
	v_lshl_add_u64 v[32:33], v[102:103], 2, s[26:27]
	v_lshl_add_u64 v[58:59], v[104:105], 2, s[26:27]
	v_lshl_add_u64 v[60:61], v[106:107], 2, s[26:27]
	v_lshl_add_u64 v[62:63], v[108:109], 2, s[26:27]
	v_lshl_add_u64 v[64:65], v[110:111], 2, s[26:27]
	v_lshl_add_u64 v[66:67], v[112:113], 2, s[26:27]
	s_clause 0x17
	flat_store_b32 v[96:97], v34
	flat_store_b32 v[100:101], v35
	;; [unrolled: 1-line block ×24, first 2 shown]
.LBB87_588:
	s_sendmsg sendmsg(MSG_DEALLOC_VGPRS)
	s_endpgm
	.section	.rodata,"a",@progbits
	.p2align	6, 0x0
	.amdhsa_kernel _ZN9rocsolver6v33100L18trti2_kernel_smallILi24EfPKPfEEv13rocblas_fill_17rocblas_diagonal_T1_iil
		.amdhsa_group_segment_fixed_size 192
		.amdhsa_private_segment_fixed_size 0
		.amdhsa_kernarg_size 32
		.amdhsa_user_sgpr_count 2
		.amdhsa_user_sgpr_dispatch_ptr 0
		.amdhsa_user_sgpr_queue_ptr 0
		.amdhsa_user_sgpr_kernarg_segment_ptr 1
		.amdhsa_user_sgpr_dispatch_id 0
		.amdhsa_user_sgpr_kernarg_preload_length 0
		.amdhsa_user_sgpr_kernarg_preload_offset 0
		.amdhsa_user_sgpr_private_segment_size 0
		.amdhsa_wavefront_size32 1
		.amdhsa_uses_dynamic_stack 0
		.amdhsa_enable_private_segment 0
		.amdhsa_system_sgpr_workgroup_id_x 1
		.amdhsa_system_sgpr_workgroup_id_y 0
		.amdhsa_system_sgpr_workgroup_id_z 0
		.amdhsa_system_sgpr_workgroup_info 0
		.amdhsa_system_vgpr_workitem_id 0
		.amdhsa_next_free_vgpr 129
		.amdhsa_next_free_sgpr 29
		.amdhsa_named_barrier_count 0
		.amdhsa_reserve_vcc 1
		.amdhsa_float_round_mode_32 0
		.amdhsa_float_round_mode_16_64 0
		.amdhsa_float_denorm_mode_32 3
		.amdhsa_float_denorm_mode_16_64 3
		.amdhsa_fp16_overflow 0
		.amdhsa_memory_ordered 1
		.amdhsa_forward_progress 1
		.amdhsa_inst_pref_size 255
		.amdhsa_round_robin_scheduling 0
		.amdhsa_exception_fp_ieee_invalid_op 0
		.amdhsa_exception_fp_denorm_src 0
		.amdhsa_exception_fp_ieee_div_zero 0
		.amdhsa_exception_fp_ieee_overflow 0
		.amdhsa_exception_fp_ieee_underflow 0
		.amdhsa_exception_fp_ieee_inexact 0
		.amdhsa_exception_int_div_zero 0
	.end_amdhsa_kernel
	.section	.text._ZN9rocsolver6v33100L18trti2_kernel_smallILi24EfPKPfEEv13rocblas_fill_17rocblas_diagonal_T1_iil,"axG",@progbits,_ZN9rocsolver6v33100L18trti2_kernel_smallILi24EfPKPfEEv13rocblas_fill_17rocblas_diagonal_T1_iil,comdat
.Lfunc_end87:
	.size	_ZN9rocsolver6v33100L18trti2_kernel_smallILi24EfPKPfEEv13rocblas_fill_17rocblas_diagonal_T1_iil, .Lfunc_end87-_ZN9rocsolver6v33100L18trti2_kernel_smallILi24EfPKPfEEv13rocblas_fill_17rocblas_diagonal_T1_iil
                                        ; -- End function
	.set _ZN9rocsolver6v33100L18trti2_kernel_smallILi24EfPKPfEEv13rocblas_fill_17rocblas_diagonal_T1_iil.num_vgpr, 129
	.set _ZN9rocsolver6v33100L18trti2_kernel_smallILi24EfPKPfEEv13rocblas_fill_17rocblas_diagonal_T1_iil.num_agpr, 0
	.set _ZN9rocsolver6v33100L18trti2_kernel_smallILi24EfPKPfEEv13rocblas_fill_17rocblas_diagonal_T1_iil.numbered_sgpr, 29
	.set _ZN9rocsolver6v33100L18trti2_kernel_smallILi24EfPKPfEEv13rocblas_fill_17rocblas_diagonal_T1_iil.num_named_barrier, 0
	.set _ZN9rocsolver6v33100L18trti2_kernel_smallILi24EfPKPfEEv13rocblas_fill_17rocblas_diagonal_T1_iil.private_seg_size, 0
	.set _ZN9rocsolver6v33100L18trti2_kernel_smallILi24EfPKPfEEv13rocblas_fill_17rocblas_diagonal_T1_iil.uses_vcc, 1
	.set _ZN9rocsolver6v33100L18trti2_kernel_smallILi24EfPKPfEEv13rocblas_fill_17rocblas_diagonal_T1_iil.uses_flat_scratch, 1
	.set _ZN9rocsolver6v33100L18trti2_kernel_smallILi24EfPKPfEEv13rocblas_fill_17rocblas_diagonal_T1_iil.has_dyn_sized_stack, 0
	.set _ZN9rocsolver6v33100L18trti2_kernel_smallILi24EfPKPfEEv13rocblas_fill_17rocblas_diagonal_T1_iil.has_recursion, 0
	.set _ZN9rocsolver6v33100L18trti2_kernel_smallILi24EfPKPfEEv13rocblas_fill_17rocblas_diagonal_T1_iil.has_indirect_call, 0
	.section	.AMDGPU.csdata,"",@progbits
; Kernel info:
; codeLenInByte = 38468
; TotalNumSgprs: 31
; NumVgprs: 129
; ScratchSize: 0
; MemoryBound: 0
; FloatMode: 240
; IeeeMode: 1
; LDSByteSize: 192 bytes/workgroup (compile time only)
; SGPRBlocks: 0
; VGPRBlocks: 8
; NumSGPRsForWavesPerEU: 31
; NumVGPRsForWavesPerEU: 129
; NamedBarCnt: 0
; Occupancy: 7
; WaveLimiterHint : 1
; COMPUTE_PGM_RSRC2:SCRATCH_EN: 0
; COMPUTE_PGM_RSRC2:USER_SGPR: 2
; COMPUTE_PGM_RSRC2:TRAP_HANDLER: 0
; COMPUTE_PGM_RSRC2:TGID_X_EN: 1
; COMPUTE_PGM_RSRC2:TGID_Y_EN: 0
; COMPUTE_PGM_RSRC2:TGID_Z_EN: 0
; COMPUTE_PGM_RSRC2:TIDIG_COMP_CNT: 0
	.section	.text._ZN9rocsolver6v33100L18trti2_kernel_smallILi25EfPKPfEEv13rocblas_fill_17rocblas_diagonal_T1_iil,"axG",@progbits,_ZN9rocsolver6v33100L18trti2_kernel_smallILi25EfPKPfEEv13rocblas_fill_17rocblas_diagonal_T1_iil,comdat
	.globl	_ZN9rocsolver6v33100L18trti2_kernel_smallILi25EfPKPfEEv13rocblas_fill_17rocblas_diagonal_T1_iil ; -- Begin function _ZN9rocsolver6v33100L18trti2_kernel_smallILi25EfPKPfEEv13rocblas_fill_17rocblas_diagonal_T1_iil
	.p2align	8
	.type	_ZN9rocsolver6v33100L18trti2_kernel_smallILi25EfPKPfEEv13rocblas_fill_17rocblas_diagonal_T1_iil,@function
_ZN9rocsolver6v33100L18trti2_kernel_smallILi25EfPKPfEEv13rocblas_fill_17rocblas_diagonal_T1_iil: ; @_ZN9rocsolver6v33100L18trti2_kernel_smallILi25EfPKPfEEv13rocblas_fill_17rocblas_diagonal_T1_iil
; %bb.0:
	s_mov_b32 s2, exec_lo
	v_cmpx_gt_u32_e32 25, v0
	s_cbranch_execz .LBB88_614
; %bb.1:
	s_clause 0x1
	s_load_b64 s[2:3], s[0:1], 0x10
	s_load_b128 s[28:31], s[0:1], 0x0
	s_wait_xcnt 0x0
	s_bfe_u32 s0, ttmp6, 0x4000c
	s_and_b32 s1, ttmp6, 15
	s_add_co_i32 s0, s0, 1
	s_getreg_b32 s4, hwreg(HW_REG_IB_STS2, 6, 4)
	s_mul_i32 s0, ttmp9, s0
	v_mov_b32_e32 v1, 0
	s_add_co_i32 s0, s1, s0
	s_delay_alu instid0(VALU_DEP_1)
	v_dual_mov_b32 v35, v1 :: v_dual_lshlrev_b32 v34, 2, v0
	s_wait_kmcnt 0x0
	v_add3_u32 v66, s3, s3, v0
	s_ashr_i32 s1, s2, 31
	s_cmp_eq_u32 s4, 0
	s_cselect_b32 s4, ttmp9, s0
	s_delay_alu instid0(VALU_DEP_1)
	v_add_nc_u32_e32 v68, s3, v66
	s_ashr_i32 s5, s4, 31
	s_mov_b32 s0, s2
	s_lshl_b64 s[4:5], s[4:5], 3
	s_lshl_b64 s[0:1], s[0:1], 2
	v_add_nc_u32_e32 v70, s3, v68
	s_add_nc_u64 s[4:5], s[30:31], s[4:5]
	s_load_b64 s[4:5], s[4:5], 0x0
	s_delay_alu instid0(VALU_DEP_1) | instskip(NEXT) | instid1(VALU_DEP_1)
	v_add_nc_u32_e32 v72, s3, v70
	v_add_nc_u32_e32 v74, s3, v72
	s_delay_alu instid0(VALU_DEP_1) | instskip(NEXT) | instid1(VALU_DEP_1)
	v_add_nc_u32_e32 v76, s3, v74
	v_add_nc_u32_e32 v78, s3, v76
	s_wait_kmcnt 0x0
	s_add_nc_u64 s[26:27], s[4:5], s[0:1]
	s_mov_b32 s0, s3
	s_delay_alu instid0(VALU_DEP_1)
	v_add_nc_u32_e32 v80, s3, v78
	s_ashr_i32 s1, s3, 31
	flat_load_b32 v2, v0, s[26:27] scale_offset
	s_cmp_lg_u32 s29, 0x84
	v_add_nc_u64_e32 v[98:99], s[26:27], v[34:35]
	v_add_nc_u32_e32 v82, s3, v80
	s_cselect_b32 s25, -1, 0
	s_cmp_eq_u32 s29, 0x84
	s_delay_alu instid0(VALU_DEP_1) | instskip(NEXT) | instid1(VALU_DEP_3)
	v_dual_mov_b32 v35, -1.0 :: v_dual_add_nc_u32 v84, s3, v82
	v_lshl_add_u64 v[102:103], s[0:1], 2, v[98:99]
	v_cmp_eq_u32_e64 s0, 0, v0
	s_clause 0x7
	flat_load_b32 v3, v[102:103]
	flat_load_b32 v4, v66, s[26:27] scale_offset
	flat_load_b32 v5, v68, s[26:27] scale_offset
	flat_load_b32 v6, v70, s[26:27] scale_offset
	flat_load_b32 v7, v72, s[26:27] scale_offset
	flat_load_b32 v8, v74, s[26:27] scale_offset
	flat_load_b32 v9, v76, s[26:27] scale_offset
	flat_load_b32 v10, v78, s[26:27] scale_offset
	v_add_nc_u32_e32 v86, s3, v84
	s_delay_alu instid0(VALU_DEP_1) | instskip(NEXT) | instid1(VALU_DEP_1)
	v_add_nc_u32_e32 v88, s3, v86
	v_add_nc_u32_e32 v90, s3, v88
	s_delay_alu instid0(VALU_DEP_1) | instskip(NEXT) | instid1(VALU_DEP_1)
	v_add_nc_u32_e32 v92, s3, v90
	v_add_nc_u32_e32 v94, s3, v92
	s_clause 0x7
	flat_load_b32 v11, v80, s[26:27] scale_offset
	flat_load_b32 v12, v82, s[26:27] scale_offset
	;; [unrolled: 1-line block ×8, first 2 shown]
	v_add_nc_u32_e32 v96, s3, v94
	s_delay_alu instid0(VALU_DEP_1) | instskip(NEXT) | instid1(VALU_DEP_1)
	v_add_nc_u32_e32 v100, s3, v96
	v_add_nc_u32_e32 v104, s3, v100
	s_delay_alu instid0(VALU_DEP_1) | instskip(NEXT) | instid1(VALU_DEP_1)
	v_add_nc_u32_e32 v106, s3, v104
	;; [unrolled: 3-line block ×3, first 2 shown]
	v_add_nc_u32_e32 v112, s3, v110
	s_delay_alu instid0(VALU_DEP_1)
	v_add_nc_u32_e32 v114, s3, v112
	s_clause 0x7
	flat_load_b32 v19, v96, s[26:27] scale_offset
	flat_load_b32 v20, v100, s[26:27] scale_offset
	;; [unrolled: 1-line block ×8, first 2 shown]
	s_cbranch_scc1 .LBB88_3
; %bb.2:
	v_cmp_eq_u32_e64 s1, 1, v0
	v_cmp_eq_u32_e64 s2, 2, v0
	;; [unrolled: 1-line block ×5, first 2 shown]
	s_wait_loadcnt_dscnt 0x1717
	v_cndmask_b32_e64 v27, v2, v3, s1
	v_cmp_eq_u32_e64 s6, 6, v0
	v_cmp_eq_u32_e64 s7, 7, v0
	v_cmp_eq_u32_e64 s8, 8, v0
	v_cmp_eq_u32_e64 s9, 9, v0
	s_wait_loadcnt_dscnt 0x1616
	v_cndmask_b32_e64 v27, v27, v4, s2
	v_cmp_eq_u32_e64 s10, 10, v0
	v_cmp_eq_u32_e64 s11, 11, v0
	v_cmp_eq_u32_e64 s12, 12, v0
	v_cmp_eq_u32_e64 s13, 13, v0
	;; [unrolled: 6-line block ×4, first 2 shown]
	s_wait_loadcnt_dscnt 0x1313
	v_cndmask_b32_e64 v27, v27, v7, s5
	v_cmp_eq_u32_e64 s22, 22, v0
	v_cmp_eq_u32_e64 s23, 23, v0
	;; [unrolled: 1-line block ×3, first 2 shown]
	s_wait_loadcnt_dscnt 0x1212
	v_cndmask_b32_e64 v27, v27, v8, s6
	s_wait_loadcnt_dscnt 0x1111
	s_delay_alu instid0(VALU_DEP_1) | instskip(SKIP_1) | instid1(VALU_DEP_1)
	v_cndmask_b32_e64 v27, v27, v9, s7
	s_wait_loadcnt_dscnt 0x1010
	v_cndmask_b32_e64 v27, v27, v10, s8
	s_wait_loadcnt_dscnt 0xf0f
	s_delay_alu instid0(VALU_DEP_1) | instskip(SKIP_1) | instid1(VALU_DEP_1)
	v_cndmask_b32_e64 v27, v27, v11, s9
	;; [unrolled: 5-line block ×9, first 2 shown]
	s_wait_loadcnt_dscnt 0x0
	v_cndmask_b32_e64 v27, v27, v26, s24
	s_delay_alu instid0(VALU_DEP_1) | instskip(SKIP_1) | instid1(VALU_DEP_2)
	v_div_scale_f32 v28, null, v27, v27, 1.0
	v_div_scale_f32 v31, vcc_lo, 1.0, v27, 1.0
	v_rcp_f32_e32 v29, v28
	v_nop
	s_delay_alu instid0(TRANS32_DEP_1) | instskip(NEXT) | instid1(VALU_DEP_1)
	v_fma_f32 v30, -v28, v29, 1.0
	v_fmac_f32_e32 v29, v30, v29
	s_delay_alu instid0(VALU_DEP_1) | instskip(NEXT) | instid1(VALU_DEP_1)
	v_mul_f32_e32 v30, v31, v29
	v_fma_f32 v32, -v28, v30, v31
	s_delay_alu instid0(VALU_DEP_1) | instskip(NEXT) | instid1(VALU_DEP_1)
	v_fmac_f32_e32 v30, v32, v29
	v_fma_f32 v28, -v28, v30, v31
	s_delay_alu instid0(VALU_DEP_1) | instskip(NEXT) | instid1(VALU_DEP_1)
	v_div_fmas_f32 v28, v28, v29, v30
	v_div_fixup_f32 v27, v28, v27, 1.0
	s_delay_alu instid0(VALU_DEP_1)
	v_dual_cndmask_b32 v26, v26, v27, s24 :: v_dual_cndmask_b32 v25, v25, v27, s23
	v_dual_cndmask_b32 v24, v24, v27, s22 :: v_dual_cndmask_b32 v23, v23, v27, s21
	;; [unrolled: 1-line block ×12, first 2 shown]
	v_cndmask_b32_e64 v2, v2, v27, s0
	v_xor_b32_e32 v35, 0x80000000, v27
.LBB88_3:
	v_dual_ashrrev_i32 v67, 31, v66 :: v_dual_ashrrev_i32 v69, 31, v68
	v_dual_ashrrev_i32 v71, 31, v70 :: v_dual_ashrrev_i32 v73, 31, v72
	;; [unrolled: 1-line block ×11, first 2 shown]
	v_ashrrev_i32_e32 v113, 31, v112
	v_add_nc_u32_e32 v119, 0x70, v34
	s_cmp_eq_u32 s28, 0x79
	ds_store_b32 v34, v35
	s_cbranch_scc1 .LBB88_7
; %bb.4:
	s_wait_loadcnt_dscnt 0x1
	v_mov_b64_e32 v[64:65], v[32:33]
	v_mov_b64_e32 v[62:63], v[30:31]
	;; [unrolled: 1-line block ×16, first 2 shown]
	v_cmp_eq_u32_e64 s1, 24, v0
	ds_store_b32 v119, v25
	s_wait_dscnt 0x0
	s_barrier_signal -1
	s_barrier_wait -1
	s_and_saveexec_b32 s0, s1
	s_cbranch_execz .LBB88_11
; %bb.5:
	s_and_b32 vcc_lo, exec_lo, s25
	s_cbranch_vccz .LBB88_8
; %bb.6:
	v_cmp_eq_u32_e32 vcc_lo, 1, v0
	ds_load_b32 v35, v119
	v_cndmask_b32_e32 v34, v2, v3, vcc_lo
	v_cmp_eq_u32_e32 vcc_lo, 2, v0
	s_delay_alu instid0(VALU_DEP_2) | instskip(SKIP_1) | instid1(VALU_DEP_2)
	v_cndmask_b32_e32 v34, v34, v4, vcc_lo
	v_cmp_eq_u32_e32 vcc_lo, 3, v0
	v_cndmask_b32_e32 v34, v34, v5, vcc_lo
	v_cmp_eq_u32_e32 vcc_lo, 4, v0
	s_delay_alu instid0(VALU_DEP_2) | instskip(SKIP_1) | instid1(VALU_DEP_2)
	v_cndmask_b32_e32 v34, v34, v6, vcc_lo
	v_cmp_eq_u32_e32 vcc_lo, 5, v0
	;; [unrolled: 5-line block ×11, first 2 shown]
	v_cndmask_b32_e32 v34, v34, v25, vcc_lo
	v_cmp_eq_u32_e32 vcc_lo, 24, v0
	s_delay_alu instid0(VALU_DEP_2) | instskip(SKIP_1) | instid1(VALU_DEP_1)
	v_cndmask_b32_e32 v34, v34, v26, vcc_lo
	s_wait_dscnt 0x0
	v_mul_f32_e32 v57, v34, v35
	s_cbranch_execz .LBB88_9
	s_branch .LBB88_10
.LBB88_7:
                                        ; implicit-def: $vgpr34_vgpr35_vgpr36_vgpr37_vgpr38_vgpr39_vgpr40_vgpr41_vgpr42_vgpr43_vgpr44_vgpr45_vgpr46_vgpr47_vgpr48_vgpr49_vgpr50_vgpr51_vgpr52_vgpr53_vgpr54_vgpr55_vgpr56_vgpr57_vgpr58_vgpr59_vgpr60_vgpr61_vgpr62_vgpr63_vgpr64_vgpr65
	s_cbranch_execnz .LBB88_370
	s_branch .LBB88_613
.LBB88_8:
                                        ; implicit-def: $vgpr57
.LBB88_9:
	ds_load_b32 v57, v119
.LBB88_10:
	v_dual_mov_b32 v38, 0 :: v_dual_mov_b32 v34, v2
	v_dual_mov_b32 v35, v3 :: v_dual_mov_b32 v36, v4
	v_mov_b32_e32 v37, v5
	ds_load_b32 v58, v38 offset:92
	v_dual_mov_b32 v38, v6 :: v_dual_mov_b32 v39, v7
	v_dual_mov_b32 v40, v8 :: v_dual_mov_b32 v41, v9
	;; [unrolled: 1-line block ×9, first 2 shown]
	s_wait_dscnt 0x0
	v_dual_mov_b32 v56, v24 :: v_dual_mul_f32 v57, v57, v58
	v_mov_b32_e32 v58, v26
.LBB88_11:
	s_or_b32 exec_lo, exec_lo, s0
	v_cmp_lt_u32_e64 s0, 22, v0
	ds_store_b32 v119, v56
	s_wait_dscnt 0x0
	s_barrier_signal -1
	s_barrier_wait -1
	s_and_saveexec_b32 s2, s0
	s_cbranch_execz .LBB88_17
; %bb.12:
	s_and_not1_b32 vcc_lo, exec_lo, s25
	s_cbranch_vccnz .LBB88_14
; %bb.13:
	v_cmp_eq_u32_e32 vcc_lo, 1, v0
	ds_load_b32 v60, v119
	v_cndmask_b32_e32 v59, v34, v35, vcc_lo
	v_cmp_eq_u32_e32 vcc_lo, 2, v0
	s_delay_alu instid0(VALU_DEP_2) | instskip(SKIP_1) | instid1(VALU_DEP_2)
	v_cndmask_b32_e32 v59, v59, v36, vcc_lo
	v_cmp_eq_u32_e32 vcc_lo, 3, v0
	v_cndmask_b32_e32 v59, v59, v37, vcc_lo
	v_cmp_eq_u32_e32 vcc_lo, 4, v0
	s_delay_alu instid0(VALU_DEP_2) | instskip(SKIP_1) | instid1(VALU_DEP_2)
	v_cndmask_b32_e32 v59, v59, v38, vcc_lo
	v_cmp_eq_u32_e32 vcc_lo, 5, v0
	;; [unrolled: 5-line block ×11, first 2 shown]
	v_cndmask_b32_e32 v56, v56, v57, vcc_lo
	v_cmp_eq_u32_e32 vcc_lo, 24, v0
	s_delay_alu instid0(VALU_DEP_2) | instskip(SKIP_1) | instid1(VALU_DEP_1)
	v_cndmask_b32_e32 v56, v56, v58, vcc_lo
	s_wait_dscnt 0x0
	v_mul_f32_e32 v56, v56, v60
	s_cbranch_execz .LBB88_15
	s_branch .LBB88_16
.LBB88_14:
                                        ; implicit-def: $vgpr56
.LBB88_15:
	ds_load_b32 v56, v119
.LBB88_16:
	v_mov_b32_e32 v59, 0
	ds_load_2addr_b32 v[60:61], v59 offset0:22 offset1:51
	s_wait_dscnt 0x0
	v_fma_f32 v59, v57, v61, v56
	s_delay_alu instid0(VALU_DEP_1) | instskip(NEXT) | instid1(VALU_DEP_1)
	v_cndmask_b32_e64 v56, v56, v59, s1
	v_mul_f32_e32 v56, v56, v60
.LBB88_17:
	s_or_b32 exec_lo, exec_lo, s2
	v_cmp_lt_u32_e64 s1, 21, v0
	ds_store_b32 v119, v55
	s_wait_dscnt 0x0
	s_barrier_signal -1
	s_barrier_wait -1
	s_and_saveexec_b32 s4, s1
	s_cbranch_execz .LBB88_33
; %bb.18:
	s_and_not1_b32 vcc_lo, exec_lo, s25
	s_cbranch_vccnz .LBB88_20
; %bb.19:
	v_cmp_eq_u32_e32 vcc_lo, 1, v0
	ds_load_b32 v117, v119
	v_cndmask_b32_e32 v116, v34, v35, vcc_lo
	v_cmp_eq_u32_e32 vcc_lo, 2, v0
	s_delay_alu instid0(VALU_DEP_2) | instskip(SKIP_1) | instid1(VALU_DEP_2)
	v_cndmask_b32_e32 v116, v116, v36, vcc_lo
	v_cmp_eq_u32_e32 vcc_lo, 3, v0
	v_cndmask_b32_e32 v116, v116, v37, vcc_lo
	v_cmp_eq_u32_e32 vcc_lo, 4, v0
	s_delay_alu instid0(VALU_DEP_2) | instskip(SKIP_1) | instid1(VALU_DEP_2)
	v_cndmask_b32_e32 v116, v116, v38, vcc_lo
	v_cmp_eq_u32_e32 vcc_lo, 5, v0
	;; [unrolled: 5-line block ×11, first 2 shown]
	v_cndmask_b32_e32 v116, v116, v57, vcc_lo
	v_cmp_eq_u32_e32 vcc_lo, 24, v0
	s_delay_alu instid0(VALU_DEP_2) | instskip(SKIP_1) | instid1(VALU_DEP_1)
	v_cndmask_b32_e32 v116, v116, v58, vcc_lo
	s_wait_dscnt 0x0
	v_mul_f32_e32 v120, v116, v117
	s_cbranch_execz .LBB88_21
	s_branch .LBB88_22
.LBB88_20:
                                        ; implicit-def: $vgpr120
.LBB88_21:
	ds_load_b32 v120, v119
.LBB88_22:
	s_and_saveexec_b32 s5, s0
	s_cbranch_execz .LBB88_32
; %bb.23:
	v_subrev_nc_u32_e32 v118, 23, v0
	v_mov_b32_e32 v116, 22
	v_subrev_nc_u32_e32 v117, 22, v0
	s_mov_b32 s0, exec_lo
	s_delay_alu instid0(VALU_DEP_3)
	v_cmpx_lt_u32_e32 6, v118
	s_cbranch_execz .LBB88_27
; %bb.24:
	s_delay_alu instid0(VALU_DEP_2) | instskip(SKIP_3) | instid1(VALU_DEP_1)
	v_and_b32_e32 v116, -8, v117
	s_mov_b32 s6, 0
	s_mov_b64 s[2:3], 29
	s_movk_i32 s7, 0xc8
	v_sub_nc_u32_e32 v118, 0, v116
.LBB88_25:                              ; =>This Inner Loop Header: Depth=1
	s_add_co_i32 m0, s2, -7
	v_movrels_b32_e32 v121, v34
	v_mov_b32_e32 v116, s7
	s_add_co_i32 m0, s2, -6
	s_add_co_i32 s7, s7, 32
	v_movrels_b32_e32 v130, v34
	s_add_co_i32 m0, s2, -5
	ds_load_2addr_b64 v[122:125], v116 offset1:1
	ds_load_2addr_b64 v[126:129], v116 offset0:2 offset1:3
	v_movrels_b32_e32 v116, v34
	s_add_co_i32 m0, s2, -4
	s_wait_dscnt 0x1
	v_fmac_f32_e32 v120, v121, v122
	v_movrels_b32_e32 v121, v34
	s_add_co_i32 m0, s2, -3
	s_delay_alu instid0(VALU_DEP_2) | instskip(NEXT) | instid1(VALU_DEP_1)
	v_fmac_f32_e32 v120, v130, v123
	v_fmac_f32_e32 v120, v116, v124
	v_movrels_b32_e32 v116, v34
	s_add_co_i32 m0, s2, -2
	s_delay_alu instid0(VALU_DEP_2) | instskip(SKIP_3) | instid1(VALU_DEP_2)
	v_fmac_f32_e32 v120, v121, v125
	v_movrels_b32_e32 v121, v34
	s_add_co_i32 m0, s2, -1
	s_wait_dscnt 0x0
	v_fmac_f32_e32 v120, v116, v126
	v_movrels_b32_e32 v116, v34
	s_mov_b32 m0, s2
	s_add_nc_u64 s[2:3], s[2:3], 8
	v_movrels_b32_e32 v122, v34
	v_dual_fmac_f32 v120, v121, v127 :: v_dual_add_nc_u32 v121, s2, v118
	s_add_co_i32 s8, s2, -7
	s_delay_alu instid0(VALU_DEP_1) | instskip(NEXT) | instid1(VALU_DEP_2)
	v_fmac_f32_e32 v120, v116, v128
	v_cmp_eq_u32_e32 vcc_lo, 29, v121
	s_delay_alu instid0(VALU_DEP_2) | instskip(SKIP_1) | instid1(SALU_CYCLE_1)
	v_dual_mov_b32 v116, s8 :: v_dual_fmac_f32 v120, v122, v129
	s_or_b32 s6, vcc_lo, s6
	s_and_not1_b32 exec_lo, exec_lo, s6
	s_cbranch_execnz .LBB88_25
; %bb.26:
	s_or_b32 exec_lo, exec_lo, s6
.LBB88_27:
	s_delay_alu instid0(SALU_CYCLE_1) | instskip(SKIP_3) | instid1(VALU_DEP_1)
	s_or_b32 exec_lo, exec_lo, s0
	v_and_b32_e32 v59, 7, v117
	s_mov_b32 s2, 0
	s_mov_b32 s0, exec_lo
	v_cmpx_ne_u32_e32 0, v59
	s_cbranch_execz .LBB88_31
; %bb.28:
	v_lshl_add_u32 v60, v116, 2, 0x70
	v_mov_b32_e32 v117, 0
.LBB88_29:                              ; =>This Inner Loop Header: Depth=1
	v_cmp_eq_u32_e32 vcc_lo, 1, v116
	ds_load_b32 v62, v60
	v_dual_add_nc_u32 v60, 4, v60 :: v_dual_add_nc_u32 v59, -1, v59
	v_cndmask_b32_e32 v61, v34, v35, vcc_lo
	v_cmp_eq_u32_e32 vcc_lo, 2, v116
	s_delay_alu instid0(VALU_DEP_2) | instskip(SKIP_1) | instid1(VALU_DEP_2)
	v_cndmask_b32_e32 v61, v61, v36, vcc_lo
	v_cmp_eq_u32_e32 vcc_lo, 3, v116
	v_cndmask_b32_e32 v61, v61, v37, vcc_lo
	v_cmp_eq_u32_e32 vcc_lo, 4, v116
	s_delay_alu instid0(VALU_DEP_2) | instskip(SKIP_1) | instid1(VALU_DEP_2)
	v_cndmask_b32_e32 v61, v61, v38, vcc_lo
	v_cmp_eq_u32_e32 vcc_lo, 5, v116
	;; [unrolled: 5-line block ×11, first 2 shown]
	v_cndmask_b32_e32 v61, v61, v57, vcc_lo
	v_cmp_eq_u32_e32 vcc_lo, 24, v116
	v_add_nc_u64_e32 v[116:117], 1, v[116:117]
	s_delay_alu instid0(VALU_DEP_3) | instskip(SKIP_2) | instid1(VALU_DEP_2)
	v_cndmask_b32_e32 v61, v61, v58, vcc_lo
	v_cmp_eq_u32_e32 vcc_lo, 0, v59
	s_wait_dscnt 0x0
	v_fmac_f32_e32 v120, v61, v62
	s_or_b32 s2, vcc_lo, s2
	s_delay_alu instid0(SALU_CYCLE_1)
	s_and_not1_b32 exec_lo, exec_lo, s2
	s_cbranch_execnz .LBB88_29
; %bb.30:
	s_or_b32 exec_lo, exec_lo, s2
.LBB88_31:
	s_delay_alu instid0(SALU_CYCLE_1)
	s_or_b32 exec_lo, exec_lo, s0
.LBB88_32:
	s_delay_alu instid0(SALU_CYCLE_1)
	s_or_b32 exec_lo, exec_lo, s5
	v_mov_b32_e32 v55, 0
	ds_load_b32 v55, v55 offset:84
	s_wait_dscnt 0x0
	v_mul_f32_e32 v55, v120, v55
.LBB88_33:
	s_or_b32 exec_lo, exec_lo, s4
	v_cmp_lt_u32_e64 s0, 20, v0
	ds_store_b32 v119, v54
	s_wait_dscnt 0x0
	s_barrier_signal -1
	s_barrier_wait -1
	s_and_saveexec_b32 s4, s0
	s_cbranch_execz .LBB88_49
; %bb.34:
	s_and_not1_b32 vcc_lo, exec_lo, s25
	s_cbranch_vccnz .LBB88_36
; %bb.35:
	v_cmp_eq_u32_e32 vcc_lo, 1, v0
	ds_load_b32 v117, v119
	v_cndmask_b32_e32 v116, v34, v35, vcc_lo
	v_cmp_eq_u32_e32 vcc_lo, 2, v0
	s_delay_alu instid0(VALU_DEP_2) | instskip(SKIP_1) | instid1(VALU_DEP_2)
	v_cndmask_b32_e32 v116, v116, v36, vcc_lo
	v_cmp_eq_u32_e32 vcc_lo, 3, v0
	v_cndmask_b32_e32 v116, v116, v37, vcc_lo
	v_cmp_eq_u32_e32 vcc_lo, 4, v0
	s_delay_alu instid0(VALU_DEP_2) | instskip(SKIP_1) | instid1(VALU_DEP_2)
	v_cndmask_b32_e32 v116, v116, v38, vcc_lo
	v_cmp_eq_u32_e32 vcc_lo, 5, v0
	;; [unrolled: 5-line block ×11, first 2 shown]
	v_cndmask_b32_e32 v116, v116, v57, vcc_lo
	v_cmp_eq_u32_e32 vcc_lo, 24, v0
	s_delay_alu instid0(VALU_DEP_2) | instskip(SKIP_1) | instid1(VALU_DEP_1)
	v_cndmask_b32_e32 v116, v116, v58, vcc_lo
	s_wait_dscnt 0x0
	v_mul_f32_e32 v120, v116, v117
	s_cbranch_execz .LBB88_37
	s_branch .LBB88_38
.LBB88_36:
                                        ; implicit-def: $vgpr120
.LBB88_37:
	ds_load_b32 v120, v119
.LBB88_38:
	s_and_saveexec_b32 s5, s1
	s_cbranch_execz .LBB88_48
; %bb.39:
	v_subrev_nc_u32_e32 v118, 22, v0
	v_mov_b32_e32 v116, 21
	v_subrev_nc_u32_e32 v117, 21, v0
	s_mov_b32 s1, exec_lo
	s_delay_alu instid0(VALU_DEP_3)
	v_cmpx_lt_u32_e32 6, v118
	s_cbranch_execz .LBB88_43
; %bb.40:
	s_delay_alu instid0(VALU_DEP_2) | instskip(SKIP_3) | instid1(VALU_DEP_1)
	v_and_b32_e32 v116, -8, v117
	s_mov_b32 s6, 0
	s_mov_b64 s[2:3], 28
	s_movk_i32 s7, 0xc4
	v_sub_nc_u32_e32 v118, 0, v116
.LBB88_41:                              ; =>This Inner Loop Header: Depth=1
	s_add_co_i32 m0, s2, -7
	v_movrels_b32_e32 v121, v34
	v_mov_b32_e32 v116, s7
	s_add_co_i32 m0, s2, -6
	s_add_co_i32 s7, s7, 32
	v_movrels_b32_e32 v130, v34
	ds_load_2addr_b32 v[122:123], v116 offset1:1
	ds_load_2addr_b32 v[124:125], v116 offset0:2 offset1:3
	s_add_co_i32 m0, s2, -5
	s_wait_dscnt 0x1
	v_fmac_f32_e32 v120, v121, v122
	ds_load_2addr_b32 v[126:127], v116 offset0:4 offset1:5
	ds_load_2addr_b32 v[128:129], v116 offset0:6 offset1:7
	v_movrels_b32_e32 v116, v34
	s_add_co_i32 m0, s2, -4
	v_fmac_f32_e32 v120, v130, v123
	v_movrels_b32_e32 v121, v34
	s_add_co_i32 m0, s2, -3
	s_wait_dscnt 0x2
	s_delay_alu instid0(VALU_DEP_2) | instskip(SKIP_2) | instid1(VALU_DEP_2)
	v_fmac_f32_e32 v120, v116, v124
	v_movrels_b32_e32 v116, v34
	s_add_co_i32 m0, s2, -2
	v_fmac_f32_e32 v120, v121, v125
	v_movrels_b32_e32 v121, v34
	s_add_co_i32 m0, s2, -1
	s_wait_dscnt 0x1
	s_delay_alu instid0(VALU_DEP_2)
	v_fmac_f32_e32 v120, v116, v126
	v_movrels_b32_e32 v116, v34
	s_mov_b32 m0, s2
	s_add_nc_u64 s[2:3], s[2:3], 8
	v_movrels_b32_e32 v122, v34
	v_dual_fmac_f32 v120, v121, v127 :: v_dual_add_nc_u32 v121, s2, v118
	s_add_co_i32 s8, s2, -7
	s_wait_dscnt 0x0
	s_delay_alu instid0(VALU_DEP_1) | instskip(NEXT) | instid1(VALU_DEP_2)
	v_fmac_f32_e32 v120, v116, v128
	v_cmp_eq_u32_e32 vcc_lo, 28, v121
	s_delay_alu instid0(VALU_DEP_2) | instskip(SKIP_1) | instid1(SALU_CYCLE_1)
	v_dual_mov_b32 v116, s8 :: v_dual_fmac_f32 v120, v122, v129
	s_or_b32 s6, vcc_lo, s6
	s_and_not1_b32 exec_lo, exec_lo, s6
	s_cbranch_execnz .LBB88_41
; %bb.42:
	s_or_b32 exec_lo, exec_lo, s6
.LBB88_43:
	s_delay_alu instid0(SALU_CYCLE_1) | instskip(SKIP_3) | instid1(VALU_DEP_1)
	s_or_b32 exec_lo, exec_lo, s1
	v_and_b32_e32 v59, 7, v117
	s_mov_b32 s2, 0
	s_mov_b32 s1, exec_lo
	v_cmpx_ne_u32_e32 0, v59
	s_cbranch_execz .LBB88_47
; %bb.44:
	v_lshl_add_u32 v60, v116, 2, 0x70
	v_mov_b32_e32 v117, 0
.LBB88_45:                              ; =>This Inner Loop Header: Depth=1
	v_cmp_eq_u32_e32 vcc_lo, 1, v116
	ds_load_b32 v62, v60
	v_dual_add_nc_u32 v60, 4, v60 :: v_dual_add_nc_u32 v59, -1, v59
	v_cndmask_b32_e32 v61, v34, v35, vcc_lo
	v_cmp_eq_u32_e32 vcc_lo, 2, v116
	s_delay_alu instid0(VALU_DEP_2) | instskip(SKIP_1) | instid1(VALU_DEP_2)
	v_cndmask_b32_e32 v61, v61, v36, vcc_lo
	v_cmp_eq_u32_e32 vcc_lo, 3, v116
	v_cndmask_b32_e32 v61, v61, v37, vcc_lo
	v_cmp_eq_u32_e32 vcc_lo, 4, v116
	s_delay_alu instid0(VALU_DEP_2) | instskip(SKIP_1) | instid1(VALU_DEP_2)
	v_cndmask_b32_e32 v61, v61, v38, vcc_lo
	v_cmp_eq_u32_e32 vcc_lo, 5, v116
	;; [unrolled: 5-line block ×11, first 2 shown]
	v_cndmask_b32_e32 v61, v61, v57, vcc_lo
	v_cmp_eq_u32_e32 vcc_lo, 24, v116
	v_add_nc_u64_e32 v[116:117], 1, v[116:117]
	s_delay_alu instid0(VALU_DEP_3) | instskip(SKIP_2) | instid1(VALU_DEP_2)
	v_cndmask_b32_e32 v61, v61, v58, vcc_lo
	v_cmp_eq_u32_e32 vcc_lo, 0, v59
	s_wait_dscnt 0x0
	v_fmac_f32_e32 v120, v61, v62
	s_or_b32 s2, vcc_lo, s2
	s_delay_alu instid0(SALU_CYCLE_1)
	s_and_not1_b32 exec_lo, exec_lo, s2
	s_cbranch_execnz .LBB88_45
; %bb.46:
	s_or_b32 exec_lo, exec_lo, s2
.LBB88_47:
	s_delay_alu instid0(SALU_CYCLE_1)
	s_or_b32 exec_lo, exec_lo, s1
.LBB88_48:
	s_delay_alu instid0(SALU_CYCLE_1)
	s_or_b32 exec_lo, exec_lo, s5
	v_mov_b32_e32 v54, 0
	ds_load_b32 v54, v54 offset:80
	s_wait_dscnt 0x0
	v_mul_f32_e32 v54, v120, v54
.LBB88_49:
	s_or_b32 exec_lo, exec_lo, s4
	v_cmp_lt_u32_e64 s1, 19, v0
	ds_store_b32 v119, v53
	s_wait_dscnt 0x0
	s_barrier_signal -1
	s_barrier_wait -1
	s_and_saveexec_b32 s4, s1
	s_cbranch_execz .LBB88_65
; %bb.50:
	s_and_not1_b32 vcc_lo, exec_lo, s25
	s_cbranch_vccnz .LBB88_52
; %bb.51:
	v_cmp_eq_u32_e32 vcc_lo, 1, v0
	ds_load_b32 v117, v119
	v_cndmask_b32_e32 v116, v34, v35, vcc_lo
	v_cmp_eq_u32_e32 vcc_lo, 2, v0
	s_delay_alu instid0(VALU_DEP_2) | instskip(SKIP_1) | instid1(VALU_DEP_2)
	v_cndmask_b32_e32 v116, v116, v36, vcc_lo
	v_cmp_eq_u32_e32 vcc_lo, 3, v0
	v_cndmask_b32_e32 v116, v116, v37, vcc_lo
	v_cmp_eq_u32_e32 vcc_lo, 4, v0
	s_delay_alu instid0(VALU_DEP_2) | instskip(SKIP_1) | instid1(VALU_DEP_2)
	v_cndmask_b32_e32 v116, v116, v38, vcc_lo
	v_cmp_eq_u32_e32 vcc_lo, 5, v0
	;; [unrolled: 5-line block ×11, first 2 shown]
	v_cndmask_b32_e32 v116, v116, v57, vcc_lo
	v_cmp_eq_u32_e32 vcc_lo, 24, v0
	s_delay_alu instid0(VALU_DEP_2) | instskip(SKIP_1) | instid1(VALU_DEP_1)
	v_cndmask_b32_e32 v116, v116, v58, vcc_lo
	s_wait_dscnt 0x0
	v_mul_f32_e32 v120, v116, v117
	s_cbranch_execz .LBB88_53
	s_branch .LBB88_54
.LBB88_52:
                                        ; implicit-def: $vgpr120
.LBB88_53:
	ds_load_b32 v120, v119
.LBB88_54:
	s_and_saveexec_b32 s5, s0
	s_cbranch_execz .LBB88_64
; %bb.55:
	v_subrev_nc_u32_e32 v118, 21, v0
	v_mov_b32_e32 v116, 20
	v_subrev_nc_u32_e32 v117, 20, v0
	s_mov_b32 s0, exec_lo
	s_delay_alu instid0(VALU_DEP_3)
	v_cmpx_lt_u32_e32 6, v118
	s_cbranch_execz .LBB88_59
; %bb.56:
	s_delay_alu instid0(VALU_DEP_2) | instskip(SKIP_3) | instid1(VALU_DEP_1)
	v_and_b32_e32 v116, -8, v117
	s_mov_b32 s6, 0
	s_mov_b64 s[2:3], 27
	s_movk_i32 s7, 0xc0
	v_sub_nc_u32_e32 v118, 0, v116
.LBB88_57:                              ; =>This Inner Loop Header: Depth=1
	s_add_co_i32 m0, s2, -7
	v_movrels_b32_e32 v121, v34
	v_mov_b32_e32 v116, s7
	s_add_co_i32 m0, s2, -6
	s_add_co_i32 s7, s7, 32
	v_movrels_b32_e32 v130, v34
	s_add_co_i32 m0, s2, -5
	ds_load_b128 v[122:125], v116
	ds_load_b128 v[126:129], v116 offset:16
	v_movrels_b32_e32 v116, v34
	s_add_co_i32 m0, s2, -4
	s_wait_dscnt 0x1
	v_fmac_f32_e32 v120, v121, v122
	v_movrels_b32_e32 v121, v34
	s_add_co_i32 m0, s2, -3
	s_delay_alu instid0(VALU_DEP_2) | instskip(NEXT) | instid1(VALU_DEP_1)
	v_fmac_f32_e32 v120, v130, v123
	v_fmac_f32_e32 v120, v116, v124
	v_movrels_b32_e32 v116, v34
	s_add_co_i32 m0, s2, -2
	s_delay_alu instid0(VALU_DEP_2) | instskip(SKIP_3) | instid1(VALU_DEP_2)
	v_fmac_f32_e32 v120, v121, v125
	v_movrels_b32_e32 v121, v34
	s_add_co_i32 m0, s2, -1
	s_wait_dscnt 0x0
	v_fmac_f32_e32 v120, v116, v126
	v_movrels_b32_e32 v116, v34
	s_mov_b32 m0, s2
	s_add_nc_u64 s[2:3], s[2:3], 8
	v_movrels_b32_e32 v122, v34
	v_dual_fmac_f32 v120, v121, v127 :: v_dual_add_nc_u32 v121, s2, v118
	s_add_co_i32 s8, s2, -7
	s_delay_alu instid0(VALU_DEP_1) | instskip(NEXT) | instid1(VALU_DEP_2)
	v_fmac_f32_e32 v120, v116, v128
	v_cmp_eq_u32_e32 vcc_lo, 27, v121
	s_delay_alu instid0(VALU_DEP_2) | instskip(SKIP_1) | instid1(SALU_CYCLE_1)
	v_dual_mov_b32 v116, s8 :: v_dual_fmac_f32 v120, v122, v129
	s_or_b32 s6, vcc_lo, s6
	s_and_not1_b32 exec_lo, exec_lo, s6
	s_cbranch_execnz .LBB88_57
; %bb.58:
	s_or_b32 exec_lo, exec_lo, s6
.LBB88_59:
	s_delay_alu instid0(SALU_CYCLE_1) | instskip(SKIP_3) | instid1(VALU_DEP_1)
	s_or_b32 exec_lo, exec_lo, s0
	v_and_b32_e32 v59, 7, v117
	s_mov_b32 s2, 0
	s_mov_b32 s0, exec_lo
	v_cmpx_ne_u32_e32 0, v59
	s_cbranch_execz .LBB88_63
; %bb.60:
	v_lshl_add_u32 v60, v116, 2, 0x70
	v_mov_b32_e32 v117, 0
.LBB88_61:                              ; =>This Inner Loop Header: Depth=1
	v_cmp_eq_u32_e32 vcc_lo, 1, v116
	ds_load_b32 v62, v60
	v_dual_add_nc_u32 v60, 4, v60 :: v_dual_add_nc_u32 v59, -1, v59
	v_cndmask_b32_e32 v61, v34, v35, vcc_lo
	v_cmp_eq_u32_e32 vcc_lo, 2, v116
	s_delay_alu instid0(VALU_DEP_2) | instskip(SKIP_1) | instid1(VALU_DEP_2)
	v_cndmask_b32_e32 v61, v61, v36, vcc_lo
	v_cmp_eq_u32_e32 vcc_lo, 3, v116
	v_cndmask_b32_e32 v61, v61, v37, vcc_lo
	v_cmp_eq_u32_e32 vcc_lo, 4, v116
	s_delay_alu instid0(VALU_DEP_2) | instskip(SKIP_1) | instid1(VALU_DEP_2)
	v_cndmask_b32_e32 v61, v61, v38, vcc_lo
	v_cmp_eq_u32_e32 vcc_lo, 5, v116
	;; [unrolled: 5-line block ×11, first 2 shown]
	v_cndmask_b32_e32 v61, v61, v57, vcc_lo
	v_cmp_eq_u32_e32 vcc_lo, 24, v116
	v_add_nc_u64_e32 v[116:117], 1, v[116:117]
	s_delay_alu instid0(VALU_DEP_3) | instskip(SKIP_2) | instid1(VALU_DEP_2)
	v_cndmask_b32_e32 v61, v61, v58, vcc_lo
	v_cmp_eq_u32_e32 vcc_lo, 0, v59
	s_wait_dscnt 0x0
	v_fmac_f32_e32 v120, v61, v62
	s_or_b32 s2, vcc_lo, s2
	s_delay_alu instid0(SALU_CYCLE_1)
	s_and_not1_b32 exec_lo, exec_lo, s2
	s_cbranch_execnz .LBB88_61
; %bb.62:
	s_or_b32 exec_lo, exec_lo, s2
.LBB88_63:
	s_delay_alu instid0(SALU_CYCLE_1)
	s_or_b32 exec_lo, exec_lo, s0
.LBB88_64:
	s_delay_alu instid0(SALU_CYCLE_1)
	s_or_b32 exec_lo, exec_lo, s5
	v_mov_b32_e32 v53, 0
	ds_load_b32 v53, v53 offset:76
	s_wait_dscnt 0x0
	v_mul_f32_e32 v53, v120, v53
.LBB88_65:
	s_or_b32 exec_lo, exec_lo, s4
	v_cmp_lt_u32_e64 s0, 18, v0
	ds_store_b32 v119, v52
	s_wait_dscnt 0x0
	s_barrier_signal -1
	s_barrier_wait -1
	s_and_saveexec_b32 s4, s0
	s_cbranch_execz .LBB88_81
; %bb.66:
	s_and_not1_b32 vcc_lo, exec_lo, s25
	s_cbranch_vccnz .LBB88_68
; %bb.67:
	v_cmp_eq_u32_e32 vcc_lo, 1, v0
	ds_load_b32 v117, v119
	v_cndmask_b32_e32 v116, v34, v35, vcc_lo
	v_cmp_eq_u32_e32 vcc_lo, 2, v0
	s_delay_alu instid0(VALU_DEP_2) | instskip(SKIP_1) | instid1(VALU_DEP_2)
	v_cndmask_b32_e32 v116, v116, v36, vcc_lo
	v_cmp_eq_u32_e32 vcc_lo, 3, v0
	v_cndmask_b32_e32 v116, v116, v37, vcc_lo
	v_cmp_eq_u32_e32 vcc_lo, 4, v0
	s_delay_alu instid0(VALU_DEP_2) | instskip(SKIP_1) | instid1(VALU_DEP_2)
	v_cndmask_b32_e32 v116, v116, v38, vcc_lo
	v_cmp_eq_u32_e32 vcc_lo, 5, v0
	;; [unrolled: 5-line block ×11, first 2 shown]
	v_cndmask_b32_e32 v116, v116, v57, vcc_lo
	v_cmp_eq_u32_e32 vcc_lo, 24, v0
	s_delay_alu instid0(VALU_DEP_2) | instskip(SKIP_1) | instid1(VALU_DEP_1)
	v_cndmask_b32_e32 v116, v116, v58, vcc_lo
	s_wait_dscnt 0x0
	v_mul_f32_e32 v120, v116, v117
	s_cbranch_execz .LBB88_69
	s_branch .LBB88_70
.LBB88_68:
                                        ; implicit-def: $vgpr120
.LBB88_69:
	ds_load_b32 v120, v119
.LBB88_70:
	s_and_saveexec_b32 s5, s1
	s_cbranch_execz .LBB88_80
; %bb.71:
	v_subrev_nc_u32_e32 v118, 20, v0
	v_mov_b32_e32 v116, 19
	v_subrev_nc_u32_e32 v117, 19, v0
	s_mov_b32 s1, exec_lo
	s_delay_alu instid0(VALU_DEP_3)
	v_cmpx_lt_u32_e32 6, v118
	s_cbranch_execz .LBB88_75
; %bb.72:
	s_delay_alu instid0(VALU_DEP_2) | instskip(SKIP_3) | instid1(VALU_DEP_1)
	v_and_b32_e32 v116, -8, v117
	s_mov_b32 s6, 0
	s_mov_b64 s[2:3], 26
	s_movk_i32 s7, 0xbc
	v_sub_nc_u32_e32 v118, 0, v116
.LBB88_73:                              ; =>This Inner Loop Header: Depth=1
	s_add_co_i32 m0, s2, -7
	v_movrels_b32_e32 v121, v34
	v_mov_b32_e32 v116, s7
	s_add_co_i32 m0, s2, -6
	s_add_co_i32 s7, s7, 32
	v_movrels_b32_e32 v130, v34
	ds_load_2addr_b32 v[122:123], v116 offset1:1
	ds_load_2addr_b32 v[124:125], v116 offset0:2 offset1:3
	s_add_co_i32 m0, s2, -5
	s_wait_dscnt 0x1
	v_fmac_f32_e32 v120, v121, v122
	ds_load_2addr_b32 v[126:127], v116 offset0:4 offset1:5
	ds_load_2addr_b32 v[128:129], v116 offset0:6 offset1:7
	v_movrels_b32_e32 v116, v34
	s_add_co_i32 m0, s2, -4
	v_fmac_f32_e32 v120, v130, v123
	v_movrels_b32_e32 v121, v34
	s_add_co_i32 m0, s2, -3
	s_wait_dscnt 0x2
	s_delay_alu instid0(VALU_DEP_2) | instskip(SKIP_2) | instid1(VALU_DEP_2)
	v_fmac_f32_e32 v120, v116, v124
	v_movrels_b32_e32 v116, v34
	s_add_co_i32 m0, s2, -2
	v_fmac_f32_e32 v120, v121, v125
	v_movrels_b32_e32 v121, v34
	s_add_co_i32 m0, s2, -1
	s_wait_dscnt 0x1
	s_delay_alu instid0(VALU_DEP_2)
	v_fmac_f32_e32 v120, v116, v126
	v_movrels_b32_e32 v116, v34
	s_mov_b32 m0, s2
	s_add_nc_u64 s[2:3], s[2:3], 8
	v_movrels_b32_e32 v122, v34
	v_dual_fmac_f32 v120, v121, v127 :: v_dual_add_nc_u32 v121, s2, v118
	s_add_co_i32 s8, s2, -7
	s_wait_dscnt 0x0
	s_delay_alu instid0(VALU_DEP_1) | instskip(NEXT) | instid1(VALU_DEP_2)
	v_fmac_f32_e32 v120, v116, v128
	v_cmp_eq_u32_e32 vcc_lo, 26, v121
	s_delay_alu instid0(VALU_DEP_2) | instskip(SKIP_1) | instid1(SALU_CYCLE_1)
	v_dual_mov_b32 v116, s8 :: v_dual_fmac_f32 v120, v122, v129
	s_or_b32 s6, vcc_lo, s6
	s_and_not1_b32 exec_lo, exec_lo, s6
	s_cbranch_execnz .LBB88_73
; %bb.74:
	s_or_b32 exec_lo, exec_lo, s6
.LBB88_75:
	s_delay_alu instid0(SALU_CYCLE_1) | instskip(SKIP_3) | instid1(VALU_DEP_1)
	s_or_b32 exec_lo, exec_lo, s1
	v_and_b32_e32 v59, 7, v117
	s_mov_b32 s2, 0
	s_mov_b32 s1, exec_lo
	v_cmpx_ne_u32_e32 0, v59
	s_cbranch_execz .LBB88_79
; %bb.76:
	v_lshl_add_u32 v60, v116, 2, 0x70
	v_mov_b32_e32 v117, 0
.LBB88_77:                              ; =>This Inner Loop Header: Depth=1
	v_cmp_eq_u32_e32 vcc_lo, 1, v116
	ds_load_b32 v62, v60
	v_dual_add_nc_u32 v60, 4, v60 :: v_dual_add_nc_u32 v59, -1, v59
	v_cndmask_b32_e32 v61, v34, v35, vcc_lo
	v_cmp_eq_u32_e32 vcc_lo, 2, v116
	s_delay_alu instid0(VALU_DEP_2) | instskip(SKIP_1) | instid1(VALU_DEP_2)
	v_cndmask_b32_e32 v61, v61, v36, vcc_lo
	v_cmp_eq_u32_e32 vcc_lo, 3, v116
	v_cndmask_b32_e32 v61, v61, v37, vcc_lo
	v_cmp_eq_u32_e32 vcc_lo, 4, v116
	s_delay_alu instid0(VALU_DEP_2) | instskip(SKIP_1) | instid1(VALU_DEP_2)
	v_cndmask_b32_e32 v61, v61, v38, vcc_lo
	v_cmp_eq_u32_e32 vcc_lo, 5, v116
	;; [unrolled: 5-line block ×11, first 2 shown]
	v_cndmask_b32_e32 v61, v61, v57, vcc_lo
	v_cmp_eq_u32_e32 vcc_lo, 24, v116
	v_add_nc_u64_e32 v[116:117], 1, v[116:117]
	s_delay_alu instid0(VALU_DEP_3) | instskip(SKIP_2) | instid1(VALU_DEP_2)
	v_cndmask_b32_e32 v61, v61, v58, vcc_lo
	v_cmp_eq_u32_e32 vcc_lo, 0, v59
	s_wait_dscnt 0x0
	v_fmac_f32_e32 v120, v61, v62
	s_or_b32 s2, vcc_lo, s2
	s_delay_alu instid0(SALU_CYCLE_1)
	s_and_not1_b32 exec_lo, exec_lo, s2
	s_cbranch_execnz .LBB88_77
; %bb.78:
	s_or_b32 exec_lo, exec_lo, s2
.LBB88_79:
	s_delay_alu instid0(SALU_CYCLE_1)
	s_or_b32 exec_lo, exec_lo, s1
.LBB88_80:
	s_delay_alu instid0(SALU_CYCLE_1)
	s_or_b32 exec_lo, exec_lo, s5
	v_mov_b32_e32 v52, 0
	ds_load_b32 v52, v52 offset:72
	s_wait_dscnt 0x0
	v_mul_f32_e32 v52, v120, v52
.LBB88_81:
	s_or_b32 exec_lo, exec_lo, s4
	v_cmp_lt_u32_e64 s1, 17, v0
	ds_store_b32 v119, v51
	s_wait_dscnt 0x0
	s_barrier_signal -1
	s_barrier_wait -1
	s_and_saveexec_b32 s4, s1
	s_cbranch_execz .LBB88_97
; %bb.82:
	s_and_not1_b32 vcc_lo, exec_lo, s25
	s_cbranch_vccnz .LBB88_84
; %bb.83:
	v_cmp_eq_u32_e32 vcc_lo, 1, v0
	ds_load_b32 v117, v119
	v_cndmask_b32_e32 v116, v34, v35, vcc_lo
	v_cmp_eq_u32_e32 vcc_lo, 2, v0
	s_delay_alu instid0(VALU_DEP_2) | instskip(SKIP_1) | instid1(VALU_DEP_2)
	v_cndmask_b32_e32 v116, v116, v36, vcc_lo
	v_cmp_eq_u32_e32 vcc_lo, 3, v0
	v_cndmask_b32_e32 v116, v116, v37, vcc_lo
	v_cmp_eq_u32_e32 vcc_lo, 4, v0
	s_delay_alu instid0(VALU_DEP_2) | instskip(SKIP_1) | instid1(VALU_DEP_2)
	v_cndmask_b32_e32 v116, v116, v38, vcc_lo
	v_cmp_eq_u32_e32 vcc_lo, 5, v0
	;; [unrolled: 5-line block ×11, first 2 shown]
	v_cndmask_b32_e32 v116, v116, v57, vcc_lo
	v_cmp_eq_u32_e32 vcc_lo, 24, v0
	s_delay_alu instid0(VALU_DEP_2) | instskip(SKIP_1) | instid1(VALU_DEP_1)
	v_cndmask_b32_e32 v116, v116, v58, vcc_lo
	s_wait_dscnt 0x0
	v_mul_f32_e32 v120, v116, v117
	s_cbranch_execz .LBB88_85
	s_branch .LBB88_86
.LBB88_84:
                                        ; implicit-def: $vgpr120
.LBB88_85:
	ds_load_b32 v120, v119
.LBB88_86:
	s_and_saveexec_b32 s5, s0
	s_cbranch_execz .LBB88_96
; %bb.87:
	v_subrev_nc_u32_e32 v118, 19, v0
	v_mov_b32_e32 v116, 18
	v_subrev_nc_u32_e32 v117, 18, v0
	s_mov_b32 s0, exec_lo
	s_delay_alu instid0(VALU_DEP_3)
	v_cmpx_lt_u32_e32 6, v118
	s_cbranch_execz .LBB88_91
; %bb.88:
	s_delay_alu instid0(VALU_DEP_2) | instskip(SKIP_3) | instid1(VALU_DEP_1)
	v_and_b32_e32 v116, -8, v117
	s_mov_b32 s6, 0
	s_mov_b64 s[2:3], 25
	s_movk_i32 s7, 0xb8
	v_sub_nc_u32_e32 v118, 0, v116
.LBB88_89:                              ; =>This Inner Loop Header: Depth=1
	s_add_co_i32 m0, s2, -7
	v_movrels_b32_e32 v121, v34
	v_mov_b32_e32 v116, s7
	s_add_co_i32 m0, s2, -6
	s_add_co_i32 s7, s7, 32
	v_movrels_b32_e32 v130, v34
	s_add_co_i32 m0, s2, -5
	ds_load_2addr_b64 v[122:125], v116 offset1:1
	ds_load_2addr_b64 v[126:129], v116 offset0:2 offset1:3
	v_movrels_b32_e32 v116, v34
	s_add_co_i32 m0, s2, -4
	s_wait_dscnt 0x1
	v_fmac_f32_e32 v120, v121, v122
	v_movrels_b32_e32 v121, v34
	s_add_co_i32 m0, s2, -3
	s_delay_alu instid0(VALU_DEP_2) | instskip(NEXT) | instid1(VALU_DEP_1)
	v_fmac_f32_e32 v120, v130, v123
	v_fmac_f32_e32 v120, v116, v124
	v_movrels_b32_e32 v116, v34
	s_add_co_i32 m0, s2, -2
	s_delay_alu instid0(VALU_DEP_2) | instskip(SKIP_3) | instid1(VALU_DEP_2)
	v_fmac_f32_e32 v120, v121, v125
	v_movrels_b32_e32 v121, v34
	s_add_co_i32 m0, s2, -1
	s_wait_dscnt 0x0
	v_fmac_f32_e32 v120, v116, v126
	v_movrels_b32_e32 v116, v34
	s_mov_b32 m0, s2
	s_add_nc_u64 s[2:3], s[2:3], 8
	v_movrels_b32_e32 v122, v34
	v_dual_fmac_f32 v120, v121, v127 :: v_dual_add_nc_u32 v121, s2, v118
	s_add_co_i32 s8, s2, -7
	s_delay_alu instid0(VALU_DEP_1) | instskip(NEXT) | instid1(VALU_DEP_2)
	v_fmac_f32_e32 v120, v116, v128
	v_cmp_eq_u32_e32 vcc_lo, 25, v121
	s_delay_alu instid0(VALU_DEP_2) | instskip(SKIP_1) | instid1(SALU_CYCLE_1)
	v_dual_mov_b32 v116, s8 :: v_dual_fmac_f32 v120, v122, v129
	s_or_b32 s6, vcc_lo, s6
	s_and_not1_b32 exec_lo, exec_lo, s6
	s_cbranch_execnz .LBB88_89
; %bb.90:
	s_or_b32 exec_lo, exec_lo, s6
.LBB88_91:
	s_delay_alu instid0(SALU_CYCLE_1) | instskip(SKIP_3) | instid1(VALU_DEP_1)
	s_or_b32 exec_lo, exec_lo, s0
	v_and_b32_e32 v59, 7, v117
	s_mov_b32 s2, 0
	s_mov_b32 s0, exec_lo
	v_cmpx_ne_u32_e32 0, v59
	s_cbranch_execz .LBB88_95
; %bb.92:
	v_lshl_add_u32 v60, v116, 2, 0x70
	v_mov_b32_e32 v117, 0
.LBB88_93:                              ; =>This Inner Loop Header: Depth=1
	v_cmp_eq_u32_e32 vcc_lo, 1, v116
	ds_load_b32 v62, v60
	v_dual_add_nc_u32 v60, 4, v60 :: v_dual_add_nc_u32 v59, -1, v59
	v_cndmask_b32_e32 v61, v34, v35, vcc_lo
	v_cmp_eq_u32_e32 vcc_lo, 2, v116
	s_delay_alu instid0(VALU_DEP_2) | instskip(SKIP_1) | instid1(VALU_DEP_2)
	v_cndmask_b32_e32 v61, v61, v36, vcc_lo
	v_cmp_eq_u32_e32 vcc_lo, 3, v116
	v_cndmask_b32_e32 v61, v61, v37, vcc_lo
	v_cmp_eq_u32_e32 vcc_lo, 4, v116
	s_delay_alu instid0(VALU_DEP_2) | instskip(SKIP_1) | instid1(VALU_DEP_2)
	v_cndmask_b32_e32 v61, v61, v38, vcc_lo
	v_cmp_eq_u32_e32 vcc_lo, 5, v116
	;; [unrolled: 5-line block ×11, first 2 shown]
	v_cndmask_b32_e32 v61, v61, v57, vcc_lo
	v_cmp_eq_u32_e32 vcc_lo, 24, v116
	v_add_nc_u64_e32 v[116:117], 1, v[116:117]
	s_delay_alu instid0(VALU_DEP_3) | instskip(SKIP_2) | instid1(VALU_DEP_2)
	v_cndmask_b32_e32 v61, v61, v58, vcc_lo
	v_cmp_eq_u32_e32 vcc_lo, 0, v59
	s_wait_dscnt 0x0
	v_fmac_f32_e32 v120, v61, v62
	s_or_b32 s2, vcc_lo, s2
	s_delay_alu instid0(SALU_CYCLE_1)
	s_and_not1_b32 exec_lo, exec_lo, s2
	s_cbranch_execnz .LBB88_93
; %bb.94:
	s_or_b32 exec_lo, exec_lo, s2
.LBB88_95:
	s_delay_alu instid0(SALU_CYCLE_1)
	s_or_b32 exec_lo, exec_lo, s0
.LBB88_96:
	s_delay_alu instid0(SALU_CYCLE_1)
	s_or_b32 exec_lo, exec_lo, s5
	v_mov_b32_e32 v51, 0
	ds_load_b32 v51, v51 offset:68
	s_wait_dscnt 0x0
	v_mul_f32_e32 v51, v120, v51
.LBB88_97:
	s_or_b32 exec_lo, exec_lo, s4
	v_cmp_lt_u32_e64 s0, 16, v0
	ds_store_b32 v119, v50
	s_wait_dscnt 0x0
	s_barrier_signal -1
	s_barrier_wait -1
	s_and_saveexec_b32 s4, s0
	s_cbranch_execz .LBB88_113
; %bb.98:
	s_and_not1_b32 vcc_lo, exec_lo, s25
	s_cbranch_vccnz .LBB88_100
; %bb.99:
	v_cmp_eq_u32_e32 vcc_lo, 1, v0
	ds_load_b32 v117, v119
	v_cndmask_b32_e32 v116, v34, v35, vcc_lo
	v_cmp_eq_u32_e32 vcc_lo, 2, v0
	s_delay_alu instid0(VALU_DEP_2) | instskip(SKIP_1) | instid1(VALU_DEP_2)
	v_cndmask_b32_e32 v116, v116, v36, vcc_lo
	v_cmp_eq_u32_e32 vcc_lo, 3, v0
	v_cndmask_b32_e32 v116, v116, v37, vcc_lo
	v_cmp_eq_u32_e32 vcc_lo, 4, v0
	s_delay_alu instid0(VALU_DEP_2) | instskip(SKIP_1) | instid1(VALU_DEP_2)
	v_cndmask_b32_e32 v116, v116, v38, vcc_lo
	v_cmp_eq_u32_e32 vcc_lo, 5, v0
	v_cndmask_b32_e32 v116, v116, v39, vcc_lo
	v_cmp_eq_u32_e32 vcc_lo, 6, v0
	s_delay_alu instid0(VALU_DEP_2) | instskip(SKIP_1) | instid1(VALU_DEP_2)
	v_cndmask_b32_e32 v116, v116, v40, vcc_lo
	v_cmp_eq_u32_e32 vcc_lo, 7, v0
	v_cndmask_b32_e32 v116, v116, v41, vcc_lo
	v_cmp_eq_u32_e32 vcc_lo, 8, v0
	s_delay_alu instid0(VALU_DEP_2) | instskip(SKIP_1) | instid1(VALU_DEP_2)
	v_cndmask_b32_e32 v116, v116, v42, vcc_lo
	v_cmp_eq_u32_e32 vcc_lo, 9, v0
	v_cndmask_b32_e32 v116, v116, v43, vcc_lo
	v_cmp_eq_u32_e32 vcc_lo, 10, v0
	s_delay_alu instid0(VALU_DEP_2) | instskip(SKIP_1) | instid1(VALU_DEP_2)
	v_cndmask_b32_e32 v116, v116, v44, vcc_lo
	v_cmp_eq_u32_e32 vcc_lo, 11, v0
	v_cndmask_b32_e32 v116, v116, v45, vcc_lo
	v_cmp_eq_u32_e32 vcc_lo, 12, v0
	s_delay_alu instid0(VALU_DEP_2) | instskip(SKIP_1) | instid1(VALU_DEP_2)
	v_cndmask_b32_e32 v116, v116, v46, vcc_lo
	v_cmp_eq_u32_e32 vcc_lo, 13, v0
	v_cndmask_b32_e32 v116, v116, v47, vcc_lo
	v_cmp_eq_u32_e32 vcc_lo, 14, v0
	s_delay_alu instid0(VALU_DEP_2) | instskip(SKIP_1) | instid1(VALU_DEP_2)
	v_cndmask_b32_e32 v116, v116, v48, vcc_lo
	v_cmp_eq_u32_e32 vcc_lo, 15, v0
	v_cndmask_b32_e32 v116, v116, v49, vcc_lo
	v_cmp_eq_u32_e32 vcc_lo, 16, v0
	s_delay_alu instid0(VALU_DEP_2) | instskip(SKIP_1) | instid1(VALU_DEP_2)
	v_cndmask_b32_e32 v116, v116, v50, vcc_lo
	v_cmp_eq_u32_e32 vcc_lo, 17, v0
	v_cndmask_b32_e32 v116, v116, v51, vcc_lo
	v_cmp_eq_u32_e32 vcc_lo, 18, v0
	s_delay_alu instid0(VALU_DEP_2) | instskip(SKIP_1) | instid1(VALU_DEP_2)
	v_cndmask_b32_e32 v116, v116, v52, vcc_lo
	v_cmp_eq_u32_e32 vcc_lo, 19, v0
	v_cndmask_b32_e32 v116, v116, v53, vcc_lo
	v_cmp_eq_u32_e32 vcc_lo, 20, v0
	s_delay_alu instid0(VALU_DEP_2) | instskip(SKIP_1) | instid1(VALU_DEP_2)
	v_cndmask_b32_e32 v116, v116, v54, vcc_lo
	v_cmp_eq_u32_e32 vcc_lo, 21, v0
	v_cndmask_b32_e32 v116, v116, v55, vcc_lo
	v_cmp_eq_u32_e32 vcc_lo, 22, v0
	s_delay_alu instid0(VALU_DEP_2) | instskip(SKIP_1) | instid1(VALU_DEP_2)
	v_cndmask_b32_e32 v116, v116, v56, vcc_lo
	v_cmp_eq_u32_e32 vcc_lo, 23, v0
	v_cndmask_b32_e32 v116, v116, v57, vcc_lo
	v_cmp_eq_u32_e32 vcc_lo, 24, v0
	s_delay_alu instid0(VALU_DEP_2) | instskip(SKIP_1) | instid1(VALU_DEP_1)
	v_cndmask_b32_e32 v116, v116, v58, vcc_lo
	s_wait_dscnt 0x0
	v_mul_f32_e32 v120, v116, v117
	s_cbranch_execz .LBB88_101
	s_branch .LBB88_102
.LBB88_100:
                                        ; implicit-def: $vgpr120
.LBB88_101:
	ds_load_b32 v120, v119
.LBB88_102:
	s_and_saveexec_b32 s5, s1
	s_cbranch_execz .LBB88_112
; %bb.103:
	v_subrev_nc_u32_e32 v118, 18, v0
	v_mov_b32_e32 v116, 17
	v_subrev_nc_u32_e32 v117, 17, v0
	s_mov_b32 s1, exec_lo
	s_delay_alu instid0(VALU_DEP_3)
	v_cmpx_lt_u32_e32 6, v118
	s_cbranch_execz .LBB88_107
; %bb.104:
	s_delay_alu instid0(VALU_DEP_2) | instskip(SKIP_3) | instid1(VALU_DEP_1)
	v_and_b32_e32 v116, -8, v117
	s_mov_b32 s6, 0
	s_mov_b64 s[2:3], 24
	s_movk_i32 s7, 0xb4
	v_sub_nc_u32_e32 v118, 0, v116
.LBB88_105:                             ; =>This Inner Loop Header: Depth=1
	s_add_co_i32 m0, s2, -7
	v_movrels_b32_e32 v121, v34
	v_mov_b32_e32 v116, s7
	s_add_co_i32 m0, s2, -6
	s_add_co_i32 s7, s7, 32
	v_movrels_b32_e32 v130, v34
	ds_load_2addr_b32 v[122:123], v116 offset1:1
	ds_load_2addr_b32 v[124:125], v116 offset0:2 offset1:3
	s_add_co_i32 m0, s2, -5
	s_wait_dscnt 0x1
	v_fmac_f32_e32 v120, v121, v122
	ds_load_2addr_b32 v[126:127], v116 offset0:4 offset1:5
	ds_load_2addr_b32 v[128:129], v116 offset0:6 offset1:7
	v_movrels_b32_e32 v116, v34
	s_add_co_i32 m0, s2, -4
	v_fmac_f32_e32 v120, v130, v123
	v_movrels_b32_e32 v121, v34
	s_add_co_i32 m0, s2, -3
	s_wait_dscnt 0x2
	s_delay_alu instid0(VALU_DEP_2) | instskip(SKIP_2) | instid1(VALU_DEP_2)
	v_fmac_f32_e32 v120, v116, v124
	v_movrels_b32_e32 v116, v34
	s_add_co_i32 m0, s2, -2
	v_fmac_f32_e32 v120, v121, v125
	v_movrels_b32_e32 v121, v34
	s_add_co_i32 m0, s2, -1
	s_wait_dscnt 0x1
	s_delay_alu instid0(VALU_DEP_2)
	v_fmac_f32_e32 v120, v116, v126
	v_movrels_b32_e32 v116, v34
	s_mov_b32 m0, s2
	s_add_nc_u64 s[2:3], s[2:3], 8
	v_movrels_b32_e32 v122, v34
	v_dual_fmac_f32 v120, v121, v127 :: v_dual_add_nc_u32 v121, s2, v118
	s_add_co_i32 s8, s2, -7
	s_wait_dscnt 0x0
	s_delay_alu instid0(VALU_DEP_1) | instskip(NEXT) | instid1(VALU_DEP_2)
	v_fmac_f32_e32 v120, v116, v128
	v_cmp_eq_u32_e32 vcc_lo, 24, v121
	s_delay_alu instid0(VALU_DEP_2) | instskip(SKIP_1) | instid1(SALU_CYCLE_1)
	v_dual_mov_b32 v116, s8 :: v_dual_fmac_f32 v120, v122, v129
	s_or_b32 s6, vcc_lo, s6
	s_and_not1_b32 exec_lo, exec_lo, s6
	s_cbranch_execnz .LBB88_105
; %bb.106:
	s_or_b32 exec_lo, exec_lo, s6
.LBB88_107:
	s_delay_alu instid0(SALU_CYCLE_1) | instskip(SKIP_3) | instid1(VALU_DEP_1)
	s_or_b32 exec_lo, exec_lo, s1
	v_and_b32_e32 v59, 7, v117
	s_mov_b32 s2, 0
	s_mov_b32 s1, exec_lo
	v_cmpx_ne_u32_e32 0, v59
	s_cbranch_execz .LBB88_111
; %bb.108:
	v_lshl_add_u32 v60, v116, 2, 0x70
	v_mov_b32_e32 v117, 0
.LBB88_109:                             ; =>This Inner Loop Header: Depth=1
	v_cmp_eq_u32_e32 vcc_lo, 1, v116
	ds_load_b32 v62, v60
	v_dual_add_nc_u32 v60, 4, v60 :: v_dual_add_nc_u32 v59, -1, v59
	v_cndmask_b32_e32 v61, v34, v35, vcc_lo
	v_cmp_eq_u32_e32 vcc_lo, 2, v116
	s_delay_alu instid0(VALU_DEP_2) | instskip(SKIP_1) | instid1(VALU_DEP_2)
	v_cndmask_b32_e32 v61, v61, v36, vcc_lo
	v_cmp_eq_u32_e32 vcc_lo, 3, v116
	v_cndmask_b32_e32 v61, v61, v37, vcc_lo
	v_cmp_eq_u32_e32 vcc_lo, 4, v116
	s_delay_alu instid0(VALU_DEP_2) | instskip(SKIP_1) | instid1(VALU_DEP_2)
	v_cndmask_b32_e32 v61, v61, v38, vcc_lo
	v_cmp_eq_u32_e32 vcc_lo, 5, v116
	;; [unrolled: 5-line block ×11, first 2 shown]
	v_cndmask_b32_e32 v61, v61, v57, vcc_lo
	v_cmp_eq_u32_e32 vcc_lo, 24, v116
	v_add_nc_u64_e32 v[116:117], 1, v[116:117]
	s_delay_alu instid0(VALU_DEP_3) | instskip(SKIP_2) | instid1(VALU_DEP_2)
	v_cndmask_b32_e32 v61, v61, v58, vcc_lo
	v_cmp_eq_u32_e32 vcc_lo, 0, v59
	s_wait_dscnt 0x0
	v_fmac_f32_e32 v120, v61, v62
	s_or_b32 s2, vcc_lo, s2
	s_delay_alu instid0(SALU_CYCLE_1)
	s_and_not1_b32 exec_lo, exec_lo, s2
	s_cbranch_execnz .LBB88_109
; %bb.110:
	s_or_b32 exec_lo, exec_lo, s2
.LBB88_111:
	s_delay_alu instid0(SALU_CYCLE_1)
	s_or_b32 exec_lo, exec_lo, s1
.LBB88_112:
	s_delay_alu instid0(SALU_CYCLE_1)
	s_or_b32 exec_lo, exec_lo, s5
	v_mov_b32_e32 v50, 0
	ds_load_b32 v50, v50 offset:64
	s_wait_dscnt 0x0
	v_mul_f32_e32 v50, v120, v50
.LBB88_113:
	s_or_b32 exec_lo, exec_lo, s4
	v_cmp_lt_u32_e64 s1, 15, v0
	ds_store_b32 v119, v49
	s_wait_dscnt 0x0
	s_barrier_signal -1
	s_barrier_wait -1
	s_and_saveexec_b32 s4, s1
	s_cbranch_execz .LBB88_129
; %bb.114:
	s_and_not1_b32 vcc_lo, exec_lo, s25
	s_cbranch_vccnz .LBB88_116
; %bb.115:
	v_cmp_eq_u32_e32 vcc_lo, 1, v0
	ds_load_b32 v117, v119
	v_cndmask_b32_e32 v116, v34, v35, vcc_lo
	v_cmp_eq_u32_e32 vcc_lo, 2, v0
	s_delay_alu instid0(VALU_DEP_2) | instskip(SKIP_1) | instid1(VALU_DEP_2)
	v_cndmask_b32_e32 v116, v116, v36, vcc_lo
	v_cmp_eq_u32_e32 vcc_lo, 3, v0
	v_cndmask_b32_e32 v116, v116, v37, vcc_lo
	v_cmp_eq_u32_e32 vcc_lo, 4, v0
	s_delay_alu instid0(VALU_DEP_2) | instskip(SKIP_1) | instid1(VALU_DEP_2)
	v_cndmask_b32_e32 v116, v116, v38, vcc_lo
	v_cmp_eq_u32_e32 vcc_lo, 5, v0
	;; [unrolled: 5-line block ×11, first 2 shown]
	v_cndmask_b32_e32 v116, v116, v57, vcc_lo
	v_cmp_eq_u32_e32 vcc_lo, 24, v0
	s_delay_alu instid0(VALU_DEP_2) | instskip(SKIP_1) | instid1(VALU_DEP_1)
	v_cndmask_b32_e32 v116, v116, v58, vcc_lo
	s_wait_dscnt 0x0
	v_mul_f32_e32 v120, v116, v117
	s_cbranch_execz .LBB88_117
	s_branch .LBB88_118
.LBB88_116:
                                        ; implicit-def: $vgpr120
.LBB88_117:
	ds_load_b32 v120, v119
.LBB88_118:
	s_and_saveexec_b32 s5, s0
	s_cbranch_execz .LBB88_128
; %bb.119:
	v_subrev_nc_u32_e32 v116, 17, v0
	s_delay_alu instid0(VALU_DEP_1)
	v_cmp_lt_u32_e32 vcc_lo, 6, v116
	v_mov_b32_e32 v116, 16
	s_and_saveexec_b32 s0, vcc_lo
	s_cbranch_execz .LBB88_123
; %bb.120:
	v_and_b32_e32 v116, 24, v0
	s_mov_b32 s6, 0
	s_mov_b64 s[2:3], 23
	s_movk_i32 s7, 0xb0
	s_delay_alu instid0(VALU_DEP_1)
	v_sub_nc_u32_e32 v118, 0, v116
.LBB88_121:                             ; =>This Inner Loop Header: Depth=1
	s_add_co_i32 m0, s2, -7
	v_movrels_b32_e32 v117, v34
	v_mov_b32_e32 v116, s7
	s_add_co_i32 m0, s2, -6
	s_add_co_i32 s7, s7, 32
	v_movrels_b32_e32 v121, v34
	s_add_co_i32 m0, s2, -5
	ds_load_b128 v[122:125], v116
	ds_load_b128 v[126:129], v116 offset:16
	v_movrels_b32_e32 v116, v34
	s_add_co_i32 m0, s2, -4
	s_wait_dscnt 0x1
	v_fmac_f32_e32 v120, v117, v122
	v_movrels_b32_e32 v117, v34
	s_add_co_i32 m0, s2, -3
	s_delay_alu instid0(VALU_DEP_2) | instskip(NEXT) | instid1(VALU_DEP_1)
	v_fmac_f32_e32 v120, v121, v123
	v_fmac_f32_e32 v120, v116, v124
	v_movrels_b32_e32 v116, v34
	s_add_co_i32 m0, s2, -2
	s_delay_alu instid0(VALU_DEP_2) | instskip(SKIP_3) | instid1(VALU_DEP_2)
	v_fmac_f32_e32 v120, v117, v125
	v_movrels_b32_e32 v117, v34
	s_add_co_i32 m0, s2, -1
	s_wait_dscnt 0x0
	v_fmac_f32_e32 v120, v116, v126
	v_movrels_b32_e32 v116, v34
	s_mov_b32 m0, s2
	s_add_nc_u64 s[2:3], s[2:3], 8
	v_movrels_b32_e32 v121, v34
	v_dual_fmac_f32 v120, v117, v127 :: v_dual_add_nc_u32 v117, s2, v118
	s_add_co_i32 s8, s2, -7
	s_delay_alu instid0(VALU_DEP_1) | instskip(NEXT) | instid1(VALU_DEP_2)
	v_fmac_f32_e32 v120, v116, v128
	v_cmp_eq_u32_e32 vcc_lo, 7, v117
	s_delay_alu instid0(VALU_DEP_2) | instskip(SKIP_1) | instid1(SALU_CYCLE_1)
	v_dual_mov_b32 v116, s8 :: v_dual_fmac_f32 v120, v121, v129
	s_or_b32 s6, vcc_lo, s6
	s_and_not1_b32 exec_lo, exec_lo, s6
	s_cbranch_execnz .LBB88_121
; %bb.122:
	s_or_b32 exec_lo, exec_lo, s6
.LBB88_123:
	s_delay_alu instid0(SALU_CYCLE_1) | instskip(SKIP_3) | instid1(VALU_DEP_1)
	s_or_b32 exec_lo, exec_lo, s0
	v_and_b32_e32 v59, 7, v0
	s_mov_b32 s2, 0
	s_mov_b32 s0, exec_lo
	v_cmpx_ne_u32_e32 0, v59
	s_cbranch_execz .LBB88_127
; %bb.124:
	v_lshl_add_u32 v60, v116, 2, 0x70
	v_mov_b32_e32 v117, 0
.LBB88_125:                             ; =>This Inner Loop Header: Depth=1
	v_cmp_eq_u32_e32 vcc_lo, 1, v116
	ds_load_b32 v62, v60
	v_dual_add_nc_u32 v60, 4, v60 :: v_dual_add_nc_u32 v59, -1, v59
	v_cndmask_b32_e32 v61, v34, v35, vcc_lo
	v_cmp_eq_u32_e32 vcc_lo, 2, v116
	s_delay_alu instid0(VALU_DEP_2) | instskip(SKIP_1) | instid1(VALU_DEP_2)
	v_cndmask_b32_e32 v61, v61, v36, vcc_lo
	v_cmp_eq_u32_e32 vcc_lo, 3, v116
	v_cndmask_b32_e32 v61, v61, v37, vcc_lo
	v_cmp_eq_u32_e32 vcc_lo, 4, v116
	s_delay_alu instid0(VALU_DEP_2) | instskip(SKIP_1) | instid1(VALU_DEP_2)
	v_cndmask_b32_e32 v61, v61, v38, vcc_lo
	v_cmp_eq_u32_e32 vcc_lo, 5, v116
	;; [unrolled: 5-line block ×11, first 2 shown]
	v_cndmask_b32_e32 v61, v61, v57, vcc_lo
	v_cmp_eq_u32_e32 vcc_lo, 24, v116
	v_add_nc_u64_e32 v[116:117], 1, v[116:117]
	s_delay_alu instid0(VALU_DEP_3) | instskip(SKIP_2) | instid1(VALU_DEP_2)
	v_cndmask_b32_e32 v61, v61, v58, vcc_lo
	v_cmp_eq_u32_e32 vcc_lo, 0, v59
	s_wait_dscnt 0x0
	v_fmac_f32_e32 v120, v61, v62
	s_or_b32 s2, vcc_lo, s2
	s_delay_alu instid0(SALU_CYCLE_1)
	s_and_not1_b32 exec_lo, exec_lo, s2
	s_cbranch_execnz .LBB88_125
; %bb.126:
	s_or_b32 exec_lo, exec_lo, s2
.LBB88_127:
	s_delay_alu instid0(SALU_CYCLE_1)
	s_or_b32 exec_lo, exec_lo, s0
.LBB88_128:
	s_delay_alu instid0(SALU_CYCLE_1)
	s_or_b32 exec_lo, exec_lo, s5
	v_mov_b32_e32 v49, 0
	ds_load_b32 v49, v49 offset:60
	s_wait_dscnt 0x0
	v_mul_f32_e32 v49, v120, v49
.LBB88_129:
	s_or_b32 exec_lo, exec_lo, s4
	v_cmp_lt_u32_e64 s0, 14, v0
	ds_store_b32 v119, v48
	s_wait_dscnt 0x0
	s_barrier_signal -1
	s_barrier_wait -1
	s_and_saveexec_b32 s4, s0
	s_cbranch_execz .LBB88_145
; %bb.130:
	s_and_not1_b32 vcc_lo, exec_lo, s25
	s_cbranch_vccnz .LBB88_132
; %bb.131:
	v_cmp_eq_u32_e32 vcc_lo, 1, v0
	ds_load_b32 v117, v119
	v_cndmask_b32_e32 v116, v34, v35, vcc_lo
	v_cmp_eq_u32_e32 vcc_lo, 2, v0
	s_delay_alu instid0(VALU_DEP_2) | instskip(SKIP_1) | instid1(VALU_DEP_2)
	v_cndmask_b32_e32 v116, v116, v36, vcc_lo
	v_cmp_eq_u32_e32 vcc_lo, 3, v0
	v_cndmask_b32_e32 v116, v116, v37, vcc_lo
	v_cmp_eq_u32_e32 vcc_lo, 4, v0
	s_delay_alu instid0(VALU_DEP_2) | instskip(SKIP_1) | instid1(VALU_DEP_2)
	v_cndmask_b32_e32 v116, v116, v38, vcc_lo
	v_cmp_eq_u32_e32 vcc_lo, 5, v0
	;; [unrolled: 5-line block ×11, first 2 shown]
	v_cndmask_b32_e32 v116, v116, v57, vcc_lo
	v_cmp_eq_u32_e32 vcc_lo, 24, v0
	s_delay_alu instid0(VALU_DEP_2) | instskip(SKIP_1) | instid1(VALU_DEP_1)
	v_cndmask_b32_e32 v116, v116, v58, vcc_lo
	s_wait_dscnt 0x0
	v_mul_f32_e32 v120, v116, v117
	s_cbranch_execz .LBB88_133
	s_branch .LBB88_134
.LBB88_132:
                                        ; implicit-def: $vgpr120
.LBB88_133:
	ds_load_b32 v120, v119
.LBB88_134:
	s_and_saveexec_b32 s5, s1
	s_cbranch_execz .LBB88_144
; %bb.135:
	v_dual_add_nc_u32 v116, -16, v0 :: v_dual_add_nc_u32 v117, -15, v0
	s_delay_alu instid0(VALU_DEP_1)
	v_cmp_lt_u32_e32 vcc_lo, 6, v116
	v_mov_b32_e32 v116, 15
	s_and_saveexec_b32 s1, vcc_lo
	s_cbranch_execz .LBB88_139
; %bb.136:
	v_and_b32_e32 v116, -8, v117
	s_mov_b32 s6, 0
	s_mov_b64 s[2:3], 22
	s_movk_i32 s7, 0xac
	s_delay_alu instid0(VALU_DEP_1)
	v_sub_nc_u32_e32 v118, 0, v116
.LBB88_137:                             ; =>This Inner Loop Header: Depth=1
	s_add_co_i32 m0, s2, -7
	v_movrels_b32_e32 v121, v34
	v_mov_b32_e32 v116, s7
	s_add_co_i32 m0, s2, -6
	s_add_co_i32 s7, s7, 32
	v_movrels_b32_e32 v130, v34
	ds_load_2addr_b32 v[122:123], v116 offset1:1
	ds_load_2addr_b32 v[124:125], v116 offset0:2 offset1:3
	s_add_co_i32 m0, s2, -5
	s_wait_dscnt 0x1
	v_fmac_f32_e32 v120, v121, v122
	ds_load_2addr_b32 v[126:127], v116 offset0:4 offset1:5
	ds_load_2addr_b32 v[128:129], v116 offset0:6 offset1:7
	v_movrels_b32_e32 v116, v34
	s_add_co_i32 m0, s2, -4
	v_fmac_f32_e32 v120, v130, v123
	v_movrels_b32_e32 v121, v34
	s_add_co_i32 m0, s2, -3
	s_wait_dscnt 0x2
	s_delay_alu instid0(VALU_DEP_2) | instskip(SKIP_2) | instid1(VALU_DEP_2)
	v_fmac_f32_e32 v120, v116, v124
	v_movrels_b32_e32 v116, v34
	s_add_co_i32 m0, s2, -2
	v_fmac_f32_e32 v120, v121, v125
	v_movrels_b32_e32 v121, v34
	s_add_co_i32 m0, s2, -1
	s_wait_dscnt 0x1
	s_delay_alu instid0(VALU_DEP_2)
	v_fmac_f32_e32 v120, v116, v126
	v_movrels_b32_e32 v116, v34
	s_mov_b32 m0, s2
	s_add_nc_u64 s[2:3], s[2:3], 8
	v_movrels_b32_e32 v122, v34
	v_dual_fmac_f32 v120, v121, v127 :: v_dual_add_nc_u32 v121, s2, v118
	s_add_co_i32 s8, s2, -7
	s_wait_dscnt 0x0
	s_delay_alu instid0(VALU_DEP_1) | instskip(NEXT) | instid1(VALU_DEP_2)
	v_fmac_f32_e32 v120, v116, v128
	v_cmp_eq_u32_e32 vcc_lo, 22, v121
	s_delay_alu instid0(VALU_DEP_2) | instskip(SKIP_1) | instid1(SALU_CYCLE_1)
	v_dual_mov_b32 v116, s8 :: v_dual_fmac_f32 v120, v122, v129
	s_or_b32 s6, vcc_lo, s6
	s_and_not1_b32 exec_lo, exec_lo, s6
	s_cbranch_execnz .LBB88_137
; %bb.138:
	s_or_b32 exec_lo, exec_lo, s6
.LBB88_139:
	s_delay_alu instid0(SALU_CYCLE_1) | instskip(SKIP_3) | instid1(VALU_DEP_1)
	s_or_b32 exec_lo, exec_lo, s1
	v_and_b32_e32 v59, 7, v117
	s_mov_b32 s2, 0
	s_mov_b32 s1, exec_lo
	v_cmpx_ne_u32_e32 0, v59
	s_cbranch_execz .LBB88_143
; %bb.140:
	v_lshl_add_u32 v60, v116, 2, 0x70
	v_mov_b32_e32 v117, 0
.LBB88_141:                             ; =>This Inner Loop Header: Depth=1
	v_cmp_eq_u32_e32 vcc_lo, 1, v116
	ds_load_b32 v62, v60
	v_dual_add_nc_u32 v60, 4, v60 :: v_dual_add_nc_u32 v59, -1, v59
	v_cndmask_b32_e32 v61, v34, v35, vcc_lo
	v_cmp_eq_u32_e32 vcc_lo, 2, v116
	s_delay_alu instid0(VALU_DEP_2) | instskip(SKIP_1) | instid1(VALU_DEP_2)
	v_cndmask_b32_e32 v61, v61, v36, vcc_lo
	v_cmp_eq_u32_e32 vcc_lo, 3, v116
	v_cndmask_b32_e32 v61, v61, v37, vcc_lo
	v_cmp_eq_u32_e32 vcc_lo, 4, v116
	s_delay_alu instid0(VALU_DEP_2) | instskip(SKIP_1) | instid1(VALU_DEP_2)
	v_cndmask_b32_e32 v61, v61, v38, vcc_lo
	v_cmp_eq_u32_e32 vcc_lo, 5, v116
	;; [unrolled: 5-line block ×11, first 2 shown]
	v_cndmask_b32_e32 v61, v61, v57, vcc_lo
	v_cmp_eq_u32_e32 vcc_lo, 24, v116
	v_add_nc_u64_e32 v[116:117], 1, v[116:117]
	s_delay_alu instid0(VALU_DEP_3) | instskip(SKIP_2) | instid1(VALU_DEP_2)
	v_cndmask_b32_e32 v61, v61, v58, vcc_lo
	v_cmp_eq_u32_e32 vcc_lo, 0, v59
	s_wait_dscnt 0x0
	v_fmac_f32_e32 v120, v61, v62
	s_or_b32 s2, vcc_lo, s2
	s_delay_alu instid0(SALU_CYCLE_1)
	s_and_not1_b32 exec_lo, exec_lo, s2
	s_cbranch_execnz .LBB88_141
; %bb.142:
	s_or_b32 exec_lo, exec_lo, s2
.LBB88_143:
	s_delay_alu instid0(SALU_CYCLE_1)
	s_or_b32 exec_lo, exec_lo, s1
.LBB88_144:
	s_delay_alu instid0(SALU_CYCLE_1)
	s_or_b32 exec_lo, exec_lo, s5
	v_mov_b32_e32 v48, 0
	ds_load_b32 v48, v48 offset:56
	s_wait_dscnt 0x0
	v_mul_f32_e32 v48, v120, v48
.LBB88_145:
	s_or_b32 exec_lo, exec_lo, s4
	v_cmp_lt_u32_e64 s1, 13, v0
	ds_store_b32 v119, v47
	s_wait_dscnt 0x0
	s_barrier_signal -1
	s_barrier_wait -1
	s_and_saveexec_b32 s4, s1
	s_cbranch_execz .LBB88_161
; %bb.146:
	s_and_not1_b32 vcc_lo, exec_lo, s25
	s_cbranch_vccnz .LBB88_148
; %bb.147:
	v_cmp_eq_u32_e32 vcc_lo, 1, v0
	ds_load_b32 v117, v119
	v_cndmask_b32_e32 v116, v34, v35, vcc_lo
	v_cmp_eq_u32_e32 vcc_lo, 2, v0
	s_delay_alu instid0(VALU_DEP_2) | instskip(SKIP_1) | instid1(VALU_DEP_2)
	v_cndmask_b32_e32 v116, v116, v36, vcc_lo
	v_cmp_eq_u32_e32 vcc_lo, 3, v0
	v_cndmask_b32_e32 v116, v116, v37, vcc_lo
	v_cmp_eq_u32_e32 vcc_lo, 4, v0
	s_delay_alu instid0(VALU_DEP_2) | instskip(SKIP_1) | instid1(VALU_DEP_2)
	v_cndmask_b32_e32 v116, v116, v38, vcc_lo
	v_cmp_eq_u32_e32 vcc_lo, 5, v0
	;; [unrolled: 5-line block ×11, first 2 shown]
	v_cndmask_b32_e32 v116, v116, v57, vcc_lo
	v_cmp_eq_u32_e32 vcc_lo, 24, v0
	s_delay_alu instid0(VALU_DEP_2) | instskip(SKIP_1) | instid1(VALU_DEP_1)
	v_cndmask_b32_e32 v116, v116, v58, vcc_lo
	s_wait_dscnt 0x0
	v_mul_f32_e32 v120, v116, v117
	s_cbranch_execz .LBB88_149
	s_branch .LBB88_150
.LBB88_148:
                                        ; implicit-def: $vgpr120
.LBB88_149:
	ds_load_b32 v120, v119
.LBB88_150:
	s_and_saveexec_b32 s5, s0
	s_cbranch_execz .LBB88_160
; %bb.151:
	v_dual_add_nc_u32 v116, -15, v0 :: v_dual_add_nc_u32 v117, -14, v0
	s_delay_alu instid0(VALU_DEP_1)
	v_cmp_lt_u32_e32 vcc_lo, 6, v116
	v_mov_b32_e32 v116, 14
	s_and_saveexec_b32 s0, vcc_lo
	s_cbranch_execz .LBB88_155
; %bb.152:
	v_and_b32_e32 v116, -8, v117
	s_mov_b32 s6, 0
	s_mov_b64 s[2:3], 21
	s_movk_i32 s7, 0xa8
	s_delay_alu instid0(VALU_DEP_1)
	v_sub_nc_u32_e32 v118, 0, v116
.LBB88_153:                             ; =>This Inner Loop Header: Depth=1
	s_add_co_i32 m0, s2, -7
	v_movrels_b32_e32 v121, v34
	v_mov_b32_e32 v116, s7
	s_add_co_i32 m0, s2, -6
	s_add_co_i32 s7, s7, 32
	v_movrels_b32_e32 v130, v34
	s_add_co_i32 m0, s2, -5
	ds_load_2addr_b64 v[122:125], v116 offset1:1
	ds_load_2addr_b64 v[126:129], v116 offset0:2 offset1:3
	v_movrels_b32_e32 v116, v34
	s_add_co_i32 m0, s2, -4
	s_wait_dscnt 0x1
	v_fmac_f32_e32 v120, v121, v122
	v_movrels_b32_e32 v121, v34
	s_add_co_i32 m0, s2, -3
	s_delay_alu instid0(VALU_DEP_2) | instskip(NEXT) | instid1(VALU_DEP_1)
	v_fmac_f32_e32 v120, v130, v123
	v_fmac_f32_e32 v120, v116, v124
	v_movrels_b32_e32 v116, v34
	s_add_co_i32 m0, s2, -2
	s_delay_alu instid0(VALU_DEP_2) | instskip(SKIP_3) | instid1(VALU_DEP_2)
	v_fmac_f32_e32 v120, v121, v125
	v_movrels_b32_e32 v121, v34
	s_add_co_i32 m0, s2, -1
	s_wait_dscnt 0x0
	v_fmac_f32_e32 v120, v116, v126
	v_movrels_b32_e32 v116, v34
	s_mov_b32 m0, s2
	s_add_nc_u64 s[2:3], s[2:3], 8
	v_movrels_b32_e32 v122, v34
	v_dual_fmac_f32 v120, v121, v127 :: v_dual_add_nc_u32 v121, s2, v118
	s_add_co_i32 s8, s2, -7
	s_delay_alu instid0(VALU_DEP_1) | instskip(NEXT) | instid1(VALU_DEP_2)
	v_fmac_f32_e32 v120, v116, v128
	v_cmp_eq_u32_e32 vcc_lo, 21, v121
	s_delay_alu instid0(VALU_DEP_2) | instskip(SKIP_1) | instid1(SALU_CYCLE_1)
	v_dual_mov_b32 v116, s8 :: v_dual_fmac_f32 v120, v122, v129
	s_or_b32 s6, vcc_lo, s6
	s_and_not1_b32 exec_lo, exec_lo, s6
	s_cbranch_execnz .LBB88_153
; %bb.154:
	s_or_b32 exec_lo, exec_lo, s6
.LBB88_155:
	s_delay_alu instid0(SALU_CYCLE_1) | instskip(SKIP_3) | instid1(VALU_DEP_1)
	s_or_b32 exec_lo, exec_lo, s0
	v_and_b32_e32 v59, 7, v117
	s_mov_b32 s2, 0
	s_mov_b32 s0, exec_lo
	v_cmpx_ne_u32_e32 0, v59
	s_cbranch_execz .LBB88_159
; %bb.156:
	v_lshl_add_u32 v60, v116, 2, 0x70
	v_mov_b32_e32 v117, 0
.LBB88_157:                             ; =>This Inner Loop Header: Depth=1
	v_cmp_eq_u32_e32 vcc_lo, 1, v116
	ds_load_b32 v62, v60
	v_dual_add_nc_u32 v60, 4, v60 :: v_dual_add_nc_u32 v59, -1, v59
	v_cndmask_b32_e32 v61, v34, v35, vcc_lo
	v_cmp_eq_u32_e32 vcc_lo, 2, v116
	s_delay_alu instid0(VALU_DEP_2) | instskip(SKIP_1) | instid1(VALU_DEP_2)
	v_cndmask_b32_e32 v61, v61, v36, vcc_lo
	v_cmp_eq_u32_e32 vcc_lo, 3, v116
	v_cndmask_b32_e32 v61, v61, v37, vcc_lo
	v_cmp_eq_u32_e32 vcc_lo, 4, v116
	s_delay_alu instid0(VALU_DEP_2) | instskip(SKIP_1) | instid1(VALU_DEP_2)
	v_cndmask_b32_e32 v61, v61, v38, vcc_lo
	v_cmp_eq_u32_e32 vcc_lo, 5, v116
	;; [unrolled: 5-line block ×11, first 2 shown]
	v_cndmask_b32_e32 v61, v61, v57, vcc_lo
	v_cmp_eq_u32_e32 vcc_lo, 24, v116
	v_add_nc_u64_e32 v[116:117], 1, v[116:117]
	s_delay_alu instid0(VALU_DEP_3) | instskip(SKIP_2) | instid1(VALU_DEP_2)
	v_cndmask_b32_e32 v61, v61, v58, vcc_lo
	v_cmp_eq_u32_e32 vcc_lo, 0, v59
	s_wait_dscnt 0x0
	v_fmac_f32_e32 v120, v61, v62
	s_or_b32 s2, vcc_lo, s2
	s_delay_alu instid0(SALU_CYCLE_1)
	s_and_not1_b32 exec_lo, exec_lo, s2
	s_cbranch_execnz .LBB88_157
; %bb.158:
	s_or_b32 exec_lo, exec_lo, s2
.LBB88_159:
	s_delay_alu instid0(SALU_CYCLE_1)
	s_or_b32 exec_lo, exec_lo, s0
.LBB88_160:
	s_delay_alu instid0(SALU_CYCLE_1)
	s_or_b32 exec_lo, exec_lo, s5
	v_mov_b32_e32 v47, 0
	ds_load_b32 v47, v47 offset:52
	s_wait_dscnt 0x0
	v_mul_f32_e32 v47, v120, v47
.LBB88_161:
	s_or_b32 exec_lo, exec_lo, s4
	v_cmp_lt_u32_e64 s0, 12, v0
	ds_store_b32 v119, v46
	s_wait_dscnt 0x0
	s_barrier_signal -1
	s_barrier_wait -1
	s_and_saveexec_b32 s4, s0
	s_cbranch_execz .LBB88_177
; %bb.162:
	s_and_not1_b32 vcc_lo, exec_lo, s25
	s_cbranch_vccnz .LBB88_164
; %bb.163:
	v_cmp_eq_u32_e32 vcc_lo, 1, v0
	ds_load_b32 v117, v119
	v_cndmask_b32_e32 v116, v34, v35, vcc_lo
	v_cmp_eq_u32_e32 vcc_lo, 2, v0
	s_delay_alu instid0(VALU_DEP_2) | instskip(SKIP_1) | instid1(VALU_DEP_2)
	v_cndmask_b32_e32 v116, v116, v36, vcc_lo
	v_cmp_eq_u32_e32 vcc_lo, 3, v0
	v_cndmask_b32_e32 v116, v116, v37, vcc_lo
	v_cmp_eq_u32_e32 vcc_lo, 4, v0
	s_delay_alu instid0(VALU_DEP_2) | instskip(SKIP_1) | instid1(VALU_DEP_2)
	v_cndmask_b32_e32 v116, v116, v38, vcc_lo
	v_cmp_eq_u32_e32 vcc_lo, 5, v0
	;; [unrolled: 5-line block ×11, first 2 shown]
	v_cndmask_b32_e32 v116, v116, v57, vcc_lo
	v_cmp_eq_u32_e32 vcc_lo, 24, v0
	s_delay_alu instid0(VALU_DEP_2) | instskip(SKIP_1) | instid1(VALU_DEP_1)
	v_cndmask_b32_e32 v116, v116, v58, vcc_lo
	s_wait_dscnt 0x0
	v_mul_f32_e32 v120, v116, v117
	s_cbranch_execz .LBB88_165
	s_branch .LBB88_166
.LBB88_164:
                                        ; implicit-def: $vgpr120
.LBB88_165:
	ds_load_b32 v120, v119
.LBB88_166:
	s_and_saveexec_b32 s5, s1
	s_cbranch_execz .LBB88_176
; %bb.167:
	v_dual_add_nc_u32 v116, -14, v0 :: v_dual_add_nc_u32 v117, -13, v0
	s_delay_alu instid0(VALU_DEP_1)
	v_cmp_lt_u32_e32 vcc_lo, 6, v116
	v_mov_b32_e32 v116, 13
	s_and_saveexec_b32 s1, vcc_lo
	s_cbranch_execz .LBB88_171
; %bb.168:
	v_and_b32_e32 v116, -8, v117
	s_mov_b32 s6, 0
	s_mov_b64 s[2:3], 20
	s_movk_i32 s7, 0xa4
	s_delay_alu instid0(VALU_DEP_1)
	v_sub_nc_u32_e32 v118, 0, v116
.LBB88_169:                             ; =>This Inner Loop Header: Depth=1
	s_add_co_i32 m0, s2, -7
	v_movrels_b32_e32 v121, v34
	v_mov_b32_e32 v116, s7
	s_add_co_i32 m0, s2, -6
	s_add_co_i32 s7, s7, 32
	v_movrels_b32_e32 v130, v34
	ds_load_2addr_b32 v[122:123], v116 offset1:1
	ds_load_2addr_b32 v[124:125], v116 offset0:2 offset1:3
	s_add_co_i32 m0, s2, -5
	s_wait_dscnt 0x1
	v_fmac_f32_e32 v120, v121, v122
	ds_load_2addr_b32 v[126:127], v116 offset0:4 offset1:5
	ds_load_2addr_b32 v[128:129], v116 offset0:6 offset1:7
	v_movrels_b32_e32 v116, v34
	s_add_co_i32 m0, s2, -4
	v_fmac_f32_e32 v120, v130, v123
	v_movrels_b32_e32 v121, v34
	s_add_co_i32 m0, s2, -3
	s_wait_dscnt 0x2
	s_delay_alu instid0(VALU_DEP_2) | instskip(SKIP_2) | instid1(VALU_DEP_2)
	v_fmac_f32_e32 v120, v116, v124
	v_movrels_b32_e32 v116, v34
	s_add_co_i32 m0, s2, -2
	v_fmac_f32_e32 v120, v121, v125
	v_movrels_b32_e32 v121, v34
	s_add_co_i32 m0, s2, -1
	s_wait_dscnt 0x1
	s_delay_alu instid0(VALU_DEP_2)
	v_fmac_f32_e32 v120, v116, v126
	v_movrels_b32_e32 v116, v34
	s_mov_b32 m0, s2
	s_add_nc_u64 s[2:3], s[2:3], 8
	v_movrels_b32_e32 v122, v34
	v_dual_fmac_f32 v120, v121, v127 :: v_dual_add_nc_u32 v121, s2, v118
	s_add_co_i32 s8, s2, -7
	s_wait_dscnt 0x0
	s_delay_alu instid0(VALU_DEP_1) | instskip(NEXT) | instid1(VALU_DEP_2)
	v_fmac_f32_e32 v120, v116, v128
	v_cmp_eq_u32_e32 vcc_lo, 20, v121
	s_delay_alu instid0(VALU_DEP_2) | instskip(SKIP_1) | instid1(SALU_CYCLE_1)
	v_dual_mov_b32 v116, s8 :: v_dual_fmac_f32 v120, v122, v129
	s_or_b32 s6, vcc_lo, s6
	s_and_not1_b32 exec_lo, exec_lo, s6
	s_cbranch_execnz .LBB88_169
; %bb.170:
	s_or_b32 exec_lo, exec_lo, s6
.LBB88_171:
	s_delay_alu instid0(SALU_CYCLE_1) | instskip(SKIP_3) | instid1(VALU_DEP_1)
	s_or_b32 exec_lo, exec_lo, s1
	v_and_b32_e32 v59, 7, v117
	s_mov_b32 s2, 0
	s_mov_b32 s1, exec_lo
	v_cmpx_ne_u32_e32 0, v59
	s_cbranch_execz .LBB88_175
; %bb.172:
	v_lshl_add_u32 v60, v116, 2, 0x70
	v_mov_b32_e32 v117, 0
.LBB88_173:                             ; =>This Inner Loop Header: Depth=1
	v_cmp_eq_u32_e32 vcc_lo, 1, v116
	ds_load_b32 v62, v60
	v_dual_add_nc_u32 v60, 4, v60 :: v_dual_add_nc_u32 v59, -1, v59
	v_cndmask_b32_e32 v61, v34, v35, vcc_lo
	v_cmp_eq_u32_e32 vcc_lo, 2, v116
	s_delay_alu instid0(VALU_DEP_2) | instskip(SKIP_1) | instid1(VALU_DEP_2)
	v_cndmask_b32_e32 v61, v61, v36, vcc_lo
	v_cmp_eq_u32_e32 vcc_lo, 3, v116
	v_cndmask_b32_e32 v61, v61, v37, vcc_lo
	v_cmp_eq_u32_e32 vcc_lo, 4, v116
	s_delay_alu instid0(VALU_DEP_2) | instskip(SKIP_1) | instid1(VALU_DEP_2)
	v_cndmask_b32_e32 v61, v61, v38, vcc_lo
	v_cmp_eq_u32_e32 vcc_lo, 5, v116
	;; [unrolled: 5-line block ×11, first 2 shown]
	v_cndmask_b32_e32 v61, v61, v57, vcc_lo
	v_cmp_eq_u32_e32 vcc_lo, 24, v116
	v_add_nc_u64_e32 v[116:117], 1, v[116:117]
	s_delay_alu instid0(VALU_DEP_3) | instskip(SKIP_2) | instid1(VALU_DEP_2)
	v_cndmask_b32_e32 v61, v61, v58, vcc_lo
	v_cmp_eq_u32_e32 vcc_lo, 0, v59
	s_wait_dscnt 0x0
	v_fmac_f32_e32 v120, v61, v62
	s_or_b32 s2, vcc_lo, s2
	s_delay_alu instid0(SALU_CYCLE_1)
	s_and_not1_b32 exec_lo, exec_lo, s2
	s_cbranch_execnz .LBB88_173
; %bb.174:
	s_or_b32 exec_lo, exec_lo, s2
.LBB88_175:
	s_delay_alu instid0(SALU_CYCLE_1)
	s_or_b32 exec_lo, exec_lo, s1
.LBB88_176:
	s_delay_alu instid0(SALU_CYCLE_1)
	s_or_b32 exec_lo, exec_lo, s5
	v_mov_b32_e32 v46, 0
	ds_load_b32 v46, v46 offset:48
	s_wait_dscnt 0x0
	v_mul_f32_e32 v46, v120, v46
.LBB88_177:
	s_or_b32 exec_lo, exec_lo, s4
	v_cmp_lt_u32_e64 s1, 11, v0
	ds_store_b32 v119, v45
	s_wait_dscnt 0x0
	s_barrier_signal -1
	s_barrier_wait -1
	s_and_saveexec_b32 s4, s1
	s_cbranch_execz .LBB88_193
; %bb.178:
	s_and_not1_b32 vcc_lo, exec_lo, s25
	s_cbranch_vccnz .LBB88_180
; %bb.179:
	v_cmp_eq_u32_e32 vcc_lo, 1, v0
	ds_load_b32 v117, v119
	v_cndmask_b32_e32 v116, v34, v35, vcc_lo
	v_cmp_eq_u32_e32 vcc_lo, 2, v0
	s_delay_alu instid0(VALU_DEP_2) | instskip(SKIP_1) | instid1(VALU_DEP_2)
	v_cndmask_b32_e32 v116, v116, v36, vcc_lo
	v_cmp_eq_u32_e32 vcc_lo, 3, v0
	v_cndmask_b32_e32 v116, v116, v37, vcc_lo
	v_cmp_eq_u32_e32 vcc_lo, 4, v0
	s_delay_alu instid0(VALU_DEP_2) | instskip(SKIP_1) | instid1(VALU_DEP_2)
	v_cndmask_b32_e32 v116, v116, v38, vcc_lo
	v_cmp_eq_u32_e32 vcc_lo, 5, v0
	;; [unrolled: 5-line block ×11, first 2 shown]
	v_cndmask_b32_e32 v116, v116, v57, vcc_lo
	v_cmp_eq_u32_e32 vcc_lo, 24, v0
	s_delay_alu instid0(VALU_DEP_2) | instskip(SKIP_1) | instid1(VALU_DEP_1)
	v_cndmask_b32_e32 v116, v116, v58, vcc_lo
	s_wait_dscnt 0x0
	v_mul_f32_e32 v120, v116, v117
	s_cbranch_execz .LBB88_181
	s_branch .LBB88_182
.LBB88_180:
                                        ; implicit-def: $vgpr120
.LBB88_181:
	ds_load_b32 v120, v119
.LBB88_182:
	s_and_saveexec_b32 s5, s0
	s_cbranch_execz .LBB88_192
; %bb.183:
	v_dual_add_nc_u32 v116, -13, v0 :: v_dual_add_nc_u32 v117, -12, v0
	s_delay_alu instid0(VALU_DEP_1)
	v_cmp_lt_u32_e32 vcc_lo, 6, v116
	v_mov_b32_e32 v116, 12
	s_and_saveexec_b32 s0, vcc_lo
	s_cbranch_execz .LBB88_187
; %bb.184:
	v_and_b32_e32 v116, -8, v117
	s_mov_b32 s6, 0
	s_mov_b64 s[2:3], 19
	s_movk_i32 s7, 0xa0
	s_delay_alu instid0(VALU_DEP_1)
	v_sub_nc_u32_e32 v118, 0, v116
.LBB88_185:                             ; =>This Inner Loop Header: Depth=1
	s_add_co_i32 m0, s2, -7
	v_movrels_b32_e32 v121, v34
	v_mov_b32_e32 v116, s7
	s_add_co_i32 m0, s2, -6
	s_add_co_i32 s7, s7, 32
	v_movrels_b32_e32 v130, v34
	s_add_co_i32 m0, s2, -5
	ds_load_b128 v[122:125], v116
	ds_load_b128 v[126:129], v116 offset:16
	v_movrels_b32_e32 v116, v34
	s_add_co_i32 m0, s2, -4
	s_wait_dscnt 0x1
	v_fmac_f32_e32 v120, v121, v122
	v_movrels_b32_e32 v121, v34
	s_add_co_i32 m0, s2, -3
	s_delay_alu instid0(VALU_DEP_2) | instskip(NEXT) | instid1(VALU_DEP_1)
	v_fmac_f32_e32 v120, v130, v123
	v_fmac_f32_e32 v120, v116, v124
	v_movrels_b32_e32 v116, v34
	s_add_co_i32 m0, s2, -2
	s_delay_alu instid0(VALU_DEP_2) | instskip(SKIP_3) | instid1(VALU_DEP_2)
	v_fmac_f32_e32 v120, v121, v125
	v_movrels_b32_e32 v121, v34
	s_add_co_i32 m0, s2, -1
	s_wait_dscnt 0x0
	v_fmac_f32_e32 v120, v116, v126
	v_movrels_b32_e32 v116, v34
	s_mov_b32 m0, s2
	s_add_nc_u64 s[2:3], s[2:3], 8
	v_movrels_b32_e32 v122, v34
	v_dual_fmac_f32 v120, v121, v127 :: v_dual_add_nc_u32 v121, s2, v118
	s_add_co_i32 s8, s2, -7
	s_delay_alu instid0(VALU_DEP_1) | instskip(NEXT) | instid1(VALU_DEP_2)
	v_fmac_f32_e32 v120, v116, v128
	v_cmp_eq_u32_e32 vcc_lo, 19, v121
	s_delay_alu instid0(VALU_DEP_2) | instskip(SKIP_1) | instid1(SALU_CYCLE_1)
	v_dual_mov_b32 v116, s8 :: v_dual_fmac_f32 v120, v122, v129
	s_or_b32 s6, vcc_lo, s6
	s_and_not1_b32 exec_lo, exec_lo, s6
	s_cbranch_execnz .LBB88_185
; %bb.186:
	s_or_b32 exec_lo, exec_lo, s6
.LBB88_187:
	s_delay_alu instid0(SALU_CYCLE_1) | instskip(SKIP_3) | instid1(VALU_DEP_1)
	s_or_b32 exec_lo, exec_lo, s0
	v_and_b32_e32 v59, 7, v117
	s_mov_b32 s2, 0
	s_mov_b32 s0, exec_lo
	v_cmpx_ne_u32_e32 0, v59
	s_cbranch_execz .LBB88_191
; %bb.188:
	v_lshl_add_u32 v60, v116, 2, 0x70
	v_mov_b32_e32 v117, 0
.LBB88_189:                             ; =>This Inner Loop Header: Depth=1
	v_cmp_eq_u32_e32 vcc_lo, 1, v116
	ds_load_b32 v62, v60
	v_dual_add_nc_u32 v60, 4, v60 :: v_dual_add_nc_u32 v59, -1, v59
	v_cndmask_b32_e32 v61, v34, v35, vcc_lo
	v_cmp_eq_u32_e32 vcc_lo, 2, v116
	s_delay_alu instid0(VALU_DEP_2) | instskip(SKIP_1) | instid1(VALU_DEP_2)
	v_cndmask_b32_e32 v61, v61, v36, vcc_lo
	v_cmp_eq_u32_e32 vcc_lo, 3, v116
	v_cndmask_b32_e32 v61, v61, v37, vcc_lo
	v_cmp_eq_u32_e32 vcc_lo, 4, v116
	s_delay_alu instid0(VALU_DEP_2) | instskip(SKIP_1) | instid1(VALU_DEP_2)
	v_cndmask_b32_e32 v61, v61, v38, vcc_lo
	v_cmp_eq_u32_e32 vcc_lo, 5, v116
	;; [unrolled: 5-line block ×11, first 2 shown]
	v_cndmask_b32_e32 v61, v61, v57, vcc_lo
	v_cmp_eq_u32_e32 vcc_lo, 24, v116
	v_add_nc_u64_e32 v[116:117], 1, v[116:117]
	s_delay_alu instid0(VALU_DEP_3) | instskip(SKIP_2) | instid1(VALU_DEP_2)
	v_cndmask_b32_e32 v61, v61, v58, vcc_lo
	v_cmp_eq_u32_e32 vcc_lo, 0, v59
	s_wait_dscnt 0x0
	v_fmac_f32_e32 v120, v61, v62
	s_or_b32 s2, vcc_lo, s2
	s_delay_alu instid0(SALU_CYCLE_1)
	s_and_not1_b32 exec_lo, exec_lo, s2
	s_cbranch_execnz .LBB88_189
; %bb.190:
	s_or_b32 exec_lo, exec_lo, s2
.LBB88_191:
	s_delay_alu instid0(SALU_CYCLE_1)
	s_or_b32 exec_lo, exec_lo, s0
.LBB88_192:
	s_delay_alu instid0(SALU_CYCLE_1)
	s_or_b32 exec_lo, exec_lo, s5
	v_mov_b32_e32 v45, 0
	ds_load_b32 v45, v45 offset:44
	s_wait_dscnt 0x0
	v_mul_f32_e32 v45, v120, v45
.LBB88_193:
	s_or_b32 exec_lo, exec_lo, s4
	v_cmp_lt_u32_e64 s0, 10, v0
	ds_store_b32 v119, v44
	s_wait_dscnt 0x0
	s_barrier_signal -1
	s_barrier_wait -1
	s_and_saveexec_b32 s4, s0
	s_cbranch_execz .LBB88_209
; %bb.194:
	s_and_not1_b32 vcc_lo, exec_lo, s25
	s_cbranch_vccnz .LBB88_196
; %bb.195:
	v_cmp_eq_u32_e32 vcc_lo, 1, v0
	ds_load_b32 v117, v119
	v_cndmask_b32_e32 v116, v34, v35, vcc_lo
	v_cmp_eq_u32_e32 vcc_lo, 2, v0
	s_delay_alu instid0(VALU_DEP_2) | instskip(SKIP_1) | instid1(VALU_DEP_2)
	v_cndmask_b32_e32 v116, v116, v36, vcc_lo
	v_cmp_eq_u32_e32 vcc_lo, 3, v0
	v_cndmask_b32_e32 v116, v116, v37, vcc_lo
	v_cmp_eq_u32_e32 vcc_lo, 4, v0
	s_delay_alu instid0(VALU_DEP_2) | instskip(SKIP_1) | instid1(VALU_DEP_2)
	v_cndmask_b32_e32 v116, v116, v38, vcc_lo
	v_cmp_eq_u32_e32 vcc_lo, 5, v0
	;; [unrolled: 5-line block ×11, first 2 shown]
	v_cndmask_b32_e32 v116, v116, v57, vcc_lo
	v_cmp_eq_u32_e32 vcc_lo, 24, v0
	s_delay_alu instid0(VALU_DEP_2) | instskip(SKIP_1) | instid1(VALU_DEP_1)
	v_cndmask_b32_e32 v116, v116, v58, vcc_lo
	s_wait_dscnt 0x0
	v_mul_f32_e32 v120, v116, v117
	s_cbranch_execz .LBB88_197
	s_branch .LBB88_198
.LBB88_196:
                                        ; implicit-def: $vgpr120
.LBB88_197:
	ds_load_b32 v120, v119
.LBB88_198:
	s_and_saveexec_b32 s5, s1
	s_cbranch_execz .LBB88_208
; %bb.199:
	v_dual_add_nc_u32 v116, -12, v0 :: v_dual_add_nc_u32 v117, -11, v0
	s_delay_alu instid0(VALU_DEP_1)
	v_cmp_lt_u32_e32 vcc_lo, 6, v116
	v_mov_b32_e32 v116, 11
	s_and_saveexec_b32 s1, vcc_lo
	s_cbranch_execz .LBB88_203
; %bb.200:
	v_and_b32_e32 v116, -8, v117
	s_mov_b32 s6, 0
	s_mov_b64 s[2:3], 18
	s_movk_i32 s7, 0x9c
	s_delay_alu instid0(VALU_DEP_1)
	v_sub_nc_u32_e32 v118, 0, v116
.LBB88_201:                             ; =>This Inner Loop Header: Depth=1
	s_add_co_i32 m0, s2, -7
	v_movrels_b32_e32 v121, v34
	v_mov_b32_e32 v116, s7
	s_add_co_i32 m0, s2, -6
	s_add_co_i32 s7, s7, 32
	v_movrels_b32_e32 v130, v34
	ds_load_2addr_b32 v[122:123], v116 offset1:1
	ds_load_2addr_b32 v[124:125], v116 offset0:2 offset1:3
	s_add_co_i32 m0, s2, -5
	s_wait_dscnt 0x1
	v_fmac_f32_e32 v120, v121, v122
	ds_load_2addr_b32 v[126:127], v116 offset0:4 offset1:5
	ds_load_2addr_b32 v[128:129], v116 offset0:6 offset1:7
	v_movrels_b32_e32 v116, v34
	s_add_co_i32 m0, s2, -4
	v_fmac_f32_e32 v120, v130, v123
	v_movrels_b32_e32 v121, v34
	s_add_co_i32 m0, s2, -3
	s_wait_dscnt 0x2
	s_delay_alu instid0(VALU_DEP_2) | instskip(SKIP_2) | instid1(VALU_DEP_2)
	v_fmac_f32_e32 v120, v116, v124
	v_movrels_b32_e32 v116, v34
	s_add_co_i32 m0, s2, -2
	v_fmac_f32_e32 v120, v121, v125
	v_movrels_b32_e32 v121, v34
	s_add_co_i32 m0, s2, -1
	s_wait_dscnt 0x1
	s_delay_alu instid0(VALU_DEP_2)
	v_fmac_f32_e32 v120, v116, v126
	v_movrels_b32_e32 v116, v34
	s_mov_b32 m0, s2
	s_add_nc_u64 s[2:3], s[2:3], 8
	v_movrels_b32_e32 v122, v34
	v_dual_fmac_f32 v120, v121, v127 :: v_dual_add_nc_u32 v121, s2, v118
	s_add_co_i32 s8, s2, -7
	s_wait_dscnt 0x0
	s_delay_alu instid0(VALU_DEP_1) | instskip(NEXT) | instid1(VALU_DEP_2)
	v_fmac_f32_e32 v120, v116, v128
	v_cmp_eq_u32_e32 vcc_lo, 18, v121
	s_delay_alu instid0(VALU_DEP_2) | instskip(SKIP_1) | instid1(SALU_CYCLE_1)
	v_dual_mov_b32 v116, s8 :: v_dual_fmac_f32 v120, v122, v129
	s_or_b32 s6, vcc_lo, s6
	s_and_not1_b32 exec_lo, exec_lo, s6
	s_cbranch_execnz .LBB88_201
; %bb.202:
	s_or_b32 exec_lo, exec_lo, s6
.LBB88_203:
	s_delay_alu instid0(SALU_CYCLE_1) | instskip(SKIP_3) | instid1(VALU_DEP_1)
	s_or_b32 exec_lo, exec_lo, s1
	v_and_b32_e32 v59, 7, v117
	s_mov_b32 s2, 0
	s_mov_b32 s1, exec_lo
	v_cmpx_ne_u32_e32 0, v59
	s_cbranch_execz .LBB88_207
; %bb.204:
	v_lshl_add_u32 v60, v116, 2, 0x70
	v_mov_b32_e32 v117, 0
.LBB88_205:                             ; =>This Inner Loop Header: Depth=1
	v_cmp_eq_u32_e32 vcc_lo, 1, v116
	ds_load_b32 v62, v60
	v_dual_add_nc_u32 v60, 4, v60 :: v_dual_add_nc_u32 v59, -1, v59
	v_cndmask_b32_e32 v61, v34, v35, vcc_lo
	v_cmp_eq_u32_e32 vcc_lo, 2, v116
	s_delay_alu instid0(VALU_DEP_2) | instskip(SKIP_1) | instid1(VALU_DEP_2)
	v_cndmask_b32_e32 v61, v61, v36, vcc_lo
	v_cmp_eq_u32_e32 vcc_lo, 3, v116
	v_cndmask_b32_e32 v61, v61, v37, vcc_lo
	v_cmp_eq_u32_e32 vcc_lo, 4, v116
	s_delay_alu instid0(VALU_DEP_2) | instskip(SKIP_1) | instid1(VALU_DEP_2)
	v_cndmask_b32_e32 v61, v61, v38, vcc_lo
	v_cmp_eq_u32_e32 vcc_lo, 5, v116
	;; [unrolled: 5-line block ×11, first 2 shown]
	v_cndmask_b32_e32 v61, v61, v57, vcc_lo
	v_cmp_eq_u32_e32 vcc_lo, 24, v116
	v_add_nc_u64_e32 v[116:117], 1, v[116:117]
	s_delay_alu instid0(VALU_DEP_3) | instskip(SKIP_2) | instid1(VALU_DEP_2)
	v_cndmask_b32_e32 v61, v61, v58, vcc_lo
	v_cmp_eq_u32_e32 vcc_lo, 0, v59
	s_wait_dscnt 0x0
	v_fmac_f32_e32 v120, v61, v62
	s_or_b32 s2, vcc_lo, s2
	s_delay_alu instid0(SALU_CYCLE_1)
	s_and_not1_b32 exec_lo, exec_lo, s2
	s_cbranch_execnz .LBB88_205
; %bb.206:
	s_or_b32 exec_lo, exec_lo, s2
.LBB88_207:
	s_delay_alu instid0(SALU_CYCLE_1)
	s_or_b32 exec_lo, exec_lo, s1
.LBB88_208:
	s_delay_alu instid0(SALU_CYCLE_1)
	s_or_b32 exec_lo, exec_lo, s5
	v_mov_b32_e32 v44, 0
	ds_load_b32 v44, v44 offset:40
	s_wait_dscnt 0x0
	v_mul_f32_e32 v44, v120, v44
.LBB88_209:
	s_or_b32 exec_lo, exec_lo, s4
	v_cmp_lt_u32_e64 s1, 9, v0
	ds_store_b32 v119, v43
	s_wait_dscnt 0x0
	s_barrier_signal -1
	s_barrier_wait -1
	s_and_saveexec_b32 s4, s1
	s_cbranch_execz .LBB88_225
; %bb.210:
	s_and_not1_b32 vcc_lo, exec_lo, s25
	s_cbranch_vccnz .LBB88_212
; %bb.211:
	v_cmp_eq_u32_e32 vcc_lo, 1, v0
	ds_load_b32 v117, v119
	v_cndmask_b32_e32 v116, v34, v35, vcc_lo
	v_cmp_eq_u32_e32 vcc_lo, 2, v0
	s_delay_alu instid0(VALU_DEP_2) | instskip(SKIP_1) | instid1(VALU_DEP_2)
	v_cndmask_b32_e32 v116, v116, v36, vcc_lo
	v_cmp_eq_u32_e32 vcc_lo, 3, v0
	v_cndmask_b32_e32 v116, v116, v37, vcc_lo
	v_cmp_eq_u32_e32 vcc_lo, 4, v0
	s_delay_alu instid0(VALU_DEP_2) | instskip(SKIP_1) | instid1(VALU_DEP_2)
	v_cndmask_b32_e32 v116, v116, v38, vcc_lo
	v_cmp_eq_u32_e32 vcc_lo, 5, v0
	;; [unrolled: 5-line block ×11, first 2 shown]
	v_cndmask_b32_e32 v116, v116, v57, vcc_lo
	v_cmp_eq_u32_e32 vcc_lo, 24, v0
	s_delay_alu instid0(VALU_DEP_2) | instskip(SKIP_1) | instid1(VALU_DEP_1)
	v_cndmask_b32_e32 v116, v116, v58, vcc_lo
	s_wait_dscnt 0x0
	v_mul_f32_e32 v120, v116, v117
	s_cbranch_execz .LBB88_213
	s_branch .LBB88_214
.LBB88_212:
                                        ; implicit-def: $vgpr120
.LBB88_213:
	ds_load_b32 v120, v119
.LBB88_214:
	s_and_saveexec_b32 s5, s0
	s_cbranch_execz .LBB88_224
; %bb.215:
	v_dual_add_nc_u32 v116, -11, v0 :: v_dual_add_nc_u32 v117, -10, v0
	s_delay_alu instid0(VALU_DEP_1)
	v_cmp_lt_u32_e32 vcc_lo, 6, v116
	v_mov_b32_e32 v116, 10
	s_and_saveexec_b32 s0, vcc_lo
	s_cbranch_execz .LBB88_219
; %bb.216:
	v_and_b32_e32 v116, -8, v117
	s_mov_b32 s6, 0
	s_mov_b64 s[2:3], 17
	s_movk_i32 s7, 0x98
	s_delay_alu instid0(VALU_DEP_1)
	v_sub_nc_u32_e32 v118, 0, v116
.LBB88_217:                             ; =>This Inner Loop Header: Depth=1
	s_add_co_i32 m0, s2, -7
	v_movrels_b32_e32 v121, v34
	v_mov_b32_e32 v116, s7
	s_add_co_i32 m0, s2, -6
	s_add_co_i32 s7, s7, 32
	v_movrels_b32_e32 v130, v34
	s_add_co_i32 m0, s2, -5
	ds_load_2addr_b64 v[122:125], v116 offset1:1
	ds_load_2addr_b64 v[126:129], v116 offset0:2 offset1:3
	v_movrels_b32_e32 v116, v34
	s_add_co_i32 m0, s2, -4
	s_wait_dscnt 0x1
	v_fmac_f32_e32 v120, v121, v122
	v_movrels_b32_e32 v121, v34
	s_add_co_i32 m0, s2, -3
	s_delay_alu instid0(VALU_DEP_2) | instskip(NEXT) | instid1(VALU_DEP_1)
	v_fmac_f32_e32 v120, v130, v123
	v_fmac_f32_e32 v120, v116, v124
	v_movrels_b32_e32 v116, v34
	s_add_co_i32 m0, s2, -2
	s_delay_alu instid0(VALU_DEP_2) | instskip(SKIP_3) | instid1(VALU_DEP_2)
	v_fmac_f32_e32 v120, v121, v125
	v_movrels_b32_e32 v121, v34
	s_add_co_i32 m0, s2, -1
	s_wait_dscnt 0x0
	v_fmac_f32_e32 v120, v116, v126
	v_movrels_b32_e32 v116, v34
	s_mov_b32 m0, s2
	s_add_nc_u64 s[2:3], s[2:3], 8
	v_movrels_b32_e32 v122, v34
	v_dual_fmac_f32 v120, v121, v127 :: v_dual_add_nc_u32 v121, s2, v118
	s_add_co_i32 s8, s2, -7
	s_delay_alu instid0(VALU_DEP_1) | instskip(NEXT) | instid1(VALU_DEP_2)
	v_fmac_f32_e32 v120, v116, v128
	v_cmp_eq_u32_e32 vcc_lo, 17, v121
	s_delay_alu instid0(VALU_DEP_2) | instskip(SKIP_1) | instid1(SALU_CYCLE_1)
	v_dual_mov_b32 v116, s8 :: v_dual_fmac_f32 v120, v122, v129
	s_or_b32 s6, vcc_lo, s6
	s_and_not1_b32 exec_lo, exec_lo, s6
	s_cbranch_execnz .LBB88_217
; %bb.218:
	s_or_b32 exec_lo, exec_lo, s6
.LBB88_219:
	s_delay_alu instid0(SALU_CYCLE_1) | instskip(SKIP_3) | instid1(VALU_DEP_1)
	s_or_b32 exec_lo, exec_lo, s0
	v_and_b32_e32 v59, 7, v117
	s_mov_b32 s2, 0
	s_mov_b32 s0, exec_lo
	v_cmpx_ne_u32_e32 0, v59
	s_cbranch_execz .LBB88_223
; %bb.220:
	v_lshl_add_u32 v60, v116, 2, 0x70
	v_mov_b32_e32 v117, 0
.LBB88_221:                             ; =>This Inner Loop Header: Depth=1
	v_cmp_eq_u32_e32 vcc_lo, 1, v116
	ds_load_b32 v62, v60
	v_dual_add_nc_u32 v60, 4, v60 :: v_dual_add_nc_u32 v59, -1, v59
	v_cndmask_b32_e32 v61, v34, v35, vcc_lo
	v_cmp_eq_u32_e32 vcc_lo, 2, v116
	s_delay_alu instid0(VALU_DEP_2) | instskip(SKIP_1) | instid1(VALU_DEP_2)
	v_cndmask_b32_e32 v61, v61, v36, vcc_lo
	v_cmp_eq_u32_e32 vcc_lo, 3, v116
	v_cndmask_b32_e32 v61, v61, v37, vcc_lo
	v_cmp_eq_u32_e32 vcc_lo, 4, v116
	s_delay_alu instid0(VALU_DEP_2) | instskip(SKIP_1) | instid1(VALU_DEP_2)
	v_cndmask_b32_e32 v61, v61, v38, vcc_lo
	v_cmp_eq_u32_e32 vcc_lo, 5, v116
	;; [unrolled: 5-line block ×11, first 2 shown]
	v_cndmask_b32_e32 v61, v61, v57, vcc_lo
	v_cmp_eq_u32_e32 vcc_lo, 24, v116
	v_add_nc_u64_e32 v[116:117], 1, v[116:117]
	s_delay_alu instid0(VALU_DEP_3) | instskip(SKIP_2) | instid1(VALU_DEP_2)
	v_cndmask_b32_e32 v61, v61, v58, vcc_lo
	v_cmp_eq_u32_e32 vcc_lo, 0, v59
	s_wait_dscnt 0x0
	v_fmac_f32_e32 v120, v61, v62
	s_or_b32 s2, vcc_lo, s2
	s_delay_alu instid0(SALU_CYCLE_1)
	s_and_not1_b32 exec_lo, exec_lo, s2
	s_cbranch_execnz .LBB88_221
; %bb.222:
	s_or_b32 exec_lo, exec_lo, s2
.LBB88_223:
	s_delay_alu instid0(SALU_CYCLE_1)
	s_or_b32 exec_lo, exec_lo, s0
.LBB88_224:
	s_delay_alu instid0(SALU_CYCLE_1)
	s_or_b32 exec_lo, exec_lo, s5
	v_mov_b32_e32 v43, 0
	ds_load_b32 v43, v43 offset:36
	s_wait_dscnt 0x0
	v_mul_f32_e32 v43, v120, v43
.LBB88_225:
	s_or_b32 exec_lo, exec_lo, s4
	v_cmp_lt_u32_e64 s0, 8, v0
	ds_store_b32 v119, v42
	s_wait_dscnt 0x0
	s_barrier_signal -1
	s_barrier_wait -1
	s_and_saveexec_b32 s4, s0
	s_cbranch_execz .LBB88_241
; %bb.226:
	s_and_not1_b32 vcc_lo, exec_lo, s25
	s_cbranch_vccnz .LBB88_228
; %bb.227:
	v_cmp_eq_u32_e32 vcc_lo, 1, v0
	ds_load_b32 v117, v119
	v_cndmask_b32_e32 v116, v34, v35, vcc_lo
	v_cmp_eq_u32_e32 vcc_lo, 2, v0
	s_delay_alu instid0(VALU_DEP_2) | instskip(SKIP_1) | instid1(VALU_DEP_2)
	v_cndmask_b32_e32 v116, v116, v36, vcc_lo
	v_cmp_eq_u32_e32 vcc_lo, 3, v0
	v_cndmask_b32_e32 v116, v116, v37, vcc_lo
	v_cmp_eq_u32_e32 vcc_lo, 4, v0
	s_delay_alu instid0(VALU_DEP_2) | instskip(SKIP_1) | instid1(VALU_DEP_2)
	v_cndmask_b32_e32 v116, v116, v38, vcc_lo
	v_cmp_eq_u32_e32 vcc_lo, 5, v0
	;; [unrolled: 5-line block ×11, first 2 shown]
	v_cndmask_b32_e32 v116, v116, v57, vcc_lo
	v_cmp_eq_u32_e32 vcc_lo, 24, v0
	s_delay_alu instid0(VALU_DEP_2) | instskip(SKIP_1) | instid1(VALU_DEP_1)
	v_cndmask_b32_e32 v116, v116, v58, vcc_lo
	s_wait_dscnt 0x0
	v_mul_f32_e32 v120, v116, v117
	s_cbranch_execz .LBB88_229
	s_branch .LBB88_230
.LBB88_228:
                                        ; implicit-def: $vgpr120
.LBB88_229:
	ds_load_b32 v120, v119
.LBB88_230:
	s_and_saveexec_b32 s5, s1
	s_cbranch_execz .LBB88_240
; %bb.231:
	v_dual_add_nc_u32 v116, -10, v0 :: v_dual_add_nc_u32 v117, -9, v0
	s_delay_alu instid0(VALU_DEP_1)
	v_cmp_lt_u32_e32 vcc_lo, 6, v116
	v_mov_b32_e32 v116, 9
	s_and_saveexec_b32 s1, vcc_lo
	s_cbranch_execz .LBB88_235
; %bb.232:
	v_and_b32_e32 v116, -8, v117
	s_mov_b32 s6, 0
	s_mov_b64 s[2:3], 16
	s_movk_i32 s7, 0x94
	s_delay_alu instid0(VALU_DEP_1)
	v_sub_nc_u32_e32 v118, 0, v116
.LBB88_233:                             ; =>This Inner Loop Header: Depth=1
	s_add_co_i32 m0, s2, -7
	v_movrels_b32_e32 v121, v34
	v_mov_b32_e32 v116, s7
	s_add_co_i32 m0, s2, -6
	s_add_co_i32 s7, s7, 32
	v_movrels_b32_e32 v130, v34
	ds_load_2addr_b32 v[122:123], v116 offset1:1
	ds_load_2addr_b32 v[124:125], v116 offset0:2 offset1:3
	s_add_co_i32 m0, s2, -5
	s_wait_dscnt 0x1
	v_fmac_f32_e32 v120, v121, v122
	ds_load_2addr_b32 v[126:127], v116 offset0:4 offset1:5
	ds_load_2addr_b32 v[128:129], v116 offset0:6 offset1:7
	v_movrels_b32_e32 v116, v34
	s_add_co_i32 m0, s2, -4
	v_fmac_f32_e32 v120, v130, v123
	v_movrels_b32_e32 v121, v34
	s_add_co_i32 m0, s2, -3
	s_wait_dscnt 0x2
	s_delay_alu instid0(VALU_DEP_2) | instskip(SKIP_2) | instid1(VALU_DEP_2)
	v_fmac_f32_e32 v120, v116, v124
	v_movrels_b32_e32 v116, v34
	s_add_co_i32 m0, s2, -2
	v_fmac_f32_e32 v120, v121, v125
	v_movrels_b32_e32 v121, v34
	s_add_co_i32 m0, s2, -1
	s_wait_dscnt 0x1
	s_delay_alu instid0(VALU_DEP_2)
	v_fmac_f32_e32 v120, v116, v126
	v_movrels_b32_e32 v116, v34
	s_mov_b32 m0, s2
	s_add_nc_u64 s[2:3], s[2:3], 8
	v_movrels_b32_e32 v122, v34
	v_dual_fmac_f32 v120, v121, v127 :: v_dual_add_nc_u32 v121, s2, v118
	s_add_co_i32 s8, s2, -7
	s_wait_dscnt 0x0
	s_delay_alu instid0(VALU_DEP_1) | instskip(NEXT) | instid1(VALU_DEP_2)
	v_fmac_f32_e32 v120, v116, v128
	v_cmp_eq_u32_e32 vcc_lo, 16, v121
	s_delay_alu instid0(VALU_DEP_2) | instskip(SKIP_1) | instid1(SALU_CYCLE_1)
	v_dual_mov_b32 v116, s8 :: v_dual_fmac_f32 v120, v122, v129
	s_or_b32 s6, vcc_lo, s6
	s_and_not1_b32 exec_lo, exec_lo, s6
	s_cbranch_execnz .LBB88_233
; %bb.234:
	s_or_b32 exec_lo, exec_lo, s6
.LBB88_235:
	s_delay_alu instid0(SALU_CYCLE_1) | instskip(SKIP_3) | instid1(VALU_DEP_1)
	s_or_b32 exec_lo, exec_lo, s1
	v_and_b32_e32 v59, 7, v117
	s_mov_b32 s2, 0
	s_mov_b32 s1, exec_lo
	v_cmpx_ne_u32_e32 0, v59
	s_cbranch_execz .LBB88_239
; %bb.236:
	v_lshl_add_u32 v60, v116, 2, 0x70
	v_mov_b32_e32 v117, 0
.LBB88_237:                             ; =>This Inner Loop Header: Depth=1
	v_cmp_eq_u32_e32 vcc_lo, 1, v116
	ds_load_b32 v62, v60
	v_dual_add_nc_u32 v60, 4, v60 :: v_dual_add_nc_u32 v59, -1, v59
	v_cndmask_b32_e32 v61, v34, v35, vcc_lo
	v_cmp_eq_u32_e32 vcc_lo, 2, v116
	s_delay_alu instid0(VALU_DEP_2) | instskip(SKIP_1) | instid1(VALU_DEP_2)
	v_cndmask_b32_e32 v61, v61, v36, vcc_lo
	v_cmp_eq_u32_e32 vcc_lo, 3, v116
	v_cndmask_b32_e32 v61, v61, v37, vcc_lo
	v_cmp_eq_u32_e32 vcc_lo, 4, v116
	s_delay_alu instid0(VALU_DEP_2) | instskip(SKIP_1) | instid1(VALU_DEP_2)
	v_cndmask_b32_e32 v61, v61, v38, vcc_lo
	v_cmp_eq_u32_e32 vcc_lo, 5, v116
	v_cndmask_b32_e32 v61, v61, v39, vcc_lo
	v_cmp_eq_u32_e32 vcc_lo, 6, v116
	s_delay_alu instid0(VALU_DEP_2) | instskip(SKIP_1) | instid1(VALU_DEP_2)
	v_cndmask_b32_e32 v61, v61, v40, vcc_lo
	v_cmp_eq_u32_e32 vcc_lo, 7, v116
	v_cndmask_b32_e32 v61, v61, v41, vcc_lo
	v_cmp_eq_u32_e32 vcc_lo, 8, v116
	s_delay_alu instid0(VALU_DEP_2) | instskip(SKIP_1) | instid1(VALU_DEP_2)
	v_cndmask_b32_e32 v61, v61, v42, vcc_lo
	v_cmp_eq_u32_e32 vcc_lo, 9, v116
	v_cndmask_b32_e32 v61, v61, v43, vcc_lo
	v_cmp_eq_u32_e32 vcc_lo, 10, v116
	s_delay_alu instid0(VALU_DEP_2) | instskip(SKIP_1) | instid1(VALU_DEP_2)
	v_cndmask_b32_e32 v61, v61, v44, vcc_lo
	v_cmp_eq_u32_e32 vcc_lo, 11, v116
	v_cndmask_b32_e32 v61, v61, v45, vcc_lo
	v_cmp_eq_u32_e32 vcc_lo, 12, v116
	s_delay_alu instid0(VALU_DEP_2) | instskip(SKIP_1) | instid1(VALU_DEP_2)
	v_cndmask_b32_e32 v61, v61, v46, vcc_lo
	v_cmp_eq_u32_e32 vcc_lo, 13, v116
	v_cndmask_b32_e32 v61, v61, v47, vcc_lo
	v_cmp_eq_u32_e32 vcc_lo, 14, v116
	s_delay_alu instid0(VALU_DEP_2) | instskip(SKIP_1) | instid1(VALU_DEP_2)
	v_cndmask_b32_e32 v61, v61, v48, vcc_lo
	v_cmp_eq_u32_e32 vcc_lo, 15, v116
	v_cndmask_b32_e32 v61, v61, v49, vcc_lo
	v_cmp_eq_u32_e32 vcc_lo, 16, v116
	s_delay_alu instid0(VALU_DEP_2) | instskip(SKIP_1) | instid1(VALU_DEP_2)
	v_cndmask_b32_e32 v61, v61, v50, vcc_lo
	v_cmp_eq_u32_e32 vcc_lo, 17, v116
	v_cndmask_b32_e32 v61, v61, v51, vcc_lo
	v_cmp_eq_u32_e32 vcc_lo, 18, v116
	s_delay_alu instid0(VALU_DEP_2) | instskip(SKIP_1) | instid1(VALU_DEP_2)
	v_cndmask_b32_e32 v61, v61, v52, vcc_lo
	v_cmp_eq_u32_e32 vcc_lo, 19, v116
	v_cndmask_b32_e32 v61, v61, v53, vcc_lo
	v_cmp_eq_u32_e32 vcc_lo, 20, v116
	s_delay_alu instid0(VALU_DEP_2) | instskip(SKIP_1) | instid1(VALU_DEP_2)
	v_cndmask_b32_e32 v61, v61, v54, vcc_lo
	v_cmp_eq_u32_e32 vcc_lo, 21, v116
	v_cndmask_b32_e32 v61, v61, v55, vcc_lo
	v_cmp_eq_u32_e32 vcc_lo, 22, v116
	s_delay_alu instid0(VALU_DEP_2) | instskip(SKIP_1) | instid1(VALU_DEP_2)
	v_cndmask_b32_e32 v61, v61, v56, vcc_lo
	v_cmp_eq_u32_e32 vcc_lo, 23, v116
	v_cndmask_b32_e32 v61, v61, v57, vcc_lo
	v_cmp_eq_u32_e32 vcc_lo, 24, v116
	v_add_nc_u64_e32 v[116:117], 1, v[116:117]
	s_delay_alu instid0(VALU_DEP_3) | instskip(SKIP_2) | instid1(VALU_DEP_2)
	v_cndmask_b32_e32 v61, v61, v58, vcc_lo
	v_cmp_eq_u32_e32 vcc_lo, 0, v59
	s_wait_dscnt 0x0
	v_fmac_f32_e32 v120, v61, v62
	s_or_b32 s2, vcc_lo, s2
	s_delay_alu instid0(SALU_CYCLE_1)
	s_and_not1_b32 exec_lo, exec_lo, s2
	s_cbranch_execnz .LBB88_237
; %bb.238:
	s_or_b32 exec_lo, exec_lo, s2
.LBB88_239:
	s_delay_alu instid0(SALU_CYCLE_1)
	s_or_b32 exec_lo, exec_lo, s1
.LBB88_240:
	s_delay_alu instid0(SALU_CYCLE_1)
	s_or_b32 exec_lo, exec_lo, s5
	v_mov_b32_e32 v42, 0
	ds_load_b32 v42, v42 offset:32
	s_wait_dscnt 0x0
	v_mul_f32_e32 v42, v120, v42
.LBB88_241:
	s_or_b32 exec_lo, exec_lo, s4
	v_cmp_lt_u32_e64 s1, 7, v0
	ds_store_b32 v119, v41
	s_wait_dscnt 0x0
	s_barrier_signal -1
	s_barrier_wait -1
	s_and_saveexec_b32 s4, s1
	s_cbranch_execz .LBB88_257
; %bb.242:
	s_and_not1_b32 vcc_lo, exec_lo, s25
	s_cbranch_vccnz .LBB88_244
; %bb.243:
	v_cmp_eq_u32_e32 vcc_lo, 1, v0
	ds_load_b32 v117, v119
	v_cndmask_b32_e32 v116, v34, v35, vcc_lo
	v_cmp_eq_u32_e32 vcc_lo, 2, v0
	s_delay_alu instid0(VALU_DEP_2) | instskip(SKIP_1) | instid1(VALU_DEP_2)
	v_cndmask_b32_e32 v116, v116, v36, vcc_lo
	v_cmp_eq_u32_e32 vcc_lo, 3, v0
	v_cndmask_b32_e32 v116, v116, v37, vcc_lo
	v_cmp_eq_u32_e32 vcc_lo, 4, v0
	s_delay_alu instid0(VALU_DEP_2) | instskip(SKIP_1) | instid1(VALU_DEP_2)
	v_cndmask_b32_e32 v116, v116, v38, vcc_lo
	v_cmp_eq_u32_e32 vcc_lo, 5, v0
	;; [unrolled: 5-line block ×11, first 2 shown]
	v_cndmask_b32_e32 v116, v116, v57, vcc_lo
	v_cmp_eq_u32_e32 vcc_lo, 24, v0
	s_delay_alu instid0(VALU_DEP_2) | instskip(SKIP_1) | instid1(VALU_DEP_1)
	v_cndmask_b32_e32 v116, v116, v58, vcc_lo
	s_wait_dscnt 0x0
	v_mul_f32_e32 v120, v116, v117
	s_cbranch_execz .LBB88_245
	s_branch .LBB88_246
.LBB88_244:
                                        ; implicit-def: $vgpr120
.LBB88_245:
	ds_load_b32 v120, v119
.LBB88_246:
	s_and_saveexec_b32 s5, s0
	s_cbranch_execz .LBB88_256
; %bb.247:
	v_add_nc_u32_e32 v116, -9, v0
	s_delay_alu instid0(VALU_DEP_1)
	v_cmp_lt_u32_e32 vcc_lo, 6, v116
	v_mov_b32_e32 v116, 8
	s_and_saveexec_b32 s0, vcc_lo
	s_cbranch_execz .LBB88_251
; %bb.248:
	v_and_b32_e32 v116, 24, v0
	s_mov_b32 s6, 0
	s_mov_b64 s[2:3], 15
	s_movk_i32 s7, 0x90
	s_delay_alu instid0(VALU_DEP_1)
	v_sub_nc_u32_e32 v118, 0, v116
.LBB88_249:                             ; =>This Inner Loop Header: Depth=1
	s_add_co_i32 m0, s2, -7
	v_movrels_b32_e32 v117, v34
	v_mov_b32_e32 v116, s7
	s_add_co_i32 m0, s2, -6
	s_add_co_i32 s7, s7, 32
	v_movrels_b32_e32 v121, v34
	s_add_co_i32 m0, s2, -5
	ds_load_b128 v[122:125], v116
	ds_load_b128 v[126:129], v116 offset:16
	v_movrels_b32_e32 v116, v34
	s_add_co_i32 m0, s2, -4
	s_wait_dscnt 0x1
	v_fmac_f32_e32 v120, v117, v122
	v_movrels_b32_e32 v117, v34
	s_add_co_i32 m0, s2, -3
	s_delay_alu instid0(VALU_DEP_2) | instskip(NEXT) | instid1(VALU_DEP_1)
	v_fmac_f32_e32 v120, v121, v123
	v_fmac_f32_e32 v120, v116, v124
	v_movrels_b32_e32 v116, v34
	s_add_co_i32 m0, s2, -2
	s_delay_alu instid0(VALU_DEP_2) | instskip(SKIP_3) | instid1(VALU_DEP_2)
	v_fmac_f32_e32 v120, v117, v125
	v_movrels_b32_e32 v117, v34
	s_add_co_i32 m0, s2, -1
	s_wait_dscnt 0x0
	v_fmac_f32_e32 v120, v116, v126
	v_movrels_b32_e32 v116, v34
	s_mov_b32 m0, s2
	s_add_nc_u64 s[2:3], s[2:3], 8
	v_movrels_b32_e32 v121, v34
	v_dual_fmac_f32 v120, v117, v127 :: v_dual_add_nc_u32 v117, s2, v118
	s_add_co_i32 s8, s2, -7
	s_delay_alu instid0(VALU_DEP_1) | instskip(NEXT) | instid1(VALU_DEP_2)
	v_fmac_f32_e32 v120, v116, v128
	v_cmp_eq_u32_e32 vcc_lo, 7, v117
	s_delay_alu instid0(VALU_DEP_2) | instskip(SKIP_1) | instid1(SALU_CYCLE_1)
	v_dual_mov_b32 v116, s8 :: v_dual_fmac_f32 v120, v121, v129
	s_or_b32 s6, vcc_lo, s6
	s_and_not1_b32 exec_lo, exec_lo, s6
	s_cbranch_execnz .LBB88_249
; %bb.250:
	s_or_b32 exec_lo, exec_lo, s6
.LBB88_251:
	s_delay_alu instid0(SALU_CYCLE_1) | instskip(SKIP_3) | instid1(VALU_DEP_1)
	s_or_b32 exec_lo, exec_lo, s0
	v_and_b32_e32 v59, 7, v0
	s_mov_b32 s2, 0
	s_mov_b32 s0, exec_lo
	v_cmpx_ne_u32_e32 0, v59
	s_cbranch_execz .LBB88_255
; %bb.252:
	v_lshl_add_u32 v60, v116, 2, 0x70
	v_mov_b32_e32 v117, 0
.LBB88_253:                             ; =>This Inner Loop Header: Depth=1
	v_cmp_eq_u32_e32 vcc_lo, 1, v116
	ds_load_b32 v62, v60
	v_dual_add_nc_u32 v60, 4, v60 :: v_dual_add_nc_u32 v59, -1, v59
	v_cndmask_b32_e32 v61, v34, v35, vcc_lo
	v_cmp_eq_u32_e32 vcc_lo, 2, v116
	s_delay_alu instid0(VALU_DEP_2) | instskip(SKIP_1) | instid1(VALU_DEP_2)
	v_cndmask_b32_e32 v61, v61, v36, vcc_lo
	v_cmp_eq_u32_e32 vcc_lo, 3, v116
	v_cndmask_b32_e32 v61, v61, v37, vcc_lo
	v_cmp_eq_u32_e32 vcc_lo, 4, v116
	s_delay_alu instid0(VALU_DEP_2) | instskip(SKIP_1) | instid1(VALU_DEP_2)
	v_cndmask_b32_e32 v61, v61, v38, vcc_lo
	v_cmp_eq_u32_e32 vcc_lo, 5, v116
	;; [unrolled: 5-line block ×11, first 2 shown]
	v_cndmask_b32_e32 v61, v61, v57, vcc_lo
	v_cmp_eq_u32_e32 vcc_lo, 24, v116
	v_add_nc_u64_e32 v[116:117], 1, v[116:117]
	s_delay_alu instid0(VALU_DEP_3) | instskip(SKIP_2) | instid1(VALU_DEP_2)
	v_cndmask_b32_e32 v61, v61, v58, vcc_lo
	v_cmp_eq_u32_e32 vcc_lo, 0, v59
	s_wait_dscnt 0x0
	v_fmac_f32_e32 v120, v61, v62
	s_or_b32 s2, vcc_lo, s2
	s_delay_alu instid0(SALU_CYCLE_1)
	s_and_not1_b32 exec_lo, exec_lo, s2
	s_cbranch_execnz .LBB88_253
; %bb.254:
	s_or_b32 exec_lo, exec_lo, s2
.LBB88_255:
	s_delay_alu instid0(SALU_CYCLE_1)
	s_or_b32 exec_lo, exec_lo, s0
.LBB88_256:
	s_delay_alu instid0(SALU_CYCLE_1)
	s_or_b32 exec_lo, exec_lo, s5
	v_mov_b32_e32 v41, 0
	ds_load_b32 v41, v41 offset:28
	s_wait_dscnt 0x0
	v_mul_f32_e32 v41, v120, v41
.LBB88_257:
	s_or_b32 exec_lo, exec_lo, s4
	v_cmp_lt_u32_e64 s0, 6, v0
	ds_store_b32 v119, v40
	s_wait_dscnt 0x0
	s_barrier_signal -1
	s_barrier_wait -1
	s_and_saveexec_b32 s4, s0
	s_cbranch_execz .LBB88_273
; %bb.258:
	s_and_not1_b32 vcc_lo, exec_lo, s25
	s_cbranch_vccnz .LBB88_260
; %bb.259:
	v_cmp_eq_u32_e32 vcc_lo, 1, v0
	ds_load_b32 v117, v119
	v_cndmask_b32_e32 v116, v34, v35, vcc_lo
	v_cmp_eq_u32_e32 vcc_lo, 2, v0
	s_delay_alu instid0(VALU_DEP_2) | instskip(SKIP_1) | instid1(VALU_DEP_2)
	v_cndmask_b32_e32 v116, v116, v36, vcc_lo
	v_cmp_eq_u32_e32 vcc_lo, 3, v0
	v_cndmask_b32_e32 v116, v116, v37, vcc_lo
	v_cmp_eq_u32_e32 vcc_lo, 4, v0
	s_delay_alu instid0(VALU_DEP_2) | instskip(SKIP_1) | instid1(VALU_DEP_2)
	v_cndmask_b32_e32 v116, v116, v38, vcc_lo
	v_cmp_eq_u32_e32 vcc_lo, 5, v0
	;; [unrolled: 5-line block ×11, first 2 shown]
	v_cndmask_b32_e32 v116, v116, v57, vcc_lo
	v_cmp_eq_u32_e32 vcc_lo, 24, v0
	s_delay_alu instid0(VALU_DEP_2) | instskip(SKIP_1) | instid1(VALU_DEP_1)
	v_cndmask_b32_e32 v116, v116, v58, vcc_lo
	s_wait_dscnt 0x0
	v_mul_f32_e32 v120, v116, v117
	s_cbranch_execz .LBB88_261
	s_branch .LBB88_262
.LBB88_260:
                                        ; implicit-def: $vgpr120
.LBB88_261:
	ds_load_b32 v120, v119
.LBB88_262:
	s_and_saveexec_b32 s5, s1
	s_cbranch_execz .LBB88_272
; %bb.263:
	v_dual_add_nc_u32 v116, -8, v0 :: v_dual_add_nc_u32 v117, -7, v0
	s_delay_alu instid0(VALU_DEP_1)
	v_cmp_lt_u32_e32 vcc_lo, 6, v116
	v_mov_b32_e32 v116, 7
	s_and_saveexec_b32 s1, vcc_lo
	s_cbranch_execz .LBB88_267
; %bb.264:
	v_and_b32_e32 v116, -8, v117
	s_mov_b32 s6, 0
	s_mov_b64 s[2:3], 14
	s_movk_i32 s7, 0x8c
	s_delay_alu instid0(VALU_DEP_1)
	v_sub_nc_u32_e32 v118, 0, v116
.LBB88_265:                             ; =>This Inner Loop Header: Depth=1
	s_add_co_i32 m0, s2, -7
	v_movrels_b32_e32 v121, v34
	v_mov_b32_e32 v116, s7
	s_add_co_i32 m0, s2, -6
	s_add_co_i32 s7, s7, 32
	v_movrels_b32_e32 v130, v34
	ds_load_2addr_b32 v[122:123], v116 offset1:1
	ds_load_2addr_b32 v[124:125], v116 offset0:2 offset1:3
	s_add_co_i32 m0, s2, -5
	s_wait_dscnt 0x1
	v_fmac_f32_e32 v120, v121, v122
	ds_load_2addr_b32 v[126:127], v116 offset0:4 offset1:5
	ds_load_2addr_b32 v[128:129], v116 offset0:6 offset1:7
	v_movrels_b32_e32 v116, v34
	s_add_co_i32 m0, s2, -4
	v_fmac_f32_e32 v120, v130, v123
	v_movrels_b32_e32 v121, v34
	s_add_co_i32 m0, s2, -3
	s_wait_dscnt 0x2
	s_delay_alu instid0(VALU_DEP_2) | instskip(SKIP_2) | instid1(VALU_DEP_2)
	v_fmac_f32_e32 v120, v116, v124
	v_movrels_b32_e32 v116, v34
	s_add_co_i32 m0, s2, -2
	v_fmac_f32_e32 v120, v121, v125
	v_movrels_b32_e32 v121, v34
	s_add_co_i32 m0, s2, -1
	s_wait_dscnt 0x1
	s_delay_alu instid0(VALU_DEP_2)
	v_fmac_f32_e32 v120, v116, v126
	v_movrels_b32_e32 v116, v34
	s_mov_b32 m0, s2
	s_add_nc_u64 s[2:3], s[2:3], 8
	v_movrels_b32_e32 v122, v34
	v_dual_fmac_f32 v120, v121, v127 :: v_dual_add_nc_u32 v121, s2, v118
	s_add_co_i32 s8, s2, -7
	s_wait_dscnt 0x0
	s_delay_alu instid0(VALU_DEP_1) | instskip(NEXT) | instid1(VALU_DEP_2)
	v_fmac_f32_e32 v120, v116, v128
	v_cmp_eq_u32_e32 vcc_lo, 14, v121
	s_delay_alu instid0(VALU_DEP_2) | instskip(SKIP_1) | instid1(SALU_CYCLE_1)
	v_dual_mov_b32 v116, s8 :: v_dual_fmac_f32 v120, v122, v129
	s_or_b32 s6, vcc_lo, s6
	s_and_not1_b32 exec_lo, exec_lo, s6
	s_cbranch_execnz .LBB88_265
; %bb.266:
	s_or_b32 exec_lo, exec_lo, s6
.LBB88_267:
	s_delay_alu instid0(SALU_CYCLE_1) | instskip(SKIP_3) | instid1(VALU_DEP_1)
	s_or_b32 exec_lo, exec_lo, s1
	v_and_b32_e32 v59, 7, v117
	s_mov_b32 s2, 0
	s_mov_b32 s1, exec_lo
	v_cmpx_ne_u32_e32 0, v59
	s_cbranch_execz .LBB88_271
; %bb.268:
	v_lshl_add_u32 v60, v116, 2, 0x70
	v_mov_b32_e32 v117, 0
.LBB88_269:                             ; =>This Inner Loop Header: Depth=1
	v_cmp_eq_u32_e32 vcc_lo, 1, v116
	ds_load_b32 v62, v60
	v_dual_add_nc_u32 v60, 4, v60 :: v_dual_add_nc_u32 v59, -1, v59
	v_cndmask_b32_e32 v61, v34, v35, vcc_lo
	v_cmp_eq_u32_e32 vcc_lo, 2, v116
	s_delay_alu instid0(VALU_DEP_2) | instskip(SKIP_1) | instid1(VALU_DEP_2)
	v_cndmask_b32_e32 v61, v61, v36, vcc_lo
	v_cmp_eq_u32_e32 vcc_lo, 3, v116
	v_cndmask_b32_e32 v61, v61, v37, vcc_lo
	v_cmp_eq_u32_e32 vcc_lo, 4, v116
	s_delay_alu instid0(VALU_DEP_2) | instskip(SKIP_1) | instid1(VALU_DEP_2)
	v_cndmask_b32_e32 v61, v61, v38, vcc_lo
	v_cmp_eq_u32_e32 vcc_lo, 5, v116
	v_cndmask_b32_e32 v61, v61, v39, vcc_lo
	v_cmp_eq_u32_e32 vcc_lo, 6, v116
	s_delay_alu instid0(VALU_DEP_2) | instskip(SKIP_1) | instid1(VALU_DEP_2)
	v_cndmask_b32_e32 v61, v61, v40, vcc_lo
	v_cmp_eq_u32_e32 vcc_lo, 7, v116
	v_cndmask_b32_e32 v61, v61, v41, vcc_lo
	v_cmp_eq_u32_e32 vcc_lo, 8, v116
	s_delay_alu instid0(VALU_DEP_2) | instskip(SKIP_1) | instid1(VALU_DEP_2)
	v_cndmask_b32_e32 v61, v61, v42, vcc_lo
	v_cmp_eq_u32_e32 vcc_lo, 9, v116
	v_cndmask_b32_e32 v61, v61, v43, vcc_lo
	v_cmp_eq_u32_e32 vcc_lo, 10, v116
	s_delay_alu instid0(VALU_DEP_2) | instskip(SKIP_1) | instid1(VALU_DEP_2)
	v_cndmask_b32_e32 v61, v61, v44, vcc_lo
	v_cmp_eq_u32_e32 vcc_lo, 11, v116
	v_cndmask_b32_e32 v61, v61, v45, vcc_lo
	v_cmp_eq_u32_e32 vcc_lo, 12, v116
	s_delay_alu instid0(VALU_DEP_2) | instskip(SKIP_1) | instid1(VALU_DEP_2)
	v_cndmask_b32_e32 v61, v61, v46, vcc_lo
	v_cmp_eq_u32_e32 vcc_lo, 13, v116
	v_cndmask_b32_e32 v61, v61, v47, vcc_lo
	v_cmp_eq_u32_e32 vcc_lo, 14, v116
	s_delay_alu instid0(VALU_DEP_2) | instskip(SKIP_1) | instid1(VALU_DEP_2)
	v_cndmask_b32_e32 v61, v61, v48, vcc_lo
	v_cmp_eq_u32_e32 vcc_lo, 15, v116
	v_cndmask_b32_e32 v61, v61, v49, vcc_lo
	v_cmp_eq_u32_e32 vcc_lo, 16, v116
	s_delay_alu instid0(VALU_DEP_2) | instskip(SKIP_1) | instid1(VALU_DEP_2)
	v_cndmask_b32_e32 v61, v61, v50, vcc_lo
	v_cmp_eq_u32_e32 vcc_lo, 17, v116
	v_cndmask_b32_e32 v61, v61, v51, vcc_lo
	v_cmp_eq_u32_e32 vcc_lo, 18, v116
	s_delay_alu instid0(VALU_DEP_2) | instskip(SKIP_1) | instid1(VALU_DEP_2)
	v_cndmask_b32_e32 v61, v61, v52, vcc_lo
	v_cmp_eq_u32_e32 vcc_lo, 19, v116
	v_cndmask_b32_e32 v61, v61, v53, vcc_lo
	v_cmp_eq_u32_e32 vcc_lo, 20, v116
	s_delay_alu instid0(VALU_DEP_2) | instskip(SKIP_1) | instid1(VALU_DEP_2)
	v_cndmask_b32_e32 v61, v61, v54, vcc_lo
	v_cmp_eq_u32_e32 vcc_lo, 21, v116
	v_cndmask_b32_e32 v61, v61, v55, vcc_lo
	v_cmp_eq_u32_e32 vcc_lo, 22, v116
	s_delay_alu instid0(VALU_DEP_2) | instskip(SKIP_1) | instid1(VALU_DEP_2)
	v_cndmask_b32_e32 v61, v61, v56, vcc_lo
	v_cmp_eq_u32_e32 vcc_lo, 23, v116
	v_cndmask_b32_e32 v61, v61, v57, vcc_lo
	v_cmp_eq_u32_e32 vcc_lo, 24, v116
	v_add_nc_u64_e32 v[116:117], 1, v[116:117]
	s_delay_alu instid0(VALU_DEP_3) | instskip(SKIP_2) | instid1(VALU_DEP_2)
	v_cndmask_b32_e32 v61, v61, v58, vcc_lo
	v_cmp_eq_u32_e32 vcc_lo, 0, v59
	s_wait_dscnt 0x0
	v_fmac_f32_e32 v120, v61, v62
	s_or_b32 s2, vcc_lo, s2
	s_delay_alu instid0(SALU_CYCLE_1)
	s_and_not1_b32 exec_lo, exec_lo, s2
	s_cbranch_execnz .LBB88_269
; %bb.270:
	s_or_b32 exec_lo, exec_lo, s2
.LBB88_271:
	s_delay_alu instid0(SALU_CYCLE_1)
	s_or_b32 exec_lo, exec_lo, s1
.LBB88_272:
	s_delay_alu instid0(SALU_CYCLE_1)
	s_or_b32 exec_lo, exec_lo, s5
	v_mov_b32_e32 v40, 0
	ds_load_b32 v40, v40 offset:24
	s_wait_dscnt 0x0
	v_mul_f32_e32 v40, v120, v40
.LBB88_273:
	s_or_b32 exec_lo, exec_lo, s4
	v_cmp_lt_u32_e64 s1, 5, v0
	ds_store_b32 v119, v39
	s_wait_dscnt 0x0
	s_barrier_signal -1
	s_barrier_wait -1
	s_and_saveexec_b32 s4, s1
	s_cbranch_execz .LBB88_289
; %bb.274:
	s_and_not1_b32 vcc_lo, exec_lo, s25
	s_cbranch_vccnz .LBB88_276
; %bb.275:
	v_cmp_eq_u32_e32 vcc_lo, 1, v0
	ds_load_b32 v117, v119
	v_cndmask_b32_e32 v116, v34, v35, vcc_lo
	v_cmp_eq_u32_e32 vcc_lo, 2, v0
	s_delay_alu instid0(VALU_DEP_2) | instskip(SKIP_1) | instid1(VALU_DEP_2)
	v_cndmask_b32_e32 v116, v116, v36, vcc_lo
	v_cmp_eq_u32_e32 vcc_lo, 3, v0
	v_cndmask_b32_e32 v116, v116, v37, vcc_lo
	v_cmp_eq_u32_e32 vcc_lo, 4, v0
	s_delay_alu instid0(VALU_DEP_2) | instskip(SKIP_1) | instid1(VALU_DEP_2)
	v_cndmask_b32_e32 v116, v116, v38, vcc_lo
	v_cmp_eq_u32_e32 vcc_lo, 5, v0
	;; [unrolled: 5-line block ×11, first 2 shown]
	v_cndmask_b32_e32 v116, v116, v57, vcc_lo
	v_cmp_eq_u32_e32 vcc_lo, 24, v0
	s_delay_alu instid0(VALU_DEP_2) | instskip(SKIP_1) | instid1(VALU_DEP_1)
	v_cndmask_b32_e32 v116, v116, v58, vcc_lo
	s_wait_dscnt 0x0
	v_mul_f32_e32 v120, v116, v117
	s_cbranch_execz .LBB88_277
	s_branch .LBB88_278
.LBB88_276:
                                        ; implicit-def: $vgpr120
.LBB88_277:
	ds_load_b32 v120, v119
.LBB88_278:
	s_and_saveexec_b32 s5, s0
	s_cbranch_execz .LBB88_288
; %bb.279:
	v_dual_add_nc_u32 v118, -7, v0 :: v_dual_add_nc_u32 v117, -6, v0
	v_mov_b32_e32 v116, 6
	s_mov_b32 s0, exec_lo
	s_delay_alu instid0(VALU_DEP_2)
	v_cmpx_lt_u32_e32 6, v118
	s_cbranch_execz .LBB88_283
; %bb.280:
	v_and_b32_e32 v116, -8, v117
	s_mov_b32 s6, 0
	s_mov_b64 s[2:3], 13
	s_movk_i32 s7, 0x88
	s_delay_alu instid0(VALU_DEP_1)
	v_sub_nc_u32_e32 v118, 0, v116
.LBB88_281:                             ; =>This Inner Loop Header: Depth=1
	s_add_co_i32 m0, s2, -7
	v_movrels_b32_e32 v121, v34
	v_mov_b32_e32 v116, s7
	s_add_co_i32 m0, s2, -6
	s_add_co_i32 s7, s7, 32
	v_movrels_b32_e32 v130, v34
	s_add_co_i32 m0, s2, -5
	ds_load_2addr_b64 v[122:125], v116 offset1:1
	ds_load_2addr_b64 v[126:129], v116 offset0:2 offset1:3
	v_movrels_b32_e32 v116, v34
	s_add_co_i32 m0, s2, -4
	s_wait_dscnt 0x1
	v_fmac_f32_e32 v120, v121, v122
	v_movrels_b32_e32 v121, v34
	s_add_co_i32 m0, s2, -3
	s_delay_alu instid0(VALU_DEP_2) | instskip(NEXT) | instid1(VALU_DEP_1)
	v_fmac_f32_e32 v120, v130, v123
	v_fmac_f32_e32 v120, v116, v124
	v_movrels_b32_e32 v116, v34
	s_add_co_i32 m0, s2, -2
	s_delay_alu instid0(VALU_DEP_2) | instskip(SKIP_3) | instid1(VALU_DEP_2)
	v_fmac_f32_e32 v120, v121, v125
	v_movrels_b32_e32 v121, v34
	s_add_co_i32 m0, s2, -1
	s_wait_dscnt 0x0
	v_fmac_f32_e32 v120, v116, v126
	v_movrels_b32_e32 v116, v34
	s_mov_b32 m0, s2
	s_add_nc_u64 s[2:3], s[2:3], 8
	v_movrels_b32_e32 v122, v34
	v_dual_fmac_f32 v120, v121, v127 :: v_dual_add_nc_u32 v121, s2, v118
	s_add_co_i32 s8, s2, -7
	s_delay_alu instid0(VALU_DEP_1) | instskip(NEXT) | instid1(VALU_DEP_2)
	v_fmac_f32_e32 v120, v116, v128
	v_cmp_eq_u32_e32 vcc_lo, 13, v121
	s_delay_alu instid0(VALU_DEP_2) | instskip(SKIP_1) | instid1(SALU_CYCLE_1)
	v_dual_mov_b32 v116, s8 :: v_dual_fmac_f32 v120, v122, v129
	s_or_b32 s6, vcc_lo, s6
	s_and_not1_b32 exec_lo, exec_lo, s6
	s_cbranch_execnz .LBB88_281
; %bb.282:
	s_or_b32 exec_lo, exec_lo, s6
.LBB88_283:
	s_delay_alu instid0(SALU_CYCLE_1) | instskip(SKIP_3) | instid1(VALU_DEP_1)
	s_or_b32 exec_lo, exec_lo, s0
	v_and_b32_e32 v59, 7, v117
	s_mov_b32 s2, 0
	s_mov_b32 s0, exec_lo
	v_cmpx_ne_u32_e32 0, v59
	s_cbranch_execz .LBB88_287
; %bb.284:
	v_lshl_add_u32 v60, v116, 2, 0x70
	v_mov_b32_e32 v117, 0
.LBB88_285:                             ; =>This Inner Loop Header: Depth=1
	v_cmp_eq_u32_e32 vcc_lo, 1, v116
	ds_load_b32 v62, v60
	v_dual_add_nc_u32 v60, 4, v60 :: v_dual_add_nc_u32 v59, -1, v59
	v_cndmask_b32_e32 v61, v34, v35, vcc_lo
	v_cmp_eq_u32_e32 vcc_lo, 2, v116
	s_delay_alu instid0(VALU_DEP_2) | instskip(SKIP_1) | instid1(VALU_DEP_2)
	v_cndmask_b32_e32 v61, v61, v36, vcc_lo
	v_cmp_eq_u32_e32 vcc_lo, 3, v116
	v_cndmask_b32_e32 v61, v61, v37, vcc_lo
	v_cmp_eq_u32_e32 vcc_lo, 4, v116
	s_delay_alu instid0(VALU_DEP_2) | instskip(SKIP_1) | instid1(VALU_DEP_2)
	v_cndmask_b32_e32 v61, v61, v38, vcc_lo
	v_cmp_eq_u32_e32 vcc_lo, 5, v116
	;; [unrolled: 5-line block ×11, first 2 shown]
	v_cndmask_b32_e32 v61, v61, v57, vcc_lo
	v_cmp_eq_u32_e32 vcc_lo, 24, v116
	v_add_nc_u64_e32 v[116:117], 1, v[116:117]
	s_delay_alu instid0(VALU_DEP_3) | instskip(SKIP_2) | instid1(VALU_DEP_2)
	v_cndmask_b32_e32 v61, v61, v58, vcc_lo
	v_cmp_eq_u32_e32 vcc_lo, 0, v59
	s_wait_dscnt 0x0
	v_fmac_f32_e32 v120, v61, v62
	s_or_b32 s2, vcc_lo, s2
	s_delay_alu instid0(SALU_CYCLE_1)
	s_and_not1_b32 exec_lo, exec_lo, s2
	s_cbranch_execnz .LBB88_285
; %bb.286:
	s_or_b32 exec_lo, exec_lo, s2
.LBB88_287:
	s_delay_alu instid0(SALU_CYCLE_1)
	s_or_b32 exec_lo, exec_lo, s0
.LBB88_288:
	s_delay_alu instid0(SALU_CYCLE_1)
	s_or_b32 exec_lo, exec_lo, s5
	v_mov_b32_e32 v39, 0
	ds_load_b32 v39, v39 offset:20
	s_wait_dscnt 0x0
	v_mul_f32_e32 v39, v120, v39
.LBB88_289:
	s_or_b32 exec_lo, exec_lo, s4
	v_cmp_lt_u32_e64 s0, 4, v0
	ds_store_b32 v119, v38
	s_wait_dscnt 0x0
	s_barrier_signal -1
	s_barrier_wait -1
	s_and_saveexec_b32 s4, s0
	s_cbranch_execz .LBB88_305
; %bb.290:
	s_and_not1_b32 vcc_lo, exec_lo, s25
	s_cbranch_vccnz .LBB88_292
; %bb.291:
	v_cmp_eq_u32_e32 vcc_lo, 1, v0
	ds_load_b32 v117, v119
	v_cndmask_b32_e32 v116, v34, v35, vcc_lo
	v_cmp_eq_u32_e32 vcc_lo, 2, v0
	s_delay_alu instid0(VALU_DEP_2) | instskip(SKIP_1) | instid1(VALU_DEP_2)
	v_cndmask_b32_e32 v116, v116, v36, vcc_lo
	v_cmp_eq_u32_e32 vcc_lo, 3, v0
	v_cndmask_b32_e32 v116, v116, v37, vcc_lo
	v_cmp_eq_u32_e32 vcc_lo, 4, v0
	s_delay_alu instid0(VALU_DEP_2) | instskip(SKIP_1) | instid1(VALU_DEP_2)
	v_cndmask_b32_e32 v116, v116, v38, vcc_lo
	v_cmp_eq_u32_e32 vcc_lo, 5, v0
	;; [unrolled: 5-line block ×11, first 2 shown]
	v_cndmask_b32_e32 v116, v116, v57, vcc_lo
	v_cmp_eq_u32_e32 vcc_lo, 24, v0
	s_delay_alu instid0(VALU_DEP_2) | instskip(SKIP_1) | instid1(VALU_DEP_1)
	v_cndmask_b32_e32 v116, v116, v58, vcc_lo
	s_wait_dscnt 0x0
	v_mul_f32_e32 v120, v116, v117
	s_cbranch_execz .LBB88_293
	s_branch .LBB88_294
.LBB88_292:
                                        ; implicit-def: $vgpr120
.LBB88_293:
	ds_load_b32 v120, v119
.LBB88_294:
	s_and_saveexec_b32 s5, s1
	s_cbranch_execz .LBB88_304
; %bb.295:
	v_dual_add_nc_u32 v116, -6, v0 :: v_dual_add_nc_u32 v117, -5, v0
	s_delay_alu instid0(VALU_DEP_1)
	v_cmp_lt_u32_e32 vcc_lo, 6, v116
	v_mov_b32_e32 v116, 5
	s_and_saveexec_b32 s1, vcc_lo
	s_cbranch_execz .LBB88_299
; %bb.296:
	v_and_b32_e32 v116, -8, v117
	s_mov_b32 s6, 0
	s_mov_b64 s[2:3], 12
	s_movk_i32 s7, 0x84
	s_delay_alu instid0(VALU_DEP_1)
	v_sub_nc_u32_e32 v118, 0, v116
.LBB88_297:                             ; =>This Inner Loop Header: Depth=1
	s_add_co_i32 m0, s2, -7
	v_movrels_b32_e32 v121, v34
	v_mov_b32_e32 v116, s7
	s_add_co_i32 m0, s2, -6
	s_add_co_i32 s7, s7, 32
	v_movrels_b32_e32 v130, v34
	ds_load_2addr_b32 v[122:123], v116 offset1:1
	ds_load_2addr_b32 v[124:125], v116 offset0:2 offset1:3
	s_add_co_i32 m0, s2, -5
	s_wait_dscnt 0x1
	v_fmac_f32_e32 v120, v121, v122
	ds_load_2addr_b32 v[126:127], v116 offset0:4 offset1:5
	ds_load_2addr_b32 v[128:129], v116 offset0:6 offset1:7
	v_movrels_b32_e32 v116, v34
	s_add_co_i32 m0, s2, -4
	v_fmac_f32_e32 v120, v130, v123
	v_movrels_b32_e32 v121, v34
	s_add_co_i32 m0, s2, -3
	s_wait_dscnt 0x2
	s_delay_alu instid0(VALU_DEP_2) | instskip(SKIP_2) | instid1(VALU_DEP_2)
	v_fmac_f32_e32 v120, v116, v124
	v_movrels_b32_e32 v116, v34
	s_add_co_i32 m0, s2, -2
	v_fmac_f32_e32 v120, v121, v125
	v_movrels_b32_e32 v121, v34
	s_add_co_i32 m0, s2, -1
	s_wait_dscnt 0x1
	s_delay_alu instid0(VALU_DEP_2)
	v_fmac_f32_e32 v120, v116, v126
	v_movrels_b32_e32 v116, v34
	s_mov_b32 m0, s2
	s_add_nc_u64 s[2:3], s[2:3], 8
	v_movrels_b32_e32 v122, v34
	v_dual_fmac_f32 v120, v121, v127 :: v_dual_add_nc_u32 v121, s2, v118
	s_add_co_i32 s8, s2, -7
	s_wait_dscnt 0x0
	s_delay_alu instid0(VALU_DEP_1) | instskip(NEXT) | instid1(VALU_DEP_2)
	v_fmac_f32_e32 v120, v116, v128
	v_cmp_eq_u32_e32 vcc_lo, 12, v121
	s_delay_alu instid0(VALU_DEP_2) | instskip(SKIP_1) | instid1(SALU_CYCLE_1)
	v_dual_mov_b32 v116, s8 :: v_dual_fmac_f32 v120, v122, v129
	s_or_b32 s6, vcc_lo, s6
	s_and_not1_b32 exec_lo, exec_lo, s6
	s_cbranch_execnz .LBB88_297
; %bb.298:
	s_or_b32 exec_lo, exec_lo, s6
.LBB88_299:
	s_delay_alu instid0(SALU_CYCLE_1) | instskip(SKIP_3) | instid1(VALU_DEP_1)
	s_or_b32 exec_lo, exec_lo, s1
	v_and_b32_e32 v59, 7, v117
	s_mov_b32 s2, 0
	s_mov_b32 s1, exec_lo
	v_cmpx_ne_u32_e32 0, v59
	s_cbranch_execz .LBB88_303
; %bb.300:
	v_lshl_add_u32 v60, v116, 2, 0x70
	v_mov_b32_e32 v117, 0
.LBB88_301:                             ; =>This Inner Loop Header: Depth=1
	v_cmp_eq_u32_e32 vcc_lo, 1, v116
	ds_load_b32 v62, v60
	v_dual_add_nc_u32 v60, 4, v60 :: v_dual_add_nc_u32 v59, -1, v59
	v_cndmask_b32_e32 v61, v34, v35, vcc_lo
	v_cmp_eq_u32_e32 vcc_lo, 2, v116
	s_delay_alu instid0(VALU_DEP_2) | instskip(SKIP_1) | instid1(VALU_DEP_2)
	v_cndmask_b32_e32 v61, v61, v36, vcc_lo
	v_cmp_eq_u32_e32 vcc_lo, 3, v116
	v_cndmask_b32_e32 v61, v61, v37, vcc_lo
	v_cmp_eq_u32_e32 vcc_lo, 4, v116
	s_delay_alu instid0(VALU_DEP_2) | instskip(SKIP_1) | instid1(VALU_DEP_2)
	v_cndmask_b32_e32 v61, v61, v38, vcc_lo
	v_cmp_eq_u32_e32 vcc_lo, 5, v116
	v_cndmask_b32_e32 v61, v61, v39, vcc_lo
	v_cmp_eq_u32_e32 vcc_lo, 6, v116
	s_delay_alu instid0(VALU_DEP_2) | instskip(SKIP_1) | instid1(VALU_DEP_2)
	v_cndmask_b32_e32 v61, v61, v40, vcc_lo
	v_cmp_eq_u32_e32 vcc_lo, 7, v116
	v_cndmask_b32_e32 v61, v61, v41, vcc_lo
	v_cmp_eq_u32_e32 vcc_lo, 8, v116
	s_delay_alu instid0(VALU_DEP_2) | instskip(SKIP_1) | instid1(VALU_DEP_2)
	v_cndmask_b32_e32 v61, v61, v42, vcc_lo
	v_cmp_eq_u32_e32 vcc_lo, 9, v116
	v_cndmask_b32_e32 v61, v61, v43, vcc_lo
	v_cmp_eq_u32_e32 vcc_lo, 10, v116
	s_delay_alu instid0(VALU_DEP_2) | instskip(SKIP_1) | instid1(VALU_DEP_2)
	v_cndmask_b32_e32 v61, v61, v44, vcc_lo
	v_cmp_eq_u32_e32 vcc_lo, 11, v116
	v_cndmask_b32_e32 v61, v61, v45, vcc_lo
	v_cmp_eq_u32_e32 vcc_lo, 12, v116
	s_delay_alu instid0(VALU_DEP_2) | instskip(SKIP_1) | instid1(VALU_DEP_2)
	v_cndmask_b32_e32 v61, v61, v46, vcc_lo
	v_cmp_eq_u32_e32 vcc_lo, 13, v116
	v_cndmask_b32_e32 v61, v61, v47, vcc_lo
	v_cmp_eq_u32_e32 vcc_lo, 14, v116
	s_delay_alu instid0(VALU_DEP_2) | instskip(SKIP_1) | instid1(VALU_DEP_2)
	v_cndmask_b32_e32 v61, v61, v48, vcc_lo
	v_cmp_eq_u32_e32 vcc_lo, 15, v116
	v_cndmask_b32_e32 v61, v61, v49, vcc_lo
	v_cmp_eq_u32_e32 vcc_lo, 16, v116
	s_delay_alu instid0(VALU_DEP_2) | instskip(SKIP_1) | instid1(VALU_DEP_2)
	v_cndmask_b32_e32 v61, v61, v50, vcc_lo
	v_cmp_eq_u32_e32 vcc_lo, 17, v116
	v_cndmask_b32_e32 v61, v61, v51, vcc_lo
	v_cmp_eq_u32_e32 vcc_lo, 18, v116
	s_delay_alu instid0(VALU_DEP_2) | instskip(SKIP_1) | instid1(VALU_DEP_2)
	v_cndmask_b32_e32 v61, v61, v52, vcc_lo
	v_cmp_eq_u32_e32 vcc_lo, 19, v116
	v_cndmask_b32_e32 v61, v61, v53, vcc_lo
	v_cmp_eq_u32_e32 vcc_lo, 20, v116
	s_delay_alu instid0(VALU_DEP_2) | instskip(SKIP_1) | instid1(VALU_DEP_2)
	v_cndmask_b32_e32 v61, v61, v54, vcc_lo
	v_cmp_eq_u32_e32 vcc_lo, 21, v116
	v_cndmask_b32_e32 v61, v61, v55, vcc_lo
	v_cmp_eq_u32_e32 vcc_lo, 22, v116
	s_delay_alu instid0(VALU_DEP_2) | instskip(SKIP_1) | instid1(VALU_DEP_2)
	v_cndmask_b32_e32 v61, v61, v56, vcc_lo
	v_cmp_eq_u32_e32 vcc_lo, 23, v116
	v_cndmask_b32_e32 v61, v61, v57, vcc_lo
	v_cmp_eq_u32_e32 vcc_lo, 24, v116
	v_add_nc_u64_e32 v[116:117], 1, v[116:117]
	s_delay_alu instid0(VALU_DEP_3) | instskip(SKIP_2) | instid1(VALU_DEP_2)
	v_cndmask_b32_e32 v61, v61, v58, vcc_lo
	v_cmp_eq_u32_e32 vcc_lo, 0, v59
	s_wait_dscnt 0x0
	v_fmac_f32_e32 v120, v61, v62
	s_or_b32 s2, vcc_lo, s2
	s_delay_alu instid0(SALU_CYCLE_1)
	s_and_not1_b32 exec_lo, exec_lo, s2
	s_cbranch_execnz .LBB88_301
; %bb.302:
	s_or_b32 exec_lo, exec_lo, s2
.LBB88_303:
	s_delay_alu instid0(SALU_CYCLE_1)
	s_or_b32 exec_lo, exec_lo, s1
.LBB88_304:
	s_delay_alu instid0(SALU_CYCLE_1)
	s_or_b32 exec_lo, exec_lo, s5
	v_mov_b32_e32 v38, 0
	ds_load_b32 v38, v38 offset:16
	s_wait_dscnt 0x0
	v_mul_f32_e32 v38, v120, v38
.LBB88_305:
	s_or_b32 exec_lo, exec_lo, s4
	v_cmp_lt_u32_e64 s1, 3, v0
	ds_store_b32 v119, v37
	s_wait_dscnt 0x0
	s_barrier_signal -1
	s_barrier_wait -1
	s_and_saveexec_b32 s4, s1
	s_cbranch_execz .LBB88_321
; %bb.306:
	s_and_not1_b32 vcc_lo, exec_lo, s25
	s_cbranch_vccnz .LBB88_308
; %bb.307:
	v_cmp_eq_u32_e32 vcc_lo, 1, v0
	ds_load_b32 v117, v119
	v_cndmask_b32_e32 v116, v34, v35, vcc_lo
	v_cmp_eq_u32_e32 vcc_lo, 2, v0
	s_delay_alu instid0(VALU_DEP_2) | instskip(SKIP_1) | instid1(VALU_DEP_2)
	v_cndmask_b32_e32 v116, v116, v36, vcc_lo
	v_cmp_eq_u32_e32 vcc_lo, 3, v0
	v_cndmask_b32_e32 v116, v116, v37, vcc_lo
	v_cmp_eq_u32_e32 vcc_lo, 4, v0
	s_delay_alu instid0(VALU_DEP_2) | instskip(SKIP_1) | instid1(VALU_DEP_2)
	v_cndmask_b32_e32 v116, v116, v38, vcc_lo
	v_cmp_eq_u32_e32 vcc_lo, 5, v0
	;; [unrolled: 5-line block ×11, first 2 shown]
	v_cndmask_b32_e32 v116, v116, v57, vcc_lo
	v_cmp_eq_u32_e32 vcc_lo, 24, v0
	s_delay_alu instid0(VALU_DEP_2) | instskip(SKIP_1) | instid1(VALU_DEP_1)
	v_cndmask_b32_e32 v116, v116, v58, vcc_lo
	s_wait_dscnt 0x0
	v_mul_f32_e32 v120, v116, v117
	s_cbranch_execz .LBB88_309
	s_branch .LBB88_310
.LBB88_308:
                                        ; implicit-def: $vgpr120
.LBB88_309:
	ds_load_b32 v120, v119
.LBB88_310:
	s_and_saveexec_b32 s5, s0
	s_cbranch_execz .LBB88_320
; %bb.311:
	v_dual_add_nc_u32 v116, -5, v0 :: v_dual_add_nc_u32 v117, -4, v0
	s_delay_alu instid0(VALU_DEP_1)
	v_cmp_lt_u32_e32 vcc_lo, 6, v116
	v_mov_b32_e32 v116, 4
	s_and_saveexec_b32 s0, vcc_lo
	s_cbranch_execz .LBB88_315
; %bb.312:
	v_and_b32_e32 v116, -8, v117
	s_mov_b32 s6, 0
	s_mov_b64 s[2:3], 5
	s_movk_i32 s7, 0x80
	s_delay_alu instid0(VALU_DEP_1)
	v_sub_nc_u32_e32 v118, 0, v116
.LBB88_313:                             ; =>This Inner Loop Header: Depth=1
	s_add_co_i32 m0, s2, -1
	v_movrels_b32_e32 v121, v34
	v_mov_b32_e32 v116, s7
	s_mov_b32 m0, s2
	s_add_co_i32 s7, s7, 32
	v_movrels_b32_e32 v130, v34
	s_add_co_i32 m0, s2, 1
	ds_load_b128 v[122:125], v116
	ds_load_b128 v[126:129], v116 offset:16
	v_movrels_b32_e32 v116, v34
	s_add_co_i32 m0, s2, 2
	s_wait_dscnt 0x1
	v_fmac_f32_e32 v120, v121, v122
	v_movrels_b32_e32 v121, v34
	s_add_co_i32 m0, s2, 3
	s_delay_alu instid0(VALU_DEP_2) | instskip(NEXT) | instid1(VALU_DEP_1)
	v_fmac_f32_e32 v120, v130, v123
	v_fmac_f32_e32 v120, v116, v124
	v_movrels_b32_e32 v116, v34
	s_add_co_i32 m0, s2, 4
	s_delay_alu instid0(VALU_DEP_2) | instskip(SKIP_3) | instid1(VALU_DEP_2)
	v_fmac_f32_e32 v120, v121, v125
	v_movrels_b32_e32 v121, v34
	s_add_co_i32 m0, s2, 5
	s_wait_dscnt 0x0
	v_fmac_f32_e32 v120, v116, v126
	v_movrels_b32_e32 v116, v34
	s_add_co_i32 m0, s2, 6
	s_add_nc_u64 s[2:3], s[2:3], 8
	v_movrels_b32_e32 v122, v34
	v_dual_fmac_f32 v120, v121, v127 :: v_dual_add_nc_u32 v121, s2, v118
	s_add_co_i32 s8, s2, -1
	s_delay_alu instid0(VALU_DEP_1) | instskip(NEXT) | instid1(VALU_DEP_2)
	v_fmac_f32_e32 v120, v116, v128
	v_cmp_eq_u32_e32 vcc_lo, 5, v121
	s_delay_alu instid0(VALU_DEP_2) | instskip(SKIP_1) | instid1(SALU_CYCLE_1)
	v_dual_mov_b32 v116, s8 :: v_dual_fmac_f32 v120, v122, v129
	s_or_b32 s6, vcc_lo, s6
	s_and_not1_b32 exec_lo, exec_lo, s6
	s_cbranch_execnz .LBB88_313
; %bb.314:
	s_or_b32 exec_lo, exec_lo, s6
.LBB88_315:
	s_delay_alu instid0(SALU_CYCLE_1) | instskip(SKIP_3) | instid1(VALU_DEP_1)
	s_or_b32 exec_lo, exec_lo, s0
	v_and_b32_e32 v59, 7, v117
	s_mov_b32 s2, 0
	s_mov_b32 s0, exec_lo
	v_cmpx_ne_u32_e32 0, v59
	s_cbranch_execz .LBB88_319
; %bb.316:
	v_lshl_add_u32 v60, v116, 2, 0x70
	v_mov_b32_e32 v117, 0
.LBB88_317:                             ; =>This Inner Loop Header: Depth=1
	v_cmp_eq_u32_e32 vcc_lo, 1, v116
	ds_load_b32 v62, v60
	v_dual_add_nc_u32 v60, 4, v60 :: v_dual_add_nc_u32 v59, -1, v59
	v_cndmask_b32_e32 v61, v34, v35, vcc_lo
	v_cmp_eq_u32_e32 vcc_lo, 2, v116
	s_delay_alu instid0(VALU_DEP_2) | instskip(SKIP_1) | instid1(VALU_DEP_2)
	v_cndmask_b32_e32 v61, v61, v36, vcc_lo
	v_cmp_eq_u32_e32 vcc_lo, 3, v116
	v_cndmask_b32_e32 v61, v61, v37, vcc_lo
	v_cmp_eq_u32_e32 vcc_lo, 4, v116
	s_delay_alu instid0(VALU_DEP_2) | instskip(SKIP_1) | instid1(VALU_DEP_2)
	v_cndmask_b32_e32 v61, v61, v38, vcc_lo
	v_cmp_eq_u32_e32 vcc_lo, 5, v116
	;; [unrolled: 5-line block ×11, first 2 shown]
	v_cndmask_b32_e32 v61, v61, v57, vcc_lo
	v_cmp_eq_u32_e32 vcc_lo, 24, v116
	v_add_nc_u64_e32 v[116:117], 1, v[116:117]
	s_delay_alu instid0(VALU_DEP_3) | instskip(SKIP_2) | instid1(VALU_DEP_2)
	v_cndmask_b32_e32 v61, v61, v58, vcc_lo
	v_cmp_eq_u32_e32 vcc_lo, 0, v59
	s_wait_dscnt 0x0
	v_fmac_f32_e32 v120, v61, v62
	s_or_b32 s2, vcc_lo, s2
	s_delay_alu instid0(SALU_CYCLE_1)
	s_and_not1_b32 exec_lo, exec_lo, s2
	s_cbranch_execnz .LBB88_317
; %bb.318:
	s_or_b32 exec_lo, exec_lo, s2
.LBB88_319:
	s_delay_alu instid0(SALU_CYCLE_1)
	s_or_b32 exec_lo, exec_lo, s0
.LBB88_320:
	s_delay_alu instid0(SALU_CYCLE_1)
	s_or_b32 exec_lo, exec_lo, s5
	v_mov_b32_e32 v37, 0
	ds_load_b32 v37, v37 offset:12
	s_wait_dscnt 0x0
	v_mul_f32_e32 v37, v120, v37
.LBB88_321:
	s_or_b32 exec_lo, exec_lo, s4
	v_cmp_lt_u32_e64 s0, 2, v0
	ds_store_b32 v119, v36
	s_wait_dscnt 0x0
	s_barrier_signal -1
	s_barrier_wait -1
	s_and_saveexec_b32 s4, s0
	s_cbranch_execz .LBB88_337
; %bb.322:
	s_and_not1_b32 vcc_lo, exec_lo, s25
	s_cbranch_vccnz .LBB88_324
; %bb.323:
	v_cmp_eq_u32_e32 vcc_lo, 1, v0
	ds_load_b32 v117, v119
	v_cndmask_b32_e32 v116, v34, v35, vcc_lo
	v_cmp_eq_u32_e32 vcc_lo, 2, v0
	s_delay_alu instid0(VALU_DEP_2) | instskip(SKIP_1) | instid1(VALU_DEP_2)
	v_cndmask_b32_e32 v116, v116, v36, vcc_lo
	v_cmp_eq_u32_e32 vcc_lo, 3, v0
	v_cndmask_b32_e32 v116, v116, v37, vcc_lo
	v_cmp_eq_u32_e32 vcc_lo, 4, v0
	s_delay_alu instid0(VALU_DEP_2) | instskip(SKIP_1) | instid1(VALU_DEP_2)
	v_cndmask_b32_e32 v116, v116, v38, vcc_lo
	v_cmp_eq_u32_e32 vcc_lo, 5, v0
	;; [unrolled: 5-line block ×11, first 2 shown]
	v_cndmask_b32_e32 v116, v116, v57, vcc_lo
	v_cmp_eq_u32_e32 vcc_lo, 24, v0
	s_delay_alu instid0(VALU_DEP_2) | instskip(SKIP_1) | instid1(VALU_DEP_1)
	v_cndmask_b32_e32 v116, v116, v58, vcc_lo
	s_wait_dscnt 0x0
	v_mul_f32_e32 v120, v116, v117
	s_cbranch_execz .LBB88_325
	s_branch .LBB88_326
.LBB88_324:
                                        ; implicit-def: $vgpr120
.LBB88_325:
	ds_load_b32 v120, v119
.LBB88_326:
	s_and_saveexec_b32 s5, s1
	s_cbranch_execz .LBB88_336
; %bb.327:
	v_dual_add_nc_u32 v116, -4, v0 :: v_dual_add_nc_u32 v117, -3, v0
	s_delay_alu instid0(VALU_DEP_1)
	v_cmp_lt_u32_e32 vcc_lo, 6, v116
	v_mov_b32_e32 v116, 3
	s_and_saveexec_b32 s1, vcc_lo
	s_cbranch_execz .LBB88_331
; %bb.328:
	v_and_b32_e32 v116, -8, v117
	s_mov_b32 s6, 0
	s_mov_b64 s[2:3], 10
	s_movk_i32 s7, 0x7c
	s_delay_alu instid0(VALU_DEP_1)
	v_sub_nc_u32_e32 v118, 0, v116
.LBB88_329:                             ; =>This Inner Loop Header: Depth=1
	s_add_co_i32 m0, s2, -7
	v_movrels_b32_e32 v121, v34
	v_mov_b32_e32 v116, s7
	s_add_co_i32 m0, s2, -6
	s_add_co_i32 s7, s7, 32
	v_movrels_b32_e32 v130, v34
	ds_load_2addr_b32 v[122:123], v116 offset1:1
	ds_load_2addr_b32 v[124:125], v116 offset0:2 offset1:3
	s_add_co_i32 m0, s2, -5
	s_wait_dscnt 0x1
	v_fmac_f32_e32 v120, v121, v122
	ds_load_2addr_b32 v[126:127], v116 offset0:4 offset1:5
	ds_load_2addr_b32 v[128:129], v116 offset0:6 offset1:7
	v_movrels_b32_e32 v116, v34
	s_add_co_i32 m0, s2, -4
	v_fmac_f32_e32 v120, v130, v123
	v_movrels_b32_e32 v121, v34
	s_add_co_i32 m0, s2, -3
	s_wait_dscnt 0x2
	s_delay_alu instid0(VALU_DEP_2) | instskip(SKIP_2) | instid1(VALU_DEP_2)
	v_fmac_f32_e32 v120, v116, v124
	v_movrels_b32_e32 v116, v34
	s_add_co_i32 m0, s2, -2
	v_fmac_f32_e32 v120, v121, v125
	v_movrels_b32_e32 v121, v34
	s_add_co_i32 m0, s2, -1
	s_wait_dscnt 0x1
	s_delay_alu instid0(VALU_DEP_2)
	v_fmac_f32_e32 v120, v116, v126
	v_movrels_b32_e32 v116, v34
	s_mov_b32 m0, s2
	s_add_nc_u64 s[2:3], s[2:3], 8
	v_movrels_b32_e32 v122, v34
	v_dual_fmac_f32 v120, v121, v127 :: v_dual_add_nc_u32 v121, s2, v118
	s_add_co_i32 s8, s2, -7
	s_wait_dscnt 0x0
	s_delay_alu instid0(VALU_DEP_1) | instskip(NEXT) | instid1(VALU_DEP_2)
	v_fmac_f32_e32 v120, v116, v128
	v_cmp_eq_u32_e32 vcc_lo, 10, v121
	s_delay_alu instid0(VALU_DEP_2) | instskip(SKIP_1) | instid1(SALU_CYCLE_1)
	v_dual_mov_b32 v116, s8 :: v_dual_fmac_f32 v120, v122, v129
	s_or_b32 s6, vcc_lo, s6
	s_and_not1_b32 exec_lo, exec_lo, s6
	s_cbranch_execnz .LBB88_329
; %bb.330:
	s_or_b32 exec_lo, exec_lo, s6
.LBB88_331:
	s_delay_alu instid0(SALU_CYCLE_1) | instskip(SKIP_3) | instid1(VALU_DEP_1)
	s_or_b32 exec_lo, exec_lo, s1
	v_and_b32_e32 v59, 7, v117
	s_mov_b32 s2, 0
	s_mov_b32 s1, exec_lo
	v_cmpx_ne_u32_e32 0, v59
	s_cbranch_execz .LBB88_335
; %bb.332:
	v_lshl_add_u32 v60, v116, 2, 0x70
	v_mov_b32_e32 v117, 0
.LBB88_333:                             ; =>This Inner Loop Header: Depth=1
	v_cmp_eq_u32_e32 vcc_lo, 1, v116
	ds_load_b32 v62, v60
	v_dual_add_nc_u32 v60, 4, v60 :: v_dual_add_nc_u32 v59, -1, v59
	v_cndmask_b32_e32 v61, v34, v35, vcc_lo
	v_cmp_eq_u32_e32 vcc_lo, 2, v116
	s_delay_alu instid0(VALU_DEP_2) | instskip(SKIP_1) | instid1(VALU_DEP_2)
	v_cndmask_b32_e32 v61, v61, v36, vcc_lo
	v_cmp_eq_u32_e32 vcc_lo, 3, v116
	v_cndmask_b32_e32 v61, v61, v37, vcc_lo
	v_cmp_eq_u32_e32 vcc_lo, 4, v116
	s_delay_alu instid0(VALU_DEP_2) | instskip(SKIP_1) | instid1(VALU_DEP_2)
	v_cndmask_b32_e32 v61, v61, v38, vcc_lo
	v_cmp_eq_u32_e32 vcc_lo, 5, v116
	;; [unrolled: 5-line block ×11, first 2 shown]
	v_cndmask_b32_e32 v61, v61, v57, vcc_lo
	v_cmp_eq_u32_e32 vcc_lo, 24, v116
	v_add_nc_u64_e32 v[116:117], 1, v[116:117]
	s_delay_alu instid0(VALU_DEP_3) | instskip(SKIP_2) | instid1(VALU_DEP_2)
	v_cndmask_b32_e32 v61, v61, v58, vcc_lo
	v_cmp_eq_u32_e32 vcc_lo, 0, v59
	s_wait_dscnt 0x0
	v_fmac_f32_e32 v120, v61, v62
	s_or_b32 s2, vcc_lo, s2
	s_delay_alu instid0(SALU_CYCLE_1)
	s_and_not1_b32 exec_lo, exec_lo, s2
	s_cbranch_execnz .LBB88_333
; %bb.334:
	s_or_b32 exec_lo, exec_lo, s2
.LBB88_335:
	s_delay_alu instid0(SALU_CYCLE_1)
	s_or_b32 exec_lo, exec_lo, s1
.LBB88_336:
	s_delay_alu instid0(SALU_CYCLE_1)
	s_or_b32 exec_lo, exec_lo, s5
	v_mov_b32_e32 v36, 0
	ds_load_b32 v36, v36 offset:8
	s_wait_dscnt 0x0
	v_mul_f32_e32 v36, v120, v36
.LBB88_337:
	s_or_b32 exec_lo, exec_lo, s4
	v_cmp_lt_u32_e64 s1, 1, v0
	ds_store_b32 v119, v35
	s_wait_dscnt 0x0
	s_barrier_signal -1
	s_barrier_wait -1
	s_and_saveexec_b32 s4, s1
	s_cbranch_execz .LBB88_353
; %bb.338:
	s_and_not1_b32 vcc_lo, exec_lo, s25
	s_cbranch_vccnz .LBB88_340
; %bb.339:
	v_cmp_eq_u32_e32 vcc_lo, 1, v0
	ds_load_b32 v117, v119
	v_cndmask_b32_e32 v116, v34, v35, vcc_lo
	v_cmp_eq_u32_e32 vcc_lo, 2, v0
	s_delay_alu instid0(VALU_DEP_2) | instskip(SKIP_1) | instid1(VALU_DEP_2)
	v_cndmask_b32_e32 v116, v116, v36, vcc_lo
	v_cmp_eq_u32_e32 vcc_lo, 3, v0
	v_cndmask_b32_e32 v116, v116, v37, vcc_lo
	v_cmp_eq_u32_e32 vcc_lo, 4, v0
	s_delay_alu instid0(VALU_DEP_2) | instskip(SKIP_1) | instid1(VALU_DEP_2)
	v_cndmask_b32_e32 v116, v116, v38, vcc_lo
	v_cmp_eq_u32_e32 vcc_lo, 5, v0
	;; [unrolled: 5-line block ×11, first 2 shown]
	v_cndmask_b32_e32 v116, v116, v57, vcc_lo
	v_cmp_eq_u32_e32 vcc_lo, 24, v0
	s_delay_alu instid0(VALU_DEP_2) | instskip(SKIP_1) | instid1(VALU_DEP_1)
	v_cndmask_b32_e32 v116, v116, v58, vcc_lo
	s_wait_dscnt 0x0
	v_mul_f32_e32 v120, v116, v117
	s_cbranch_execz .LBB88_341
	s_branch .LBB88_342
.LBB88_340:
                                        ; implicit-def: $vgpr120
.LBB88_341:
	ds_load_b32 v120, v119
.LBB88_342:
	s_and_saveexec_b32 s5, s0
	s_cbranch_execz .LBB88_352
; %bb.343:
	v_dual_add_nc_u32 v116, -3, v0 :: v_dual_add_nc_u32 v117, -2, v0
	s_delay_alu instid0(VALU_DEP_1)
	v_cmp_lt_u32_e32 vcc_lo, 6, v116
	v_mov_b32_e32 v116, 2
	s_and_saveexec_b32 s0, vcc_lo
	s_cbranch_execz .LBB88_347
; %bb.344:
	v_and_b32_e32 v116, -8, v117
	s_mov_b32 s6, 0
	s_mov_b64 s[2:3], 9
	s_movk_i32 s7, 0x78
	s_delay_alu instid0(VALU_DEP_1)
	v_sub_nc_u32_e32 v118, 0, v116
.LBB88_345:                             ; =>This Inner Loop Header: Depth=1
	s_add_co_i32 m0, s2, -7
	v_movrels_b32_e32 v121, v34
	v_mov_b32_e32 v116, s7
	s_add_co_i32 m0, s2, -6
	s_add_co_i32 s7, s7, 32
	v_movrels_b32_e32 v130, v34
	s_add_co_i32 m0, s2, -5
	ds_load_2addr_b64 v[122:125], v116 offset1:1
	ds_load_2addr_b64 v[126:129], v116 offset0:2 offset1:3
	v_movrels_b32_e32 v116, v34
	s_add_co_i32 m0, s2, -4
	s_wait_dscnt 0x1
	v_fmac_f32_e32 v120, v121, v122
	v_movrels_b32_e32 v121, v34
	s_add_co_i32 m0, s2, -3
	s_delay_alu instid0(VALU_DEP_2) | instskip(NEXT) | instid1(VALU_DEP_1)
	v_fmac_f32_e32 v120, v130, v123
	v_fmac_f32_e32 v120, v116, v124
	v_movrels_b32_e32 v116, v34
	s_add_co_i32 m0, s2, -2
	s_delay_alu instid0(VALU_DEP_2) | instskip(SKIP_3) | instid1(VALU_DEP_2)
	v_fmac_f32_e32 v120, v121, v125
	v_movrels_b32_e32 v121, v34
	s_add_co_i32 m0, s2, -1
	s_wait_dscnt 0x0
	v_fmac_f32_e32 v120, v116, v126
	v_movrels_b32_e32 v116, v34
	s_mov_b32 m0, s2
	s_add_nc_u64 s[2:3], s[2:3], 8
	v_movrels_b32_e32 v122, v34
	v_dual_fmac_f32 v120, v121, v127 :: v_dual_add_nc_u32 v121, s2, v118
	s_add_co_i32 s8, s2, -7
	s_delay_alu instid0(VALU_DEP_1) | instskip(NEXT) | instid1(VALU_DEP_2)
	v_fmac_f32_e32 v120, v116, v128
	v_cmp_eq_u32_e32 vcc_lo, 9, v121
	s_delay_alu instid0(VALU_DEP_2) | instskip(SKIP_1) | instid1(SALU_CYCLE_1)
	v_dual_mov_b32 v116, s8 :: v_dual_fmac_f32 v120, v122, v129
	s_or_b32 s6, vcc_lo, s6
	s_and_not1_b32 exec_lo, exec_lo, s6
	s_cbranch_execnz .LBB88_345
; %bb.346:
	s_or_b32 exec_lo, exec_lo, s6
.LBB88_347:
	s_delay_alu instid0(SALU_CYCLE_1) | instskip(SKIP_3) | instid1(VALU_DEP_1)
	s_or_b32 exec_lo, exec_lo, s0
	v_and_b32_e32 v59, 7, v117
	s_mov_b32 s2, 0
	s_mov_b32 s0, exec_lo
	v_cmpx_ne_u32_e32 0, v59
	s_cbranch_execz .LBB88_351
; %bb.348:
	v_lshl_add_u32 v60, v116, 2, 0x70
	v_mov_b32_e32 v117, 0
.LBB88_349:                             ; =>This Inner Loop Header: Depth=1
	v_cmp_eq_u32_e32 vcc_lo, 1, v116
	ds_load_b32 v62, v60
	v_dual_add_nc_u32 v60, 4, v60 :: v_dual_add_nc_u32 v59, -1, v59
	v_cndmask_b32_e32 v61, v34, v35, vcc_lo
	v_cmp_eq_u32_e32 vcc_lo, 2, v116
	s_delay_alu instid0(VALU_DEP_2) | instskip(SKIP_1) | instid1(VALU_DEP_2)
	v_cndmask_b32_e32 v61, v61, v36, vcc_lo
	v_cmp_eq_u32_e32 vcc_lo, 3, v116
	v_cndmask_b32_e32 v61, v61, v37, vcc_lo
	v_cmp_eq_u32_e32 vcc_lo, 4, v116
	s_delay_alu instid0(VALU_DEP_2) | instskip(SKIP_1) | instid1(VALU_DEP_2)
	v_cndmask_b32_e32 v61, v61, v38, vcc_lo
	v_cmp_eq_u32_e32 vcc_lo, 5, v116
	;; [unrolled: 5-line block ×11, first 2 shown]
	v_cndmask_b32_e32 v61, v61, v57, vcc_lo
	v_cmp_eq_u32_e32 vcc_lo, 24, v116
	v_add_nc_u64_e32 v[116:117], 1, v[116:117]
	s_delay_alu instid0(VALU_DEP_3) | instskip(SKIP_2) | instid1(VALU_DEP_2)
	v_cndmask_b32_e32 v61, v61, v58, vcc_lo
	v_cmp_eq_u32_e32 vcc_lo, 0, v59
	s_wait_dscnt 0x0
	v_fmac_f32_e32 v120, v61, v62
	s_or_b32 s2, vcc_lo, s2
	s_delay_alu instid0(SALU_CYCLE_1)
	s_and_not1_b32 exec_lo, exec_lo, s2
	s_cbranch_execnz .LBB88_349
; %bb.350:
	s_or_b32 exec_lo, exec_lo, s2
.LBB88_351:
	s_delay_alu instid0(SALU_CYCLE_1)
	s_or_b32 exec_lo, exec_lo, s0
.LBB88_352:
	s_delay_alu instid0(SALU_CYCLE_1)
	s_or_b32 exec_lo, exec_lo, s5
	v_mov_b32_e32 v35, 0
	ds_load_b32 v35, v35 offset:4
	s_wait_dscnt 0x0
	v_mul_f32_e32 v35, v120, v35
.LBB88_353:
	s_or_b32 exec_lo, exec_lo, s4
	s_mov_b32 s2, 0
	s_mov_b32 s3, exec_lo
	ds_store_b32 v119, v34
	s_wait_dscnt 0x0
	s_barrier_signal -1
	s_barrier_wait -1
	v_cmpx_ne_u32_e32 0, v0
	s_cbranch_execz .LBB88_369
; %bb.354:
	s_and_not1_b32 vcc_lo, exec_lo, s25
	s_cbranch_vccnz .LBB88_356
; %bb.355:
	v_cmp_eq_u32_e32 vcc_lo, 1, v0
	ds_load_b32 v117, v119
	v_cndmask_b32_e32 v116, v34, v35, vcc_lo
	v_cmp_eq_u32_e32 vcc_lo, 2, v0
	s_delay_alu instid0(VALU_DEP_2) | instskip(SKIP_1) | instid1(VALU_DEP_2)
	v_cndmask_b32_e32 v116, v116, v36, vcc_lo
	v_cmp_eq_u32_e32 vcc_lo, 3, v0
	v_cndmask_b32_e32 v116, v116, v37, vcc_lo
	v_cmp_eq_u32_e32 vcc_lo, 4, v0
	s_delay_alu instid0(VALU_DEP_2) | instskip(SKIP_1) | instid1(VALU_DEP_2)
	v_cndmask_b32_e32 v116, v116, v38, vcc_lo
	v_cmp_eq_u32_e32 vcc_lo, 5, v0
	;; [unrolled: 5-line block ×11, first 2 shown]
	v_cndmask_b32_e32 v116, v116, v57, vcc_lo
	v_cmp_eq_u32_e32 vcc_lo, 24, v0
	s_delay_alu instid0(VALU_DEP_2) | instskip(SKIP_1) | instid1(VALU_DEP_1)
	v_cndmask_b32_e32 v116, v116, v58, vcc_lo
	s_wait_dscnt 0x0
	v_mul_f32_e32 v120, v116, v117
	s_cbranch_execz .LBB88_357
	s_branch .LBB88_358
.LBB88_356:
                                        ; implicit-def: $vgpr120
.LBB88_357:
	ds_load_b32 v120, v119
.LBB88_358:
	s_and_saveexec_b32 s4, s1
	s_cbranch_execz .LBB88_368
; %bb.359:
	v_dual_add_nc_u32 v116, -2, v0 :: v_dual_add_nc_u32 v117, -1, v0
	s_delay_alu instid0(VALU_DEP_1)
	v_cmp_lt_u32_e32 vcc_lo, 6, v116
	v_mov_b32_e32 v116, 1
	s_and_saveexec_b32 s5, vcc_lo
	s_cbranch_execz .LBB88_363
; %bb.360:
	v_and_b32_e32 v116, -8, v117
	s_mov_b32 s6, 0
	s_mov_b64 s[0:1], 8
	s_movk_i32 s7, 0x74
	s_delay_alu instid0(VALU_DEP_1)
	v_sub_nc_u32_e32 v118, 0, v116
.LBB88_361:                             ; =>This Inner Loop Header: Depth=1
	s_add_co_i32 m0, s0, -7
	v_movrels_b32_e32 v121, v34
	v_mov_b32_e32 v116, s7
	s_add_co_i32 m0, s0, -6
	s_add_co_i32 s7, s7, 32
	v_movrels_b32_e32 v130, v34
	ds_load_2addr_b32 v[122:123], v116 offset1:1
	ds_load_2addr_b32 v[124:125], v116 offset0:2 offset1:3
	s_add_co_i32 m0, s0, -5
	s_wait_dscnt 0x1
	v_fmac_f32_e32 v120, v121, v122
	ds_load_2addr_b32 v[126:127], v116 offset0:4 offset1:5
	ds_load_2addr_b32 v[128:129], v116 offset0:6 offset1:7
	v_movrels_b32_e32 v116, v34
	s_add_co_i32 m0, s0, -4
	v_fmac_f32_e32 v120, v130, v123
	v_movrels_b32_e32 v121, v34
	s_add_co_i32 m0, s0, -3
	s_wait_dscnt 0x2
	s_delay_alu instid0(VALU_DEP_2) | instskip(SKIP_2) | instid1(VALU_DEP_2)
	v_fmac_f32_e32 v120, v116, v124
	v_movrels_b32_e32 v116, v34
	s_add_co_i32 m0, s0, -2
	v_fmac_f32_e32 v120, v121, v125
	v_movrels_b32_e32 v121, v34
	s_add_co_i32 m0, s0, -1
	s_wait_dscnt 0x1
	s_delay_alu instid0(VALU_DEP_2)
	v_fmac_f32_e32 v120, v116, v126
	v_movrels_b32_e32 v116, v34
	s_mov_b32 m0, s0
	s_add_nc_u64 s[0:1], s[0:1], 8
	v_movrels_b32_e32 v122, v34
	v_dual_fmac_f32 v120, v121, v127 :: v_dual_add_nc_u32 v121, s0, v118
	s_add_co_i32 s8, s0, -7
	s_wait_dscnt 0x0
	s_delay_alu instid0(VALU_DEP_1) | instskip(NEXT) | instid1(VALU_DEP_2)
	v_fmac_f32_e32 v120, v116, v128
	v_cmp_eq_u32_e32 vcc_lo, 8, v121
	s_delay_alu instid0(VALU_DEP_2) | instskip(SKIP_1) | instid1(SALU_CYCLE_1)
	v_dual_mov_b32 v116, s8 :: v_dual_fmac_f32 v120, v122, v129
	s_or_b32 s6, vcc_lo, s6
	s_and_not1_b32 exec_lo, exec_lo, s6
	s_cbranch_execnz .LBB88_361
; %bb.362:
	s_or_b32 exec_lo, exec_lo, s6
.LBB88_363:
	s_delay_alu instid0(SALU_CYCLE_1) | instskip(SKIP_3) | instid1(VALU_DEP_1)
	s_or_b32 exec_lo, exec_lo, s5
	v_and_b32_e32 v59, 7, v117
	s_mov_b32 s1, 0
	s_mov_b32 s0, exec_lo
	v_cmpx_ne_u32_e32 0, v59
	s_cbranch_execz .LBB88_367
; %bb.364:
	v_lshl_add_u32 v60, v116, 2, 0x70
	v_mov_b32_e32 v117, 0
.LBB88_365:                             ; =>This Inner Loop Header: Depth=1
	v_cmp_eq_u32_e32 vcc_lo, 1, v116
	ds_load_b32 v62, v60
	v_dual_add_nc_u32 v60, 4, v60 :: v_dual_add_nc_u32 v59, -1, v59
	v_cndmask_b32_e32 v61, v34, v35, vcc_lo
	v_cmp_eq_u32_e32 vcc_lo, 2, v116
	s_delay_alu instid0(VALU_DEP_2) | instskip(SKIP_1) | instid1(VALU_DEP_2)
	v_cndmask_b32_e32 v61, v61, v36, vcc_lo
	v_cmp_eq_u32_e32 vcc_lo, 3, v116
	v_cndmask_b32_e32 v61, v61, v37, vcc_lo
	v_cmp_eq_u32_e32 vcc_lo, 4, v116
	s_delay_alu instid0(VALU_DEP_2) | instskip(SKIP_1) | instid1(VALU_DEP_2)
	v_cndmask_b32_e32 v61, v61, v38, vcc_lo
	v_cmp_eq_u32_e32 vcc_lo, 5, v116
	;; [unrolled: 5-line block ×11, first 2 shown]
	v_cndmask_b32_e32 v61, v61, v57, vcc_lo
	v_cmp_eq_u32_e32 vcc_lo, 24, v116
	v_add_nc_u64_e32 v[116:117], 1, v[116:117]
	s_delay_alu instid0(VALU_DEP_3) | instskip(SKIP_2) | instid1(VALU_DEP_2)
	v_cndmask_b32_e32 v61, v61, v58, vcc_lo
	v_cmp_eq_u32_e32 vcc_lo, 0, v59
	s_wait_dscnt 0x0
	v_fmac_f32_e32 v120, v61, v62
	s_or_b32 s1, vcc_lo, s1
	s_delay_alu instid0(SALU_CYCLE_1)
	s_and_not1_b32 exec_lo, exec_lo, s1
	s_cbranch_execnz .LBB88_365
; %bb.366:
	s_or_b32 exec_lo, exec_lo, s1
.LBB88_367:
	s_delay_alu instid0(SALU_CYCLE_1)
	s_or_b32 exec_lo, exec_lo, s0
.LBB88_368:
	s_delay_alu instid0(SALU_CYCLE_1)
	s_or_b32 exec_lo, exec_lo, s4
	v_mov_b32_e32 v34, 0
	ds_load_b32 v34, v34
	s_wait_dscnt 0x0
	v_mul_f32_e32 v34, v120, v34
.LBB88_369:
	s_or_b32 exec_lo, exec_lo, s3
	s_delay_alu instid0(SALU_CYCLE_1)
	s_and_b32 vcc_lo, exec_lo, s2
	s_cbranch_vccz .LBB88_613
.LBB88_370:
	v_cmp_eq_u32_e64 s0, 0, v0
	s_wait_loadcnt_dscnt 0x1718
	ds_store_b32 v119, v3
	s_wait_loadcnt_dscnt 0x0
	s_barrier_signal -1
	s_barrier_wait -1
	s_and_saveexec_b32 s1, s0
	s_cbranch_execz .LBB88_376
; %bb.371:
	s_and_b32 vcc_lo, exec_lo, s25
	s_cbranch_vccz .LBB88_373
; %bb.372:
	v_cmp_eq_u32_e32 vcc_lo, 1, v0
	ds_load_b32 v27, v119
	v_cndmask_b32_e32 v3, v2, v3, vcc_lo
	v_cmp_eq_u32_e32 vcc_lo, 2, v0
	s_delay_alu instid0(VALU_DEP_2) | instskip(SKIP_1) | instid1(VALU_DEP_2)
	v_cndmask_b32_e32 v3, v3, v4, vcc_lo
	v_cmp_eq_u32_e32 vcc_lo, 3, v0
	v_cndmask_b32_e32 v3, v3, v5, vcc_lo
	v_cmp_eq_u32_e32 vcc_lo, 4, v0
	s_delay_alu instid0(VALU_DEP_2) | instskip(SKIP_1) | instid1(VALU_DEP_2)
	v_cndmask_b32_e32 v3, v3, v6, vcc_lo
	v_cmp_eq_u32_e32 vcc_lo, 5, v0
	;; [unrolled: 5-line block ×11, first 2 shown]
	v_cndmask_b32_e32 v3, v3, v25, vcc_lo
	v_cmp_eq_u32_e32 vcc_lo, 24, v0
	s_delay_alu instid0(VALU_DEP_2) | instskip(SKIP_1) | instid1(VALU_DEP_1)
	v_cndmask_b32_e32 v3, v3, v26, vcc_lo
	s_wait_dscnt 0x0
	v_mul_f32_e32 v3, v3, v27
	s_cbranch_execz .LBB88_374
	s_branch .LBB88_375
.LBB88_373:
                                        ; implicit-def: $vgpr3
.LBB88_374:
	ds_load_b32 v3, v119
.LBB88_375:
	v_mov_b32_e32 v27, 0
	ds_load_b32 v27, v27 offset:4
	s_wait_dscnt 0x0
	v_mul_f32_e32 v3, v3, v27
.LBB88_376:
	s_or_b32 exec_lo, exec_lo, s1
	v_cndmask_b32_e64 v34, 0, 1, s25
	s_mov_b32 s1, exec_lo
	ds_store_b32 v119, v4
	s_wait_dscnt 0x0
	s_barrier_signal -1
	s_barrier_wait -1
	v_cmpx_gt_u32_e32 2, v0
	s_cbranch_execz .LBB88_382
; %bb.377:
	s_and_not1_b32 vcc_lo, exec_lo, s25
	s_cbranch_vccnz .LBB88_379
; %bb.378:
	v_cmp_eq_u32_e32 vcc_lo, 1, v0
	v_cndmask_b32_e32 v27, v2, v3, vcc_lo
	v_cmp_eq_u32_e32 vcc_lo, 2, v0
	s_delay_alu instid0(VALU_DEP_2) | instskip(SKIP_4) | instid1(VALU_DEP_2)
	v_cndmask_b32_e32 v4, v27, v4, vcc_lo
	v_cmp_eq_u32_e32 vcc_lo, 3, v0
	ds_load_b32 v27, v119
	v_cndmask_b32_e32 v4, v4, v5, vcc_lo
	v_cmp_eq_u32_e32 vcc_lo, 4, v0
	v_cndmask_b32_e32 v4, v4, v6, vcc_lo
	v_cmp_eq_u32_e32 vcc_lo, 5, v0
	s_delay_alu instid0(VALU_DEP_2) | instskip(SKIP_1) | instid1(VALU_DEP_2)
	v_cndmask_b32_e32 v4, v4, v7, vcc_lo
	v_cmp_eq_u32_e32 vcc_lo, 6, v0
	v_cndmask_b32_e32 v4, v4, v8, vcc_lo
	v_cmp_eq_u32_e32 vcc_lo, 7, v0
	s_delay_alu instid0(VALU_DEP_2) | instskip(SKIP_1) | instid1(VALU_DEP_2)
	;; [unrolled: 5-line block ×10, first 2 shown]
	v_cndmask_b32_e32 v4, v4, v25, vcc_lo
	v_cmp_eq_u32_e32 vcc_lo, 24, v0
	v_cndmask_b32_e32 v4, v4, v26, vcc_lo
	s_wait_dscnt 0x0
	s_delay_alu instid0(VALU_DEP_1)
	v_mul_f32_e32 v4, v4, v27
	s_cbranch_execz .LBB88_380
	s_branch .LBB88_381
.LBB88_379:
                                        ; implicit-def: $vgpr4
.LBB88_380:
	ds_load_b32 v4, v119
.LBB88_381:
	v_mov_b32_e32 v27, 0
	ds_load_2addr_b32 v[28:29], v27 offset0:2 offset1:29
	s_wait_dscnt 0x0
	v_fma_f32 v27, v3, v29, v4
	s_delay_alu instid0(VALU_DEP_1) | instskip(NEXT) | instid1(VALU_DEP_1)
	v_cndmask_b32_e64 v4, v4, v27, s0
	v_mul_f32_e32 v4, v4, v28
.LBB88_382:
	s_or_b32 exec_lo, exec_lo, s1
	v_add_nc_u32_e32 v35, 1, v0
	v_cmp_gt_u32_e64 s1, 3, v0
	ds_store_b32 v119, v5
	s_wait_dscnt 0x0
	s_barrier_signal -1
	s_barrier_wait -1
	s_and_saveexec_b32 s2, s1
	s_cbranch_execz .LBB88_390
; %bb.383:
	v_cmp_ne_u32_e32 vcc_lo, 1, v34
	s_cbranch_vccnz .LBB88_385
; %bb.384:
	v_cmp_eq_u32_e32 vcc_lo, 1, v0
	ds_load_b32 v28, v119
	v_cndmask_b32_e32 v27, v2, v3, vcc_lo
	v_cmp_eq_u32_e32 vcc_lo, 2, v0
	s_delay_alu instid0(VALU_DEP_2) | instskip(SKIP_1) | instid1(VALU_DEP_2)
	v_cndmask_b32_e32 v27, v27, v4, vcc_lo
	v_cmp_eq_u32_e32 vcc_lo, 3, v0
	v_cndmask_b32_e32 v27, v27, v5, vcc_lo
	v_cmp_eq_u32_e32 vcc_lo, 4, v0
	s_delay_alu instid0(VALU_DEP_2) | instskip(SKIP_1) | instid1(VALU_DEP_2)
	v_cndmask_b32_e32 v27, v27, v6, vcc_lo
	v_cmp_eq_u32_e32 vcc_lo, 5, v0
	;; [unrolled: 5-line block ×11, first 2 shown]
	v_cndmask_b32_e32 v27, v27, v25, vcc_lo
	v_cmp_eq_u32_e32 vcc_lo, 24, v0
	s_delay_alu instid0(VALU_DEP_2) | instskip(SKIP_1) | instid1(VALU_DEP_1)
	v_cndmask_b32_e32 v27, v27, v26, vcc_lo
	s_wait_dscnt 0x0
	v_mul_f32_e32 v27, v27, v28
	s_cbranch_execz .LBB88_386
	s_branch .LBB88_387
.LBB88_385:
                                        ; implicit-def: $vgpr27
.LBB88_386:
	ds_load_b32 v27, v119
.LBB88_387:
	s_mov_b32 s3, exec_lo
	v_cmpx_ne_u32_e32 2, v0
	s_cbranch_execz .LBB88_389
; %bb.388:
	v_cmp_eq_u32_e32 vcc_lo, 1, v35
	v_dual_mov_b32 v29, 0 :: v_dual_cndmask_b32 v28, v2, v3
	v_cmp_eq_u32_e32 vcc_lo, 2, v35
	ds_load_b32 v29, v29 offset:120
	v_cndmask_b32_e32 v28, v28, v4, vcc_lo
	v_cmp_eq_u32_e32 vcc_lo, 3, v35
	s_delay_alu instid0(VALU_DEP_2) | instskip(SKIP_4) | instid1(VALU_DEP_2)
	v_cndmask_b32_e32 v5, v28, v5, vcc_lo
	v_cmp_eq_u32_e32 vcc_lo, 4, v35
	ds_load_b32 v28, v119 offset:4
	v_cndmask_b32_e32 v5, v5, v6, vcc_lo
	v_cmp_eq_u32_e32 vcc_lo, 5, v35
	v_cndmask_b32_e32 v5, v5, v7, vcc_lo
	v_cmp_eq_u32_e32 vcc_lo, 6, v35
	s_delay_alu instid0(VALU_DEP_2) | instskip(SKIP_1) | instid1(VALU_DEP_2)
	v_cndmask_b32_e32 v5, v5, v8, vcc_lo
	v_cmp_eq_u32_e32 vcc_lo, 7, v35
	v_cndmask_b32_e32 v5, v5, v9, vcc_lo
	v_cmp_eq_u32_e32 vcc_lo, 8, v35
	s_delay_alu instid0(VALU_DEP_2) | instskip(SKIP_1) | instid1(VALU_DEP_2)
	;; [unrolled: 5-line block ×9, first 2 shown]
	v_cndmask_b32_e32 v5, v5, v24, vcc_lo
	v_cmp_eq_u32_e32 vcc_lo, 23, v35
	v_cndmask_b32_e32 v5, v5, v25, vcc_lo
	v_cmp_eq_u32_e32 vcc_lo, 24, v35
	s_delay_alu instid0(VALU_DEP_2) | instskip(SKIP_1) | instid1(VALU_DEP_1)
	v_cndmask_b32_e32 v5, v5, v26, vcc_lo
	s_wait_dscnt 0x0
	v_fmac_f32_e32 v27, v5, v28
	s_delay_alu instid0(VALU_DEP_1) | instskip(NEXT) | instid1(VALU_DEP_1)
	v_fma_f32 v5, v4, v29, v27
	v_cndmask_b32_e64 v27, v27, v5, s0
.LBB88_389:
	s_or_b32 exec_lo, exec_lo, s3
	v_mov_b32_e32 v5, 0
	ds_load_b32 v5, v5 offset:12
	s_wait_dscnt 0x0
	v_mul_f32_e32 v5, v27, v5
.LBB88_390:
	s_or_b32 exec_lo, exec_lo, s2
	s_delay_alu instid0(SALU_CYCLE_1)
	s_mov_b32 s2, exec_lo
	ds_store_b32 v119, v6
	s_wait_dscnt 0x0
	s_barrier_signal -1
	s_barrier_wait -1
	v_cmpx_gt_u32_e32 4, v0
	s_cbranch_execz .LBB88_400
; %bb.391:
	v_cmp_ne_u32_e32 vcc_lo, 1, v34
	s_cbranch_vccnz .LBB88_393
; %bb.392:
	v_cmp_eq_u32_e32 vcc_lo, 1, v0
	ds_load_b32 v28, v119
	v_cndmask_b32_e32 v27, v2, v3, vcc_lo
	v_cmp_eq_u32_e32 vcc_lo, 2, v0
	s_delay_alu instid0(VALU_DEP_2) | instskip(SKIP_1) | instid1(VALU_DEP_2)
	v_cndmask_b32_e32 v27, v27, v4, vcc_lo
	v_cmp_eq_u32_e32 vcc_lo, 3, v0
	v_cndmask_b32_e32 v27, v27, v5, vcc_lo
	v_cmp_eq_u32_e32 vcc_lo, 4, v0
	s_delay_alu instid0(VALU_DEP_2) | instskip(SKIP_1) | instid1(VALU_DEP_2)
	v_cndmask_b32_e32 v27, v27, v6, vcc_lo
	v_cmp_eq_u32_e32 vcc_lo, 5, v0
	;; [unrolled: 5-line block ×11, first 2 shown]
	v_cndmask_b32_e32 v27, v27, v25, vcc_lo
	v_cmp_eq_u32_e32 vcc_lo, 24, v0
	s_delay_alu instid0(VALU_DEP_2) | instskip(SKIP_1) | instid1(VALU_DEP_1)
	v_cndmask_b32_e32 v27, v27, v26, vcc_lo
	s_wait_dscnt 0x0
	v_mul_f32_e32 v27, v27, v28
	s_cbranch_execz .LBB88_394
	s_branch .LBB88_395
.LBB88_393:
                                        ; implicit-def: $vgpr27
.LBB88_394:
	ds_load_b32 v27, v119
.LBB88_395:
	s_mov_b32 s3, exec_lo
	v_cmpx_ne_u32_e32 3, v0
	s_cbranch_execz .LBB88_399
; %bb.396:
	v_mov_b64_e32 v[28:29], v[0:1]
	v_lshl_add_u32 v30, v0, 2, 0x74
	s_mov_b32 s4, 0
.LBB88_397:                             ; =>This Inner Loop Header: Depth=1
	s_delay_alu instid0(VALU_DEP_2)
	v_add_nc_u64_e32 v[28:29], 1, v[28:29]
	ds_load_b32 v32, v30
	v_add_nc_u32_e32 v30, 4, v30
	v_cmp_eq_u32_e32 vcc_lo, 1, v28
	v_cndmask_b32_e32 v31, v2, v3, vcc_lo
	v_cmp_eq_u32_e32 vcc_lo, 2, v28
	s_delay_alu instid0(VALU_DEP_2) | instskip(SKIP_1) | instid1(VALU_DEP_2)
	v_cndmask_b32_e32 v31, v31, v4, vcc_lo
	v_cmp_eq_u32_e32 vcc_lo, 3, v28
	v_cndmask_b32_e32 v31, v31, v5, vcc_lo
	v_cmp_eq_u32_e32 vcc_lo, 4, v28
	s_delay_alu instid0(VALU_DEP_2) | instskip(SKIP_1) | instid1(VALU_DEP_2)
	v_cndmask_b32_e32 v31, v31, v6, vcc_lo
	;; [unrolled: 5-line block ×11, first 2 shown]
	v_cmp_eq_u32_e32 vcc_lo, 23, v28
	v_cndmask_b32_e32 v31, v31, v25, vcc_lo
	v_cmp_eq_u32_e32 vcc_lo, 24, v28
	s_delay_alu instid0(VALU_DEP_2) | instskip(SKIP_2) | instid1(VALU_DEP_2)
	v_cndmask_b32_e32 v31, v31, v26, vcc_lo
	v_cmp_lt_u32_e32 vcc_lo, 2, v28
	s_wait_dscnt 0x0
	v_fmac_f32_e32 v27, v31, v32
	s_or_b32 s4, vcc_lo, s4
	s_delay_alu instid0(SALU_CYCLE_1)
	s_and_not1_b32 exec_lo, exec_lo, s4
	s_cbranch_execnz .LBB88_397
; %bb.398:
	s_or_b32 exec_lo, exec_lo, s4
.LBB88_399:
	s_delay_alu instid0(SALU_CYCLE_1)
	s_or_b32 exec_lo, exec_lo, s3
	v_mov_b32_e32 v6, 0
	ds_load_b32 v6, v6 offset:16
	s_wait_dscnt 0x0
	v_mul_f32_e32 v6, v27, v6
.LBB88_400:
	s_or_b32 exec_lo, exec_lo, s2
	v_cmp_gt_u32_e64 s2, 5, v0
	ds_store_b32 v119, v7
	s_wait_dscnt 0x0
	s_barrier_signal -1
	s_barrier_wait -1
	s_and_saveexec_b32 s3, s2
	s_cbranch_execz .LBB88_410
; %bb.401:
	v_cmp_ne_u32_e32 vcc_lo, 1, v34
	s_cbranch_vccnz .LBB88_403
; %bb.402:
	v_cmp_eq_u32_e32 vcc_lo, 1, v0
	ds_load_b32 v28, v119
	v_cndmask_b32_e32 v27, v2, v3, vcc_lo
	v_cmp_eq_u32_e32 vcc_lo, 2, v0
	s_delay_alu instid0(VALU_DEP_2) | instskip(SKIP_1) | instid1(VALU_DEP_2)
	v_cndmask_b32_e32 v27, v27, v4, vcc_lo
	v_cmp_eq_u32_e32 vcc_lo, 3, v0
	v_cndmask_b32_e32 v27, v27, v5, vcc_lo
	v_cmp_eq_u32_e32 vcc_lo, 4, v0
	s_delay_alu instid0(VALU_DEP_2) | instskip(SKIP_1) | instid1(VALU_DEP_2)
	v_cndmask_b32_e32 v27, v27, v6, vcc_lo
	v_cmp_eq_u32_e32 vcc_lo, 5, v0
	;; [unrolled: 5-line block ×11, first 2 shown]
	v_cndmask_b32_e32 v27, v27, v25, vcc_lo
	v_cmp_eq_u32_e32 vcc_lo, 24, v0
	s_delay_alu instid0(VALU_DEP_2) | instskip(SKIP_1) | instid1(VALU_DEP_1)
	v_cndmask_b32_e32 v27, v27, v26, vcc_lo
	s_wait_dscnt 0x0
	v_mul_f32_e32 v27, v27, v28
	s_cbranch_execz .LBB88_404
	s_branch .LBB88_405
.LBB88_403:
                                        ; implicit-def: $vgpr27
.LBB88_404:
	ds_load_b32 v27, v119
.LBB88_405:
	s_mov_b32 s4, exec_lo
	v_cmpx_ne_u32_e32 4, v0
	s_cbranch_execz .LBB88_409
; %bb.406:
	v_mov_b64_e32 v[28:29], v[0:1]
	v_lshl_add_u32 v30, v0, 2, 0x74
	s_mov_b32 s5, 0
.LBB88_407:                             ; =>This Inner Loop Header: Depth=1
	s_delay_alu instid0(VALU_DEP_2)
	v_add_nc_u64_e32 v[28:29], 1, v[28:29]
	ds_load_b32 v32, v30
	v_add_nc_u32_e32 v30, 4, v30
	v_cmp_eq_u32_e32 vcc_lo, 1, v28
	v_cndmask_b32_e32 v31, v2, v3, vcc_lo
	v_cmp_eq_u32_e32 vcc_lo, 2, v28
	s_delay_alu instid0(VALU_DEP_2) | instskip(SKIP_1) | instid1(VALU_DEP_2)
	v_cndmask_b32_e32 v31, v31, v4, vcc_lo
	v_cmp_eq_u32_e32 vcc_lo, 3, v28
	v_cndmask_b32_e32 v31, v31, v5, vcc_lo
	v_cmp_eq_u32_e32 vcc_lo, 4, v28
	s_delay_alu instid0(VALU_DEP_2) | instskip(SKIP_1) | instid1(VALU_DEP_2)
	v_cndmask_b32_e32 v31, v31, v6, vcc_lo
	v_cmp_eq_u32_e32 vcc_lo, 5, v28
	v_cndmask_b32_e32 v31, v31, v7, vcc_lo
	v_cmp_eq_u32_e32 vcc_lo, 6, v28
	s_delay_alu instid0(VALU_DEP_2) | instskip(SKIP_1) | instid1(VALU_DEP_2)
	v_cndmask_b32_e32 v31, v31, v8, vcc_lo
	v_cmp_eq_u32_e32 vcc_lo, 7, v28
	v_cndmask_b32_e32 v31, v31, v9, vcc_lo
	v_cmp_eq_u32_e32 vcc_lo, 8, v28
	s_delay_alu instid0(VALU_DEP_2) | instskip(SKIP_1) | instid1(VALU_DEP_2)
	v_cndmask_b32_e32 v31, v31, v10, vcc_lo
	v_cmp_eq_u32_e32 vcc_lo, 9, v28
	v_cndmask_b32_e32 v31, v31, v11, vcc_lo
	v_cmp_eq_u32_e32 vcc_lo, 10, v28
	s_delay_alu instid0(VALU_DEP_2) | instskip(SKIP_1) | instid1(VALU_DEP_2)
	v_cndmask_b32_e32 v31, v31, v12, vcc_lo
	v_cmp_eq_u32_e32 vcc_lo, 11, v28
	v_cndmask_b32_e32 v31, v31, v13, vcc_lo
	v_cmp_eq_u32_e32 vcc_lo, 12, v28
	s_delay_alu instid0(VALU_DEP_2) | instskip(SKIP_1) | instid1(VALU_DEP_2)
	v_cndmask_b32_e32 v31, v31, v14, vcc_lo
	v_cmp_eq_u32_e32 vcc_lo, 13, v28
	v_cndmask_b32_e32 v31, v31, v15, vcc_lo
	v_cmp_eq_u32_e32 vcc_lo, 14, v28
	s_delay_alu instid0(VALU_DEP_2) | instskip(SKIP_1) | instid1(VALU_DEP_2)
	v_cndmask_b32_e32 v31, v31, v16, vcc_lo
	v_cmp_eq_u32_e32 vcc_lo, 15, v28
	v_cndmask_b32_e32 v31, v31, v17, vcc_lo
	v_cmp_eq_u32_e32 vcc_lo, 16, v28
	s_delay_alu instid0(VALU_DEP_2) | instskip(SKIP_1) | instid1(VALU_DEP_2)
	v_cndmask_b32_e32 v31, v31, v18, vcc_lo
	v_cmp_eq_u32_e32 vcc_lo, 17, v28
	v_cndmask_b32_e32 v31, v31, v19, vcc_lo
	v_cmp_eq_u32_e32 vcc_lo, 18, v28
	s_delay_alu instid0(VALU_DEP_2) | instskip(SKIP_1) | instid1(VALU_DEP_2)
	v_cndmask_b32_e32 v31, v31, v20, vcc_lo
	v_cmp_eq_u32_e32 vcc_lo, 19, v28
	v_cndmask_b32_e32 v31, v31, v21, vcc_lo
	v_cmp_eq_u32_e32 vcc_lo, 20, v28
	s_delay_alu instid0(VALU_DEP_2) | instskip(SKIP_1) | instid1(VALU_DEP_2)
	v_cndmask_b32_e32 v31, v31, v22, vcc_lo
	v_cmp_eq_u32_e32 vcc_lo, 21, v28
	v_cndmask_b32_e32 v31, v31, v23, vcc_lo
	v_cmp_eq_u32_e32 vcc_lo, 22, v28
	s_delay_alu instid0(VALU_DEP_2) | instskip(SKIP_1) | instid1(VALU_DEP_2)
	v_cndmask_b32_e32 v31, v31, v24, vcc_lo
	v_cmp_eq_u32_e32 vcc_lo, 23, v28
	v_cndmask_b32_e32 v31, v31, v25, vcc_lo
	v_cmp_eq_u32_e32 vcc_lo, 24, v28
	s_delay_alu instid0(VALU_DEP_2) | instskip(SKIP_2) | instid1(VALU_DEP_2)
	v_cndmask_b32_e32 v31, v31, v26, vcc_lo
	v_cmp_lt_u32_e32 vcc_lo, 3, v28
	s_wait_dscnt 0x0
	v_fmac_f32_e32 v27, v31, v32
	s_or_b32 s5, vcc_lo, s5
	s_delay_alu instid0(SALU_CYCLE_1)
	s_and_not1_b32 exec_lo, exec_lo, s5
	s_cbranch_execnz .LBB88_407
; %bb.408:
	s_or_b32 exec_lo, exec_lo, s5
.LBB88_409:
	s_delay_alu instid0(SALU_CYCLE_1)
	s_or_b32 exec_lo, exec_lo, s4
	v_mov_b32_e32 v7, 0
	ds_load_b32 v7, v7 offset:20
	s_wait_dscnt 0x0
	v_mul_f32_e32 v7, v27, v7
.LBB88_410:
	s_or_b32 exec_lo, exec_lo, s3
	s_delay_alu instid0(SALU_CYCLE_1)
	s_mov_b32 s3, exec_lo
	ds_store_b32 v119, v8
	s_wait_dscnt 0x0
	s_barrier_signal -1
	s_barrier_wait -1
	v_cmpx_gt_u32_e32 6, v0
	s_cbranch_execz .LBB88_420
; %bb.411:
	v_cmp_ne_u32_e32 vcc_lo, 1, v34
	s_cbranch_vccnz .LBB88_413
; %bb.412:
	v_cmp_eq_u32_e32 vcc_lo, 1, v0
	ds_load_b32 v28, v119
	v_cndmask_b32_e32 v27, v2, v3, vcc_lo
	v_cmp_eq_u32_e32 vcc_lo, 2, v0
	s_delay_alu instid0(VALU_DEP_2) | instskip(SKIP_1) | instid1(VALU_DEP_2)
	v_cndmask_b32_e32 v27, v27, v4, vcc_lo
	v_cmp_eq_u32_e32 vcc_lo, 3, v0
	v_cndmask_b32_e32 v27, v27, v5, vcc_lo
	v_cmp_eq_u32_e32 vcc_lo, 4, v0
	s_delay_alu instid0(VALU_DEP_2) | instskip(SKIP_1) | instid1(VALU_DEP_2)
	v_cndmask_b32_e32 v27, v27, v6, vcc_lo
	v_cmp_eq_u32_e32 vcc_lo, 5, v0
	;; [unrolled: 5-line block ×11, first 2 shown]
	v_cndmask_b32_e32 v27, v27, v25, vcc_lo
	v_cmp_eq_u32_e32 vcc_lo, 24, v0
	s_delay_alu instid0(VALU_DEP_2) | instskip(SKIP_1) | instid1(VALU_DEP_1)
	v_cndmask_b32_e32 v27, v27, v26, vcc_lo
	s_wait_dscnt 0x0
	v_mul_f32_e32 v27, v27, v28
	s_cbranch_execz .LBB88_414
	s_branch .LBB88_415
.LBB88_413:
                                        ; implicit-def: $vgpr27
.LBB88_414:
	ds_load_b32 v27, v119
.LBB88_415:
	s_mov_b32 s4, exec_lo
	v_cmpx_ne_u32_e32 5, v0
	s_cbranch_execz .LBB88_419
; %bb.416:
	v_mov_b64_e32 v[28:29], v[0:1]
	v_lshl_add_u32 v30, v0, 2, 0x74
	s_mov_b32 s5, 0
.LBB88_417:                             ; =>This Inner Loop Header: Depth=1
	s_delay_alu instid0(VALU_DEP_2)
	v_add_nc_u64_e32 v[28:29], 1, v[28:29]
	ds_load_b32 v32, v30
	v_add_nc_u32_e32 v30, 4, v30
	v_cmp_eq_u32_e32 vcc_lo, 1, v28
	v_cndmask_b32_e32 v31, v2, v3, vcc_lo
	v_cmp_eq_u32_e32 vcc_lo, 2, v28
	s_delay_alu instid0(VALU_DEP_2) | instskip(SKIP_1) | instid1(VALU_DEP_2)
	v_cndmask_b32_e32 v31, v31, v4, vcc_lo
	v_cmp_eq_u32_e32 vcc_lo, 3, v28
	v_cndmask_b32_e32 v31, v31, v5, vcc_lo
	v_cmp_eq_u32_e32 vcc_lo, 4, v28
	s_delay_alu instid0(VALU_DEP_2) | instskip(SKIP_1) | instid1(VALU_DEP_2)
	v_cndmask_b32_e32 v31, v31, v6, vcc_lo
	;; [unrolled: 5-line block ×11, first 2 shown]
	v_cmp_eq_u32_e32 vcc_lo, 23, v28
	v_cndmask_b32_e32 v31, v31, v25, vcc_lo
	v_cmp_eq_u32_e32 vcc_lo, 24, v28
	s_delay_alu instid0(VALU_DEP_2) | instskip(SKIP_2) | instid1(VALU_DEP_2)
	v_cndmask_b32_e32 v31, v31, v26, vcc_lo
	v_cmp_lt_u32_e32 vcc_lo, 4, v28
	s_wait_dscnt 0x0
	v_fmac_f32_e32 v27, v31, v32
	s_or_b32 s5, vcc_lo, s5
	s_delay_alu instid0(SALU_CYCLE_1)
	s_and_not1_b32 exec_lo, exec_lo, s5
	s_cbranch_execnz .LBB88_417
; %bb.418:
	s_or_b32 exec_lo, exec_lo, s5
.LBB88_419:
	s_delay_alu instid0(SALU_CYCLE_1)
	s_or_b32 exec_lo, exec_lo, s4
	v_mov_b32_e32 v8, 0
	ds_load_b32 v8, v8 offset:24
	s_wait_dscnt 0x0
	v_mul_f32_e32 v8, v27, v8
.LBB88_420:
	s_or_b32 exec_lo, exec_lo, s3
	v_cmp_gt_u32_e64 s3, 7, v0
	ds_store_b32 v119, v9
	s_wait_dscnt 0x0
	s_barrier_signal -1
	s_barrier_wait -1
	s_and_saveexec_b32 s4, s3
	s_cbranch_execz .LBB88_430
; %bb.421:
	v_cmp_ne_u32_e32 vcc_lo, 1, v34
	s_cbranch_vccnz .LBB88_423
; %bb.422:
	v_cmp_eq_u32_e32 vcc_lo, 1, v0
	ds_load_b32 v28, v119
	v_cndmask_b32_e32 v27, v2, v3, vcc_lo
	v_cmp_eq_u32_e32 vcc_lo, 2, v0
	s_delay_alu instid0(VALU_DEP_2) | instskip(SKIP_1) | instid1(VALU_DEP_2)
	v_cndmask_b32_e32 v27, v27, v4, vcc_lo
	v_cmp_eq_u32_e32 vcc_lo, 3, v0
	v_cndmask_b32_e32 v27, v27, v5, vcc_lo
	v_cmp_eq_u32_e32 vcc_lo, 4, v0
	s_delay_alu instid0(VALU_DEP_2) | instskip(SKIP_1) | instid1(VALU_DEP_2)
	v_cndmask_b32_e32 v27, v27, v6, vcc_lo
	v_cmp_eq_u32_e32 vcc_lo, 5, v0
	;; [unrolled: 5-line block ×11, first 2 shown]
	v_cndmask_b32_e32 v27, v27, v25, vcc_lo
	v_cmp_eq_u32_e32 vcc_lo, 24, v0
	s_delay_alu instid0(VALU_DEP_2) | instskip(SKIP_1) | instid1(VALU_DEP_1)
	v_cndmask_b32_e32 v27, v27, v26, vcc_lo
	s_wait_dscnt 0x0
	v_mul_f32_e32 v27, v27, v28
	s_cbranch_execz .LBB88_424
	s_branch .LBB88_425
.LBB88_423:
                                        ; implicit-def: $vgpr27
.LBB88_424:
	ds_load_b32 v27, v119
.LBB88_425:
	s_mov_b32 s5, exec_lo
	v_cmpx_ne_u32_e32 6, v0
	s_cbranch_execz .LBB88_429
; %bb.426:
	v_mov_b64_e32 v[28:29], v[0:1]
	v_lshl_add_u32 v30, v0, 2, 0x74
	s_mov_b32 s6, 0
.LBB88_427:                             ; =>This Inner Loop Header: Depth=1
	s_delay_alu instid0(VALU_DEP_2)
	v_add_nc_u64_e32 v[28:29], 1, v[28:29]
	ds_load_b32 v32, v30
	v_add_nc_u32_e32 v30, 4, v30
	v_cmp_eq_u32_e32 vcc_lo, 1, v28
	v_cndmask_b32_e32 v31, v2, v3, vcc_lo
	v_cmp_eq_u32_e32 vcc_lo, 2, v28
	s_delay_alu instid0(VALU_DEP_2) | instskip(SKIP_1) | instid1(VALU_DEP_2)
	v_cndmask_b32_e32 v31, v31, v4, vcc_lo
	v_cmp_eq_u32_e32 vcc_lo, 3, v28
	v_cndmask_b32_e32 v31, v31, v5, vcc_lo
	v_cmp_eq_u32_e32 vcc_lo, 4, v28
	s_delay_alu instid0(VALU_DEP_2) | instskip(SKIP_1) | instid1(VALU_DEP_2)
	v_cndmask_b32_e32 v31, v31, v6, vcc_lo
	;; [unrolled: 5-line block ×11, first 2 shown]
	v_cmp_eq_u32_e32 vcc_lo, 23, v28
	v_cndmask_b32_e32 v31, v31, v25, vcc_lo
	v_cmp_eq_u32_e32 vcc_lo, 24, v28
	s_delay_alu instid0(VALU_DEP_2) | instskip(SKIP_2) | instid1(VALU_DEP_2)
	v_cndmask_b32_e32 v31, v31, v26, vcc_lo
	v_cmp_lt_u32_e32 vcc_lo, 5, v28
	s_wait_dscnt 0x0
	v_fmac_f32_e32 v27, v31, v32
	s_or_b32 s6, vcc_lo, s6
	s_delay_alu instid0(SALU_CYCLE_1)
	s_and_not1_b32 exec_lo, exec_lo, s6
	s_cbranch_execnz .LBB88_427
; %bb.428:
	s_or_b32 exec_lo, exec_lo, s6
.LBB88_429:
	s_delay_alu instid0(SALU_CYCLE_1)
	s_or_b32 exec_lo, exec_lo, s5
	v_mov_b32_e32 v9, 0
	ds_load_b32 v9, v9 offset:28
	s_wait_dscnt 0x0
	v_mul_f32_e32 v9, v27, v9
.LBB88_430:
	s_or_b32 exec_lo, exec_lo, s4
	s_delay_alu instid0(SALU_CYCLE_1)
	s_mov_b32 s4, exec_lo
	ds_store_b32 v119, v10
	s_wait_dscnt 0x0
	s_barrier_signal -1
	s_barrier_wait -1
	v_cmpx_gt_u32_e32 8, v0
	s_cbranch_execz .LBB88_440
; %bb.431:
	v_cmp_ne_u32_e32 vcc_lo, 1, v34
	s_cbranch_vccnz .LBB88_433
; %bb.432:
	v_cmp_eq_u32_e32 vcc_lo, 1, v0
	ds_load_b32 v28, v119
	v_cndmask_b32_e32 v27, v2, v3, vcc_lo
	v_cmp_eq_u32_e32 vcc_lo, 2, v0
	s_delay_alu instid0(VALU_DEP_2) | instskip(SKIP_1) | instid1(VALU_DEP_2)
	v_cndmask_b32_e32 v27, v27, v4, vcc_lo
	v_cmp_eq_u32_e32 vcc_lo, 3, v0
	v_cndmask_b32_e32 v27, v27, v5, vcc_lo
	v_cmp_eq_u32_e32 vcc_lo, 4, v0
	s_delay_alu instid0(VALU_DEP_2) | instskip(SKIP_1) | instid1(VALU_DEP_2)
	v_cndmask_b32_e32 v27, v27, v6, vcc_lo
	v_cmp_eq_u32_e32 vcc_lo, 5, v0
	;; [unrolled: 5-line block ×11, first 2 shown]
	v_cndmask_b32_e32 v27, v27, v25, vcc_lo
	v_cmp_eq_u32_e32 vcc_lo, 24, v0
	s_delay_alu instid0(VALU_DEP_2) | instskip(SKIP_1) | instid1(VALU_DEP_1)
	v_cndmask_b32_e32 v27, v27, v26, vcc_lo
	s_wait_dscnt 0x0
	v_mul_f32_e32 v27, v27, v28
	s_cbranch_execz .LBB88_434
	s_branch .LBB88_435
.LBB88_433:
                                        ; implicit-def: $vgpr27
.LBB88_434:
	ds_load_b32 v27, v119
.LBB88_435:
	s_mov_b32 s5, exec_lo
	v_cmpx_ne_u32_e32 7, v0
	s_cbranch_execz .LBB88_439
; %bb.436:
	v_mov_b64_e32 v[28:29], v[0:1]
	v_lshl_add_u32 v30, v0, 2, 0x74
	s_mov_b32 s6, 0
.LBB88_437:                             ; =>This Inner Loop Header: Depth=1
	s_delay_alu instid0(VALU_DEP_2)
	v_add_nc_u64_e32 v[28:29], 1, v[28:29]
	ds_load_b32 v32, v30
	v_add_nc_u32_e32 v30, 4, v30
	v_cmp_eq_u32_e32 vcc_lo, 1, v28
	v_cndmask_b32_e32 v31, v2, v3, vcc_lo
	v_cmp_eq_u32_e32 vcc_lo, 2, v28
	s_delay_alu instid0(VALU_DEP_2) | instskip(SKIP_1) | instid1(VALU_DEP_2)
	v_cndmask_b32_e32 v31, v31, v4, vcc_lo
	v_cmp_eq_u32_e32 vcc_lo, 3, v28
	v_cndmask_b32_e32 v31, v31, v5, vcc_lo
	v_cmp_eq_u32_e32 vcc_lo, 4, v28
	s_delay_alu instid0(VALU_DEP_2) | instskip(SKIP_1) | instid1(VALU_DEP_2)
	v_cndmask_b32_e32 v31, v31, v6, vcc_lo
	;; [unrolled: 5-line block ×11, first 2 shown]
	v_cmp_eq_u32_e32 vcc_lo, 23, v28
	v_cndmask_b32_e32 v31, v31, v25, vcc_lo
	v_cmp_eq_u32_e32 vcc_lo, 24, v28
	s_delay_alu instid0(VALU_DEP_2) | instskip(SKIP_2) | instid1(VALU_DEP_2)
	v_cndmask_b32_e32 v31, v31, v26, vcc_lo
	v_cmp_lt_u32_e32 vcc_lo, 6, v28
	s_wait_dscnt 0x0
	v_fmac_f32_e32 v27, v31, v32
	s_or_b32 s6, vcc_lo, s6
	s_delay_alu instid0(SALU_CYCLE_1)
	s_and_not1_b32 exec_lo, exec_lo, s6
	s_cbranch_execnz .LBB88_437
; %bb.438:
	s_or_b32 exec_lo, exec_lo, s6
.LBB88_439:
	s_delay_alu instid0(SALU_CYCLE_1)
	s_or_b32 exec_lo, exec_lo, s5
	v_mov_b32_e32 v10, 0
	ds_load_b32 v10, v10 offset:32
	s_wait_dscnt 0x0
	v_mul_f32_e32 v10, v27, v10
.LBB88_440:
	s_or_b32 exec_lo, exec_lo, s4
	s_delay_alu instid0(SALU_CYCLE_1)
	s_mov_b32 s4, exec_lo
	ds_store_b32 v119, v11
	s_wait_dscnt 0x0
	s_barrier_signal -1
	s_barrier_wait -1
	v_cmpx_gt_u32_e32 9, v0
	s_cbranch_execz .LBB88_462
; %bb.441:
	v_cmp_ne_u32_e32 vcc_lo, 1, v34
	s_cbranch_vccnz .LBB88_443
; %bb.442:
	v_cmp_eq_u32_e32 vcc_lo, 1, v0
	ds_load_b32 v28, v119
	v_cndmask_b32_e32 v27, v2, v3, vcc_lo
	v_cmp_eq_u32_e32 vcc_lo, 2, v0
	s_delay_alu instid0(VALU_DEP_2) | instskip(SKIP_1) | instid1(VALU_DEP_2)
	v_cndmask_b32_e32 v27, v27, v4, vcc_lo
	v_cmp_eq_u32_e32 vcc_lo, 3, v0
	v_cndmask_b32_e32 v27, v27, v5, vcc_lo
	v_cmp_eq_u32_e32 vcc_lo, 4, v0
	s_delay_alu instid0(VALU_DEP_2) | instskip(SKIP_1) | instid1(VALU_DEP_2)
	v_cndmask_b32_e32 v27, v27, v6, vcc_lo
	v_cmp_eq_u32_e32 vcc_lo, 5, v0
	;; [unrolled: 5-line block ×11, first 2 shown]
	v_cndmask_b32_e32 v27, v27, v25, vcc_lo
	v_cmp_eq_u32_e32 vcc_lo, 24, v0
	s_delay_alu instid0(VALU_DEP_2) | instskip(SKIP_1) | instid1(VALU_DEP_1)
	v_cndmask_b32_e32 v27, v27, v26, vcc_lo
	s_wait_dscnt 0x0
	v_mul_f32_e32 v27, v27, v28
	s_cbranch_execz .LBB88_444
	s_branch .LBB88_445
.LBB88_443:
                                        ; implicit-def: $vgpr27
.LBB88_444:
	ds_load_b32 v27, v119
.LBB88_445:
	s_mov_b32 s5, exec_lo
	v_cmpx_ne_u32_e32 8, v0
	s_cbranch_execz .LBB88_461
; %bb.446:
	v_cmp_eq_u32_e32 vcc_lo, 1, v35
	ds_load_b32 v29, v119 offset:4
	v_cndmask_b32_e32 v28, v2, v3, vcc_lo
	v_cmp_eq_u32_e32 vcc_lo, 2, v35
	s_delay_alu instid0(VALU_DEP_2) | instskip(SKIP_1) | instid1(VALU_DEP_2)
	v_cndmask_b32_e32 v28, v28, v4, vcc_lo
	v_cmp_eq_u32_e32 vcc_lo, 3, v35
	v_cndmask_b32_e32 v28, v28, v5, vcc_lo
	v_cmp_eq_u32_e32 vcc_lo, 4, v35
	s_delay_alu instid0(VALU_DEP_2) | instskip(SKIP_1) | instid1(VALU_DEP_2)
	v_cndmask_b32_e32 v28, v28, v6, vcc_lo
	v_cmp_eq_u32_e32 vcc_lo, 5, v35
	;; [unrolled: 5-line block ×11, first 2 shown]
	v_cndmask_b32_e32 v28, v28, v25, vcc_lo
	v_cmp_eq_u32_e32 vcc_lo, 24, v35
	s_delay_alu instid0(VALU_DEP_2) | instskip(SKIP_1) | instid1(VALU_DEP_1)
	v_cndmask_b32_e32 v28, v28, v26, vcc_lo
	s_wait_dscnt 0x0
	v_fmac_f32_e32 v27, v28, v29
	s_and_saveexec_b32 s6, s3
	s_cbranch_execz .LBB88_460
; %bb.447:
	v_add_nc_u32_e32 v28, 2, v0
	ds_load_b32 v30, v119 offset:8
	s_mov_b32 s3, exec_lo
	v_cmp_eq_u32_e32 vcc_lo, 1, v28
	v_cndmask_b32_e32 v29, v2, v3, vcc_lo
	v_cmp_eq_u32_e32 vcc_lo, 2, v28
	s_delay_alu instid0(VALU_DEP_2) | instskip(SKIP_1) | instid1(VALU_DEP_2)
	v_cndmask_b32_e32 v29, v29, v4, vcc_lo
	v_cmp_eq_u32_e32 vcc_lo, 3, v28
	v_cndmask_b32_e32 v29, v29, v5, vcc_lo
	v_cmp_eq_u32_e32 vcc_lo, 4, v28
	s_delay_alu instid0(VALU_DEP_2) | instskip(SKIP_1) | instid1(VALU_DEP_2)
	v_cndmask_b32_e32 v29, v29, v6, vcc_lo
	;; [unrolled: 5-line block ×11, first 2 shown]
	v_cmp_eq_u32_e32 vcc_lo, 23, v28
	v_cndmask_b32_e32 v29, v29, v25, vcc_lo
	v_cmp_eq_u32_e32 vcc_lo, 24, v28
	s_delay_alu instid0(VALU_DEP_2) | instskip(SKIP_1) | instid1(VALU_DEP_1)
	v_cndmask_b32_e32 v28, v29, v26, vcc_lo
	s_wait_dscnt 0x0
	v_fmac_f32_e32 v27, v28, v30
	v_cmpx_ne_u32_e32 6, v0
	s_cbranch_execz .LBB88_459
; %bb.448:
	v_add_nc_u32_e32 v28, 3, v0
	ds_load_b32 v30, v119 offset:12
	v_cmp_eq_u32_e32 vcc_lo, 1, v28
	v_cndmask_b32_e32 v29, v2, v3, vcc_lo
	v_cmp_eq_u32_e32 vcc_lo, 2, v28
	s_delay_alu instid0(VALU_DEP_2) | instskip(SKIP_1) | instid1(VALU_DEP_2)
	v_cndmask_b32_e32 v29, v29, v4, vcc_lo
	v_cmp_eq_u32_e32 vcc_lo, 3, v28
	v_cndmask_b32_e32 v29, v29, v5, vcc_lo
	v_cmp_eq_u32_e32 vcc_lo, 4, v28
	s_delay_alu instid0(VALU_DEP_2) | instskip(SKIP_1) | instid1(VALU_DEP_2)
	v_cndmask_b32_e32 v29, v29, v6, vcc_lo
	;; [unrolled: 5-line block ×11, first 2 shown]
	v_cmp_eq_u32_e32 vcc_lo, 23, v28
	v_cndmask_b32_e32 v29, v29, v25, vcc_lo
	v_cmp_eq_u32_e32 vcc_lo, 24, v28
	s_delay_alu instid0(VALU_DEP_2) | instskip(SKIP_1) | instid1(VALU_DEP_1)
	v_cndmask_b32_e32 v28, v29, v26, vcc_lo
	s_wait_dscnt 0x0
	v_fmac_f32_e32 v27, v28, v30
	s_and_saveexec_b32 s7, s2
	s_cbranch_execz .LBB88_458
; %bb.449:
	v_add_nc_u32_e32 v28, 4, v0
	ds_load_b32 v30, v119 offset:16
	s_mov_b32 s2, exec_lo
	v_cmp_eq_u32_e32 vcc_lo, 1, v28
	v_cndmask_b32_e32 v29, v2, v3, vcc_lo
	v_cmp_eq_u32_e32 vcc_lo, 2, v28
	s_delay_alu instid0(VALU_DEP_2) | instskip(SKIP_1) | instid1(VALU_DEP_2)
	v_cndmask_b32_e32 v29, v29, v4, vcc_lo
	v_cmp_eq_u32_e32 vcc_lo, 3, v28
	v_cndmask_b32_e32 v29, v29, v5, vcc_lo
	v_cmp_eq_u32_e32 vcc_lo, 4, v28
	s_delay_alu instid0(VALU_DEP_2) | instskip(SKIP_1) | instid1(VALU_DEP_2)
	v_cndmask_b32_e32 v29, v29, v6, vcc_lo
	;; [unrolled: 5-line block ×11, first 2 shown]
	v_cmp_eq_u32_e32 vcc_lo, 23, v28
	v_cndmask_b32_e32 v29, v29, v25, vcc_lo
	v_cmp_eq_u32_e32 vcc_lo, 24, v28
	s_delay_alu instid0(VALU_DEP_2) | instskip(SKIP_1) | instid1(VALU_DEP_1)
	v_cndmask_b32_e32 v28, v29, v26, vcc_lo
	s_wait_dscnt 0x0
	v_fmac_f32_e32 v27, v28, v30
	v_cmpx_ne_u32_e32 4, v0
	s_cbranch_execz .LBB88_457
; %bb.450:
	v_add_nc_u32_e32 v28, 5, v0
	ds_load_b32 v30, v119 offset:20
	v_cmp_eq_u32_e32 vcc_lo, 1, v28
	v_cndmask_b32_e32 v29, v2, v3, vcc_lo
	v_cmp_eq_u32_e32 vcc_lo, 2, v28
	s_delay_alu instid0(VALU_DEP_2) | instskip(SKIP_1) | instid1(VALU_DEP_2)
	v_cndmask_b32_e32 v29, v29, v4, vcc_lo
	v_cmp_eq_u32_e32 vcc_lo, 3, v28
	v_cndmask_b32_e32 v29, v29, v5, vcc_lo
	v_cmp_eq_u32_e32 vcc_lo, 4, v28
	s_delay_alu instid0(VALU_DEP_2) | instskip(SKIP_1) | instid1(VALU_DEP_2)
	v_cndmask_b32_e32 v29, v29, v6, vcc_lo
	;; [unrolled: 5-line block ×11, first 2 shown]
	v_cmp_eq_u32_e32 vcc_lo, 23, v28
	v_cndmask_b32_e32 v29, v29, v25, vcc_lo
	v_cmp_eq_u32_e32 vcc_lo, 24, v28
	s_delay_alu instid0(VALU_DEP_2) | instskip(SKIP_1) | instid1(VALU_DEP_1)
	v_cndmask_b32_e32 v28, v29, v26, vcc_lo
	s_wait_dscnt 0x0
	v_fmac_f32_e32 v27, v28, v30
	s_and_saveexec_b32 s8, s1
	s_cbranch_execz .LBB88_456
; %bb.451:
	v_add_nc_u32_e32 v28, 6, v0
	ds_load_b32 v30, v119 offset:24
	s_mov_b32 s1, exec_lo
	v_cmp_eq_u32_e32 vcc_lo, 1, v28
	v_cndmask_b32_e32 v29, v2, v3, vcc_lo
	v_cmp_eq_u32_e32 vcc_lo, 2, v28
	s_delay_alu instid0(VALU_DEP_2) | instskip(SKIP_1) | instid1(VALU_DEP_2)
	v_cndmask_b32_e32 v29, v29, v4, vcc_lo
	v_cmp_eq_u32_e32 vcc_lo, 3, v28
	v_cndmask_b32_e32 v29, v29, v5, vcc_lo
	v_cmp_eq_u32_e32 vcc_lo, 4, v28
	s_delay_alu instid0(VALU_DEP_2) | instskip(SKIP_1) | instid1(VALU_DEP_2)
	v_cndmask_b32_e32 v29, v29, v6, vcc_lo
	v_cmp_eq_u32_e32 vcc_lo, 5, v28
	v_cndmask_b32_e32 v29, v29, v7, vcc_lo
	v_cmp_eq_u32_e32 vcc_lo, 6, v28
	s_delay_alu instid0(VALU_DEP_2) | instskip(SKIP_1) | instid1(VALU_DEP_2)
	v_cndmask_b32_e32 v29, v29, v8, vcc_lo
	v_cmp_eq_u32_e32 vcc_lo, 7, v28
	v_cndmask_b32_e32 v29, v29, v9, vcc_lo
	v_cmp_eq_u32_e32 vcc_lo, 8, v28
	s_delay_alu instid0(VALU_DEP_2) | instskip(SKIP_1) | instid1(VALU_DEP_2)
	v_cndmask_b32_e32 v29, v29, v10, vcc_lo
	v_cmp_eq_u32_e32 vcc_lo, 9, v28
	v_cndmask_b32_e32 v29, v29, v11, vcc_lo
	v_cmp_eq_u32_e32 vcc_lo, 10, v28
	s_delay_alu instid0(VALU_DEP_2) | instskip(SKIP_1) | instid1(VALU_DEP_2)
	v_cndmask_b32_e32 v29, v29, v12, vcc_lo
	v_cmp_eq_u32_e32 vcc_lo, 11, v28
	v_cndmask_b32_e32 v29, v29, v13, vcc_lo
	v_cmp_eq_u32_e32 vcc_lo, 12, v28
	s_delay_alu instid0(VALU_DEP_2) | instskip(SKIP_1) | instid1(VALU_DEP_2)
	v_cndmask_b32_e32 v29, v29, v14, vcc_lo
	v_cmp_eq_u32_e32 vcc_lo, 13, v28
	v_cndmask_b32_e32 v29, v29, v15, vcc_lo
	v_cmp_eq_u32_e32 vcc_lo, 14, v28
	s_delay_alu instid0(VALU_DEP_2) | instskip(SKIP_1) | instid1(VALU_DEP_2)
	v_cndmask_b32_e32 v29, v29, v16, vcc_lo
	v_cmp_eq_u32_e32 vcc_lo, 15, v28
	v_cndmask_b32_e32 v29, v29, v17, vcc_lo
	v_cmp_eq_u32_e32 vcc_lo, 16, v28
	s_delay_alu instid0(VALU_DEP_2) | instskip(SKIP_1) | instid1(VALU_DEP_2)
	v_cndmask_b32_e32 v29, v29, v18, vcc_lo
	v_cmp_eq_u32_e32 vcc_lo, 17, v28
	v_cndmask_b32_e32 v29, v29, v19, vcc_lo
	v_cmp_eq_u32_e32 vcc_lo, 18, v28
	s_delay_alu instid0(VALU_DEP_2) | instskip(SKIP_1) | instid1(VALU_DEP_2)
	v_cndmask_b32_e32 v29, v29, v20, vcc_lo
	v_cmp_eq_u32_e32 vcc_lo, 19, v28
	v_cndmask_b32_e32 v29, v29, v21, vcc_lo
	v_cmp_eq_u32_e32 vcc_lo, 20, v28
	s_delay_alu instid0(VALU_DEP_2) | instskip(SKIP_1) | instid1(VALU_DEP_2)
	v_cndmask_b32_e32 v29, v29, v22, vcc_lo
	v_cmp_eq_u32_e32 vcc_lo, 21, v28
	v_cndmask_b32_e32 v29, v29, v23, vcc_lo
	v_cmp_eq_u32_e32 vcc_lo, 22, v28
	s_delay_alu instid0(VALU_DEP_2) | instskip(SKIP_1) | instid1(VALU_DEP_2)
	v_cndmask_b32_e32 v29, v29, v24, vcc_lo
	v_cmp_eq_u32_e32 vcc_lo, 23, v28
	v_cndmask_b32_e32 v29, v29, v25, vcc_lo
	v_cmp_eq_u32_e32 vcc_lo, 24, v28
	s_delay_alu instid0(VALU_DEP_2) | instskip(SKIP_1) | instid1(VALU_DEP_1)
	v_cndmask_b32_e32 v28, v29, v26, vcc_lo
	s_wait_dscnt 0x0
	v_fmac_f32_e32 v27, v28, v30
	v_cmpx_ne_u32_e32 2, v0
	s_cbranch_execz .LBB88_455
; %bb.452:
	v_add_nc_u32_e32 v28, 7, v0
	s_delay_alu instid0(VALU_DEP_1) | instskip(SKIP_2) | instid1(VALU_DEP_2)
	v_cmp_eq_u32_e32 vcc_lo, 1, v28
	v_cndmask_b32_e32 v29, v2, v3, vcc_lo
	v_cmp_eq_u32_e32 vcc_lo, 2, v28
	v_cndmask_b32_e32 v29, v29, v4, vcc_lo
	v_cmp_eq_u32_e32 vcc_lo, 3, v28
	s_delay_alu instid0(VALU_DEP_2) | instskip(SKIP_1) | instid1(VALU_DEP_2)
	v_cndmask_b32_e32 v29, v29, v5, vcc_lo
	v_cmp_eq_u32_e32 vcc_lo, 4, v28
	v_cndmask_b32_e32 v29, v29, v6, vcc_lo
	v_cmp_eq_u32_e32 vcc_lo, 5, v28
	s_delay_alu instid0(VALU_DEP_2) | instskip(SKIP_1) | instid1(VALU_DEP_2)
	;; [unrolled: 5-line block ×3, first 2 shown]
	v_cndmask_b32_e32 v29, v29, v9, vcc_lo
	v_cmp_eq_u32_e32 vcc_lo, 8, v28
	v_cndmask_b32_e32 v29, v29, v10, vcc_lo
	v_cmp_eq_u32_e32 vcc_lo, 9, v28
	s_delay_alu instid0(VALU_DEP_2) | instskip(SKIP_4) | instid1(VALU_DEP_2)
	v_cndmask_b32_e32 v11, v29, v11, vcc_lo
	v_cmp_eq_u32_e32 vcc_lo, 10, v28
	ds_load_b32 v29, v119 offset:28
	v_cndmask_b32_e32 v11, v11, v12, vcc_lo
	v_cmp_eq_u32_e32 vcc_lo, 11, v28
	v_cndmask_b32_e32 v11, v11, v13, vcc_lo
	v_cmp_eq_u32_e32 vcc_lo, 12, v28
	s_delay_alu instid0(VALU_DEP_2) | instskip(SKIP_1) | instid1(VALU_DEP_2)
	v_cndmask_b32_e32 v11, v11, v14, vcc_lo
	v_cmp_eq_u32_e32 vcc_lo, 13, v28
	v_cndmask_b32_e32 v11, v11, v15, vcc_lo
	v_cmp_eq_u32_e32 vcc_lo, 14, v28
	s_delay_alu instid0(VALU_DEP_2) | instskip(SKIP_1) | instid1(VALU_DEP_2)
	;; [unrolled: 5-line block ×6, first 2 shown]
	v_cndmask_b32_e32 v11, v11, v24, vcc_lo
	v_cmp_eq_u32_e32 vcc_lo, 23, v28
	v_cndmask_b32_e32 v11, v11, v25, vcc_lo
	v_cmp_eq_u32_e32 vcc_lo, 24, v28
	s_delay_alu instid0(VALU_DEP_2) | instskip(SKIP_1) | instid1(VALU_DEP_1)
	v_cndmask_b32_e32 v11, v11, v26, vcc_lo
	s_wait_dscnt 0x0
	v_fmac_f32_e32 v27, v11, v29
	s_and_saveexec_b32 s9, s0
	s_cbranch_execz .LBB88_454
; %bb.453:
	ds_load_b32 v11, v119 offset:32
	s_wait_dscnt 0x0
	v_fmac_f32_e32 v27, v10, v11
.LBB88_454:
	s_or_b32 exec_lo, exec_lo, s9
.LBB88_455:
	s_delay_alu instid0(SALU_CYCLE_1)
	s_or_b32 exec_lo, exec_lo, s1
.LBB88_456:
	s_delay_alu instid0(SALU_CYCLE_1)
	s_or_b32 exec_lo, exec_lo, s8
.LBB88_457:
	s_delay_alu instid0(SALU_CYCLE_1)
	s_or_b32 exec_lo, exec_lo, s2
.LBB88_458:
	s_delay_alu instid0(SALU_CYCLE_1)
	s_or_b32 exec_lo, exec_lo, s7
.LBB88_459:
	s_delay_alu instid0(SALU_CYCLE_1)
	s_or_b32 exec_lo, exec_lo, s3
.LBB88_460:
	s_delay_alu instid0(SALU_CYCLE_1)
	s_or_b32 exec_lo, exec_lo, s6
.LBB88_461:
	s_delay_alu instid0(SALU_CYCLE_1)
	s_or_b32 exec_lo, exec_lo, s5
	v_mov_b32_e32 v11, 0
	ds_load_b32 v11, v11 offset:36
	s_wait_dscnt 0x0
	v_mul_f32_e32 v11, v27, v11
.LBB88_462:
	s_or_b32 exec_lo, exec_lo, s4
	s_delay_alu instid0(SALU_CYCLE_1)
	s_mov_b32 s0, exec_lo
	ds_store_b32 v119, v12
	s_wait_dscnt 0x0
	s_barrier_signal -1
	s_barrier_wait -1
	v_cmpx_gt_u32_e32 10, v0
	s_cbranch_execz .LBB88_472
; %bb.463:
	v_cmp_ne_u32_e32 vcc_lo, 1, v34
	s_cbranch_vccnz .LBB88_465
; %bb.464:
	v_cmp_eq_u32_e32 vcc_lo, 1, v0
	ds_load_b32 v28, v119
	v_cndmask_b32_e32 v27, v2, v3, vcc_lo
	v_cmp_eq_u32_e32 vcc_lo, 2, v0
	s_delay_alu instid0(VALU_DEP_2) | instskip(SKIP_1) | instid1(VALU_DEP_2)
	v_cndmask_b32_e32 v27, v27, v4, vcc_lo
	v_cmp_eq_u32_e32 vcc_lo, 3, v0
	v_cndmask_b32_e32 v27, v27, v5, vcc_lo
	v_cmp_eq_u32_e32 vcc_lo, 4, v0
	s_delay_alu instid0(VALU_DEP_2) | instskip(SKIP_1) | instid1(VALU_DEP_2)
	v_cndmask_b32_e32 v27, v27, v6, vcc_lo
	v_cmp_eq_u32_e32 vcc_lo, 5, v0
	v_cndmask_b32_e32 v27, v27, v7, vcc_lo
	v_cmp_eq_u32_e32 vcc_lo, 6, v0
	s_delay_alu instid0(VALU_DEP_2) | instskip(SKIP_1) | instid1(VALU_DEP_2)
	v_cndmask_b32_e32 v27, v27, v8, vcc_lo
	v_cmp_eq_u32_e32 vcc_lo, 7, v0
	v_cndmask_b32_e32 v27, v27, v9, vcc_lo
	v_cmp_eq_u32_e32 vcc_lo, 8, v0
	s_delay_alu instid0(VALU_DEP_2) | instskip(SKIP_1) | instid1(VALU_DEP_2)
	v_cndmask_b32_e32 v27, v27, v10, vcc_lo
	v_cmp_eq_u32_e32 vcc_lo, 9, v0
	v_cndmask_b32_e32 v27, v27, v11, vcc_lo
	v_cmp_eq_u32_e32 vcc_lo, 10, v0
	s_delay_alu instid0(VALU_DEP_2) | instskip(SKIP_1) | instid1(VALU_DEP_2)
	v_cndmask_b32_e32 v27, v27, v12, vcc_lo
	v_cmp_eq_u32_e32 vcc_lo, 11, v0
	v_cndmask_b32_e32 v27, v27, v13, vcc_lo
	v_cmp_eq_u32_e32 vcc_lo, 12, v0
	s_delay_alu instid0(VALU_DEP_2) | instskip(SKIP_1) | instid1(VALU_DEP_2)
	v_cndmask_b32_e32 v27, v27, v14, vcc_lo
	v_cmp_eq_u32_e32 vcc_lo, 13, v0
	v_cndmask_b32_e32 v27, v27, v15, vcc_lo
	v_cmp_eq_u32_e32 vcc_lo, 14, v0
	s_delay_alu instid0(VALU_DEP_2) | instskip(SKIP_1) | instid1(VALU_DEP_2)
	v_cndmask_b32_e32 v27, v27, v16, vcc_lo
	v_cmp_eq_u32_e32 vcc_lo, 15, v0
	v_cndmask_b32_e32 v27, v27, v17, vcc_lo
	v_cmp_eq_u32_e32 vcc_lo, 16, v0
	s_delay_alu instid0(VALU_DEP_2) | instskip(SKIP_1) | instid1(VALU_DEP_2)
	v_cndmask_b32_e32 v27, v27, v18, vcc_lo
	v_cmp_eq_u32_e32 vcc_lo, 17, v0
	v_cndmask_b32_e32 v27, v27, v19, vcc_lo
	v_cmp_eq_u32_e32 vcc_lo, 18, v0
	s_delay_alu instid0(VALU_DEP_2) | instskip(SKIP_1) | instid1(VALU_DEP_2)
	v_cndmask_b32_e32 v27, v27, v20, vcc_lo
	v_cmp_eq_u32_e32 vcc_lo, 19, v0
	v_cndmask_b32_e32 v27, v27, v21, vcc_lo
	v_cmp_eq_u32_e32 vcc_lo, 20, v0
	s_delay_alu instid0(VALU_DEP_2) | instskip(SKIP_1) | instid1(VALU_DEP_2)
	v_cndmask_b32_e32 v27, v27, v22, vcc_lo
	v_cmp_eq_u32_e32 vcc_lo, 21, v0
	v_cndmask_b32_e32 v27, v27, v23, vcc_lo
	v_cmp_eq_u32_e32 vcc_lo, 22, v0
	s_delay_alu instid0(VALU_DEP_2) | instskip(SKIP_1) | instid1(VALU_DEP_2)
	v_cndmask_b32_e32 v27, v27, v24, vcc_lo
	v_cmp_eq_u32_e32 vcc_lo, 23, v0
	v_cndmask_b32_e32 v27, v27, v25, vcc_lo
	v_cmp_eq_u32_e32 vcc_lo, 24, v0
	s_delay_alu instid0(VALU_DEP_2) | instskip(SKIP_1) | instid1(VALU_DEP_1)
	v_cndmask_b32_e32 v27, v27, v26, vcc_lo
	s_wait_dscnt 0x0
	v_mul_f32_e32 v27, v27, v28
	s_cbranch_execz .LBB88_466
	s_branch .LBB88_467
.LBB88_465:
                                        ; implicit-def: $vgpr27
.LBB88_466:
	ds_load_b32 v27, v119
.LBB88_467:
	s_mov_b32 s1, exec_lo
	v_cmpx_ne_u32_e32 9, v0
	s_cbranch_execz .LBB88_471
; %bb.468:
	v_mov_b64_e32 v[28:29], v[0:1]
	v_lshl_add_u32 v30, v0, 2, 0x74
	s_mov_b32 s2, 0
.LBB88_469:                             ; =>This Inner Loop Header: Depth=1
	s_delay_alu instid0(VALU_DEP_2)
	v_add_nc_u64_e32 v[28:29], 1, v[28:29]
	ds_load_b32 v32, v30
	v_add_nc_u32_e32 v30, 4, v30
	v_cmp_eq_u32_e32 vcc_lo, 1, v28
	v_cndmask_b32_e32 v31, v2, v3, vcc_lo
	v_cmp_eq_u32_e32 vcc_lo, 2, v28
	s_delay_alu instid0(VALU_DEP_2) | instskip(SKIP_1) | instid1(VALU_DEP_2)
	v_cndmask_b32_e32 v31, v31, v4, vcc_lo
	v_cmp_eq_u32_e32 vcc_lo, 3, v28
	v_cndmask_b32_e32 v31, v31, v5, vcc_lo
	v_cmp_eq_u32_e32 vcc_lo, 4, v28
	s_delay_alu instid0(VALU_DEP_2) | instskip(SKIP_1) | instid1(VALU_DEP_2)
	v_cndmask_b32_e32 v31, v31, v6, vcc_lo
	;; [unrolled: 5-line block ×11, first 2 shown]
	v_cmp_eq_u32_e32 vcc_lo, 23, v28
	v_cndmask_b32_e32 v31, v31, v25, vcc_lo
	v_cmp_eq_u32_e32 vcc_lo, 24, v28
	s_delay_alu instid0(VALU_DEP_2) | instskip(SKIP_2) | instid1(VALU_DEP_2)
	v_cndmask_b32_e32 v31, v31, v26, vcc_lo
	v_cmp_lt_u32_e32 vcc_lo, 8, v28
	s_wait_dscnt 0x0
	v_fmac_f32_e32 v27, v31, v32
	s_or_b32 s2, vcc_lo, s2
	s_delay_alu instid0(SALU_CYCLE_1)
	s_and_not1_b32 exec_lo, exec_lo, s2
	s_cbranch_execnz .LBB88_469
; %bb.470:
	s_or_b32 exec_lo, exec_lo, s2
.LBB88_471:
	s_delay_alu instid0(SALU_CYCLE_1)
	s_or_b32 exec_lo, exec_lo, s1
	v_mov_b32_e32 v12, 0
	ds_load_b32 v12, v12 offset:40
	s_wait_dscnt 0x0
	v_mul_f32_e32 v12, v27, v12
.LBB88_472:
	s_or_b32 exec_lo, exec_lo, s0
	s_delay_alu instid0(SALU_CYCLE_1)
	s_mov_b32 s0, exec_lo
	ds_store_b32 v119, v13
	s_wait_dscnt 0x0
	s_barrier_signal -1
	s_barrier_wait -1
	v_cmpx_gt_u32_e32 11, v0
	s_cbranch_execz .LBB88_482
; %bb.473:
	v_cmp_ne_u32_e32 vcc_lo, 1, v34
	s_cbranch_vccnz .LBB88_475
; %bb.474:
	v_cmp_eq_u32_e32 vcc_lo, 1, v0
	ds_load_b32 v28, v119
	v_cndmask_b32_e32 v27, v2, v3, vcc_lo
	v_cmp_eq_u32_e32 vcc_lo, 2, v0
	s_delay_alu instid0(VALU_DEP_2) | instskip(SKIP_1) | instid1(VALU_DEP_2)
	v_cndmask_b32_e32 v27, v27, v4, vcc_lo
	v_cmp_eq_u32_e32 vcc_lo, 3, v0
	v_cndmask_b32_e32 v27, v27, v5, vcc_lo
	v_cmp_eq_u32_e32 vcc_lo, 4, v0
	s_delay_alu instid0(VALU_DEP_2) | instskip(SKIP_1) | instid1(VALU_DEP_2)
	v_cndmask_b32_e32 v27, v27, v6, vcc_lo
	v_cmp_eq_u32_e32 vcc_lo, 5, v0
	;; [unrolled: 5-line block ×11, first 2 shown]
	v_cndmask_b32_e32 v27, v27, v25, vcc_lo
	v_cmp_eq_u32_e32 vcc_lo, 24, v0
	s_delay_alu instid0(VALU_DEP_2) | instskip(SKIP_1) | instid1(VALU_DEP_1)
	v_cndmask_b32_e32 v27, v27, v26, vcc_lo
	s_wait_dscnt 0x0
	v_mul_f32_e32 v27, v27, v28
	s_cbranch_execz .LBB88_476
	s_branch .LBB88_477
.LBB88_475:
                                        ; implicit-def: $vgpr27
.LBB88_476:
	ds_load_b32 v27, v119
.LBB88_477:
	s_mov_b32 s1, exec_lo
	v_cmpx_ne_u32_e32 10, v0
	s_cbranch_execz .LBB88_481
; %bb.478:
	v_mov_b64_e32 v[28:29], v[0:1]
	v_lshl_add_u32 v30, v0, 2, 0x74
	s_mov_b32 s2, 0
.LBB88_479:                             ; =>This Inner Loop Header: Depth=1
	s_delay_alu instid0(VALU_DEP_2)
	v_add_nc_u64_e32 v[28:29], 1, v[28:29]
	ds_load_b32 v32, v30
	v_add_nc_u32_e32 v30, 4, v30
	v_cmp_eq_u32_e32 vcc_lo, 1, v28
	v_cndmask_b32_e32 v31, v2, v3, vcc_lo
	v_cmp_eq_u32_e32 vcc_lo, 2, v28
	s_delay_alu instid0(VALU_DEP_2) | instskip(SKIP_1) | instid1(VALU_DEP_2)
	v_cndmask_b32_e32 v31, v31, v4, vcc_lo
	v_cmp_eq_u32_e32 vcc_lo, 3, v28
	v_cndmask_b32_e32 v31, v31, v5, vcc_lo
	v_cmp_eq_u32_e32 vcc_lo, 4, v28
	s_delay_alu instid0(VALU_DEP_2) | instskip(SKIP_1) | instid1(VALU_DEP_2)
	v_cndmask_b32_e32 v31, v31, v6, vcc_lo
	;; [unrolled: 5-line block ×11, first 2 shown]
	v_cmp_eq_u32_e32 vcc_lo, 23, v28
	v_cndmask_b32_e32 v31, v31, v25, vcc_lo
	v_cmp_eq_u32_e32 vcc_lo, 24, v28
	s_delay_alu instid0(VALU_DEP_2) | instskip(SKIP_2) | instid1(VALU_DEP_2)
	v_cndmask_b32_e32 v31, v31, v26, vcc_lo
	v_cmp_lt_u32_e32 vcc_lo, 9, v28
	s_wait_dscnt 0x0
	v_fmac_f32_e32 v27, v31, v32
	s_or_b32 s2, vcc_lo, s2
	s_delay_alu instid0(SALU_CYCLE_1)
	s_and_not1_b32 exec_lo, exec_lo, s2
	s_cbranch_execnz .LBB88_479
; %bb.480:
	s_or_b32 exec_lo, exec_lo, s2
.LBB88_481:
	s_delay_alu instid0(SALU_CYCLE_1)
	s_or_b32 exec_lo, exec_lo, s1
	v_mov_b32_e32 v13, 0
	ds_load_b32 v13, v13 offset:44
	s_wait_dscnt 0x0
	v_mul_f32_e32 v13, v27, v13
.LBB88_482:
	s_or_b32 exec_lo, exec_lo, s0
	s_delay_alu instid0(SALU_CYCLE_1)
	s_mov_b32 s0, exec_lo
	ds_store_b32 v119, v14
	s_wait_dscnt 0x0
	s_barrier_signal -1
	s_barrier_wait -1
	v_cmpx_gt_u32_e32 12, v0
	s_cbranch_execz .LBB88_492
; %bb.483:
	v_cmp_ne_u32_e32 vcc_lo, 1, v34
	s_cbranch_vccnz .LBB88_485
; %bb.484:
	v_cmp_eq_u32_e32 vcc_lo, 1, v0
	ds_load_b32 v28, v119
	v_cndmask_b32_e32 v27, v2, v3, vcc_lo
	v_cmp_eq_u32_e32 vcc_lo, 2, v0
	s_delay_alu instid0(VALU_DEP_2) | instskip(SKIP_1) | instid1(VALU_DEP_2)
	v_cndmask_b32_e32 v27, v27, v4, vcc_lo
	v_cmp_eq_u32_e32 vcc_lo, 3, v0
	v_cndmask_b32_e32 v27, v27, v5, vcc_lo
	v_cmp_eq_u32_e32 vcc_lo, 4, v0
	s_delay_alu instid0(VALU_DEP_2) | instskip(SKIP_1) | instid1(VALU_DEP_2)
	v_cndmask_b32_e32 v27, v27, v6, vcc_lo
	v_cmp_eq_u32_e32 vcc_lo, 5, v0
	;; [unrolled: 5-line block ×11, first 2 shown]
	v_cndmask_b32_e32 v27, v27, v25, vcc_lo
	v_cmp_eq_u32_e32 vcc_lo, 24, v0
	s_delay_alu instid0(VALU_DEP_2) | instskip(SKIP_1) | instid1(VALU_DEP_1)
	v_cndmask_b32_e32 v27, v27, v26, vcc_lo
	s_wait_dscnt 0x0
	v_mul_f32_e32 v27, v27, v28
	s_cbranch_execz .LBB88_486
	s_branch .LBB88_487
.LBB88_485:
                                        ; implicit-def: $vgpr27
.LBB88_486:
	ds_load_b32 v27, v119
.LBB88_487:
	s_mov_b32 s1, exec_lo
	v_cmpx_ne_u32_e32 11, v0
	s_cbranch_execz .LBB88_491
; %bb.488:
	v_mov_b64_e32 v[28:29], v[0:1]
	v_lshl_add_u32 v30, v0, 2, 0x74
	s_mov_b32 s2, 0
.LBB88_489:                             ; =>This Inner Loop Header: Depth=1
	s_delay_alu instid0(VALU_DEP_2)
	v_add_nc_u64_e32 v[28:29], 1, v[28:29]
	ds_load_b32 v32, v30
	v_add_nc_u32_e32 v30, 4, v30
	v_cmp_eq_u32_e32 vcc_lo, 1, v28
	v_cndmask_b32_e32 v31, v2, v3, vcc_lo
	v_cmp_eq_u32_e32 vcc_lo, 2, v28
	s_delay_alu instid0(VALU_DEP_2) | instskip(SKIP_1) | instid1(VALU_DEP_2)
	v_cndmask_b32_e32 v31, v31, v4, vcc_lo
	v_cmp_eq_u32_e32 vcc_lo, 3, v28
	v_cndmask_b32_e32 v31, v31, v5, vcc_lo
	v_cmp_eq_u32_e32 vcc_lo, 4, v28
	s_delay_alu instid0(VALU_DEP_2) | instskip(SKIP_1) | instid1(VALU_DEP_2)
	v_cndmask_b32_e32 v31, v31, v6, vcc_lo
	v_cmp_eq_u32_e32 vcc_lo, 5, v28
	v_cndmask_b32_e32 v31, v31, v7, vcc_lo
	v_cmp_eq_u32_e32 vcc_lo, 6, v28
	s_delay_alu instid0(VALU_DEP_2) | instskip(SKIP_1) | instid1(VALU_DEP_2)
	v_cndmask_b32_e32 v31, v31, v8, vcc_lo
	v_cmp_eq_u32_e32 vcc_lo, 7, v28
	v_cndmask_b32_e32 v31, v31, v9, vcc_lo
	v_cmp_eq_u32_e32 vcc_lo, 8, v28
	s_delay_alu instid0(VALU_DEP_2) | instskip(SKIP_1) | instid1(VALU_DEP_2)
	v_cndmask_b32_e32 v31, v31, v10, vcc_lo
	v_cmp_eq_u32_e32 vcc_lo, 9, v28
	v_cndmask_b32_e32 v31, v31, v11, vcc_lo
	v_cmp_eq_u32_e32 vcc_lo, 10, v28
	s_delay_alu instid0(VALU_DEP_2) | instskip(SKIP_1) | instid1(VALU_DEP_2)
	v_cndmask_b32_e32 v31, v31, v12, vcc_lo
	v_cmp_eq_u32_e32 vcc_lo, 11, v28
	v_cndmask_b32_e32 v31, v31, v13, vcc_lo
	v_cmp_eq_u32_e32 vcc_lo, 12, v28
	s_delay_alu instid0(VALU_DEP_2) | instskip(SKIP_1) | instid1(VALU_DEP_2)
	v_cndmask_b32_e32 v31, v31, v14, vcc_lo
	v_cmp_eq_u32_e32 vcc_lo, 13, v28
	v_cndmask_b32_e32 v31, v31, v15, vcc_lo
	v_cmp_eq_u32_e32 vcc_lo, 14, v28
	s_delay_alu instid0(VALU_DEP_2) | instskip(SKIP_1) | instid1(VALU_DEP_2)
	v_cndmask_b32_e32 v31, v31, v16, vcc_lo
	v_cmp_eq_u32_e32 vcc_lo, 15, v28
	v_cndmask_b32_e32 v31, v31, v17, vcc_lo
	v_cmp_eq_u32_e32 vcc_lo, 16, v28
	s_delay_alu instid0(VALU_DEP_2) | instskip(SKIP_1) | instid1(VALU_DEP_2)
	v_cndmask_b32_e32 v31, v31, v18, vcc_lo
	v_cmp_eq_u32_e32 vcc_lo, 17, v28
	v_cndmask_b32_e32 v31, v31, v19, vcc_lo
	v_cmp_eq_u32_e32 vcc_lo, 18, v28
	s_delay_alu instid0(VALU_DEP_2) | instskip(SKIP_1) | instid1(VALU_DEP_2)
	v_cndmask_b32_e32 v31, v31, v20, vcc_lo
	v_cmp_eq_u32_e32 vcc_lo, 19, v28
	v_cndmask_b32_e32 v31, v31, v21, vcc_lo
	v_cmp_eq_u32_e32 vcc_lo, 20, v28
	s_delay_alu instid0(VALU_DEP_2) | instskip(SKIP_1) | instid1(VALU_DEP_2)
	v_cndmask_b32_e32 v31, v31, v22, vcc_lo
	v_cmp_eq_u32_e32 vcc_lo, 21, v28
	v_cndmask_b32_e32 v31, v31, v23, vcc_lo
	v_cmp_eq_u32_e32 vcc_lo, 22, v28
	s_delay_alu instid0(VALU_DEP_2) | instskip(SKIP_1) | instid1(VALU_DEP_2)
	v_cndmask_b32_e32 v31, v31, v24, vcc_lo
	v_cmp_eq_u32_e32 vcc_lo, 23, v28
	v_cndmask_b32_e32 v31, v31, v25, vcc_lo
	v_cmp_eq_u32_e32 vcc_lo, 24, v28
	s_delay_alu instid0(VALU_DEP_2) | instskip(SKIP_2) | instid1(VALU_DEP_2)
	v_cndmask_b32_e32 v31, v31, v26, vcc_lo
	v_cmp_lt_u32_e32 vcc_lo, 10, v28
	s_wait_dscnt 0x0
	v_fmac_f32_e32 v27, v31, v32
	s_or_b32 s2, vcc_lo, s2
	s_delay_alu instid0(SALU_CYCLE_1)
	s_and_not1_b32 exec_lo, exec_lo, s2
	s_cbranch_execnz .LBB88_489
; %bb.490:
	s_or_b32 exec_lo, exec_lo, s2
.LBB88_491:
	s_delay_alu instid0(SALU_CYCLE_1)
	s_or_b32 exec_lo, exec_lo, s1
	v_mov_b32_e32 v14, 0
	ds_load_b32 v14, v14 offset:48
	s_wait_dscnt 0x0
	v_mul_f32_e32 v14, v27, v14
.LBB88_492:
	s_or_b32 exec_lo, exec_lo, s0
	s_delay_alu instid0(SALU_CYCLE_1)
	s_mov_b32 s0, exec_lo
	ds_store_b32 v119, v15
	s_wait_dscnt 0x0
	s_barrier_signal -1
	s_barrier_wait -1
	v_cmpx_gt_u32_e32 13, v0
	s_cbranch_execz .LBB88_502
; %bb.493:
	v_cmp_ne_u32_e32 vcc_lo, 1, v34
	s_cbranch_vccnz .LBB88_495
; %bb.494:
	v_cmp_eq_u32_e32 vcc_lo, 1, v0
	ds_load_b32 v28, v119
	v_cndmask_b32_e32 v27, v2, v3, vcc_lo
	v_cmp_eq_u32_e32 vcc_lo, 2, v0
	s_delay_alu instid0(VALU_DEP_2) | instskip(SKIP_1) | instid1(VALU_DEP_2)
	v_cndmask_b32_e32 v27, v27, v4, vcc_lo
	v_cmp_eq_u32_e32 vcc_lo, 3, v0
	v_cndmask_b32_e32 v27, v27, v5, vcc_lo
	v_cmp_eq_u32_e32 vcc_lo, 4, v0
	s_delay_alu instid0(VALU_DEP_2) | instskip(SKIP_1) | instid1(VALU_DEP_2)
	v_cndmask_b32_e32 v27, v27, v6, vcc_lo
	v_cmp_eq_u32_e32 vcc_lo, 5, v0
	;; [unrolled: 5-line block ×11, first 2 shown]
	v_cndmask_b32_e32 v27, v27, v25, vcc_lo
	v_cmp_eq_u32_e32 vcc_lo, 24, v0
	s_delay_alu instid0(VALU_DEP_2) | instskip(SKIP_1) | instid1(VALU_DEP_1)
	v_cndmask_b32_e32 v27, v27, v26, vcc_lo
	s_wait_dscnt 0x0
	v_mul_f32_e32 v27, v27, v28
	s_cbranch_execz .LBB88_496
	s_branch .LBB88_497
.LBB88_495:
                                        ; implicit-def: $vgpr27
.LBB88_496:
	ds_load_b32 v27, v119
.LBB88_497:
	s_mov_b32 s1, exec_lo
	v_cmpx_ne_u32_e32 12, v0
	s_cbranch_execz .LBB88_501
; %bb.498:
	v_mov_b64_e32 v[28:29], v[0:1]
	v_lshl_add_u32 v30, v0, 2, 0x74
	s_mov_b32 s2, 0
.LBB88_499:                             ; =>This Inner Loop Header: Depth=1
	s_delay_alu instid0(VALU_DEP_2)
	v_add_nc_u64_e32 v[28:29], 1, v[28:29]
	ds_load_b32 v32, v30
	v_add_nc_u32_e32 v30, 4, v30
	v_cmp_eq_u32_e32 vcc_lo, 1, v28
	v_cndmask_b32_e32 v31, v2, v3, vcc_lo
	v_cmp_eq_u32_e32 vcc_lo, 2, v28
	s_delay_alu instid0(VALU_DEP_2) | instskip(SKIP_1) | instid1(VALU_DEP_2)
	v_cndmask_b32_e32 v31, v31, v4, vcc_lo
	v_cmp_eq_u32_e32 vcc_lo, 3, v28
	v_cndmask_b32_e32 v31, v31, v5, vcc_lo
	v_cmp_eq_u32_e32 vcc_lo, 4, v28
	s_delay_alu instid0(VALU_DEP_2) | instskip(SKIP_1) | instid1(VALU_DEP_2)
	v_cndmask_b32_e32 v31, v31, v6, vcc_lo
	;; [unrolled: 5-line block ×11, first 2 shown]
	v_cmp_eq_u32_e32 vcc_lo, 23, v28
	v_cndmask_b32_e32 v31, v31, v25, vcc_lo
	v_cmp_eq_u32_e32 vcc_lo, 24, v28
	s_delay_alu instid0(VALU_DEP_2) | instskip(SKIP_2) | instid1(VALU_DEP_2)
	v_cndmask_b32_e32 v31, v31, v26, vcc_lo
	v_cmp_lt_u32_e32 vcc_lo, 11, v28
	s_wait_dscnt 0x0
	v_fmac_f32_e32 v27, v31, v32
	s_or_b32 s2, vcc_lo, s2
	s_delay_alu instid0(SALU_CYCLE_1)
	s_and_not1_b32 exec_lo, exec_lo, s2
	s_cbranch_execnz .LBB88_499
; %bb.500:
	s_or_b32 exec_lo, exec_lo, s2
.LBB88_501:
	s_delay_alu instid0(SALU_CYCLE_1)
	s_or_b32 exec_lo, exec_lo, s1
	v_mov_b32_e32 v15, 0
	ds_load_b32 v15, v15 offset:52
	s_wait_dscnt 0x0
	v_mul_f32_e32 v15, v27, v15
.LBB88_502:
	s_or_b32 exec_lo, exec_lo, s0
	s_delay_alu instid0(SALU_CYCLE_1)
	s_mov_b32 s0, exec_lo
	ds_store_b32 v119, v16
	s_wait_dscnt 0x0
	s_barrier_signal -1
	s_barrier_wait -1
	v_cmpx_gt_u32_e32 14, v0
	s_cbranch_execz .LBB88_512
; %bb.503:
	v_cmp_ne_u32_e32 vcc_lo, 1, v34
	s_cbranch_vccnz .LBB88_505
; %bb.504:
	v_cmp_eq_u32_e32 vcc_lo, 1, v0
	ds_load_b32 v28, v119
	v_cndmask_b32_e32 v27, v2, v3, vcc_lo
	v_cmp_eq_u32_e32 vcc_lo, 2, v0
	s_delay_alu instid0(VALU_DEP_2) | instskip(SKIP_1) | instid1(VALU_DEP_2)
	v_cndmask_b32_e32 v27, v27, v4, vcc_lo
	v_cmp_eq_u32_e32 vcc_lo, 3, v0
	v_cndmask_b32_e32 v27, v27, v5, vcc_lo
	v_cmp_eq_u32_e32 vcc_lo, 4, v0
	s_delay_alu instid0(VALU_DEP_2) | instskip(SKIP_1) | instid1(VALU_DEP_2)
	v_cndmask_b32_e32 v27, v27, v6, vcc_lo
	v_cmp_eq_u32_e32 vcc_lo, 5, v0
	v_cndmask_b32_e32 v27, v27, v7, vcc_lo
	v_cmp_eq_u32_e32 vcc_lo, 6, v0
	s_delay_alu instid0(VALU_DEP_2) | instskip(SKIP_1) | instid1(VALU_DEP_2)
	v_cndmask_b32_e32 v27, v27, v8, vcc_lo
	v_cmp_eq_u32_e32 vcc_lo, 7, v0
	v_cndmask_b32_e32 v27, v27, v9, vcc_lo
	v_cmp_eq_u32_e32 vcc_lo, 8, v0
	s_delay_alu instid0(VALU_DEP_2) | instskip(SKIP_1) | instid1(VALU_DEP_2)
	v_cndmask_b32_e32 v27, v27, v10, vcc_lo
	v_cmp_eq_u32_e32 vcc_lo, 9, v0
	v_cndmask_b32_e32 v27, v27, v11, vcc_lo
	v_cmp_eq_u32_e32 vcc_lo, 10, v0
	s_delay_alu instid0(VALU_DEP_2) | instskip(SKIP_1) | instid1(VALU_DEP_2)
	v_cndmask_b32_e32 v27, v27, v12, vcc_lo
	v_cmp_eq_u32_e32 vcc_lo, 11, v0
	v_cndmask_b32_e32 v27, v27, v13, vcc_lo
	v_cmp_eq_u32_e32 vcc_lo, 12, v0
	s_delay_alu instid0(VALU_DEP_2) | instskip(SKIP_1) | instid1(VALU_DEP_2)
	v_cndmask_b32_e32 v27, v27, v14, vcc_lo
	v_cmp_eq_u32_e32 vcc_lo, 13, v0
	v_cndmask_b32_e32 v27, v27, v15, vcc_lo
	v_cmp_eq_u32_e32 vcc_lo, 14, v0
	s_delay_alu instid0(VALU_DEP_2) | instskip(SKIP_1) | instid1(VALU_DEP_2)
	v_cndmask_b32_e32 v27, v27, v16, vcc_lo
	v_cmp_eq_u32_e32 vcc_lo, 15, v0
	v_cndmask_b32_e32 v27, v27, v17, vcc_lo
	v_cmp_eq_u32_e32 vcc_lo, 16, v0
	s_delay_alu instid0(VALU_DEP_2) | instskip(SKIP_1) | instid1(VALU_DEP_2)
	v_cndmask_b32_e32 v27, v27, v18, vcc_lo
	v_cmp_eq_u32_e32 vcc_lo, 17, v0
	v_cndmask_b32_e32 v27, v27, v19, vcc_lo
	v_cmp_eq_u32_e32 vcc_lo, 18, v0
	s_delay_alu instid0(VALU_DEP_2) | instskip(SKIP_1) | instid1(VALU_DEP_2)
	v_cndmask_b32_e32 v27, v27, v20, vcc_lo
	v_cmp_eq_u32_e32 vcc_lo, 19, v0
	v_cndmask_b32_e32 v27, v27, v21, vcc_lo
	v_cmp_eq_u32_e32 vcc_lo, 20, v0
	s_delay_alu instid0(VALU_DEP_2) | instskip(SKIP_1) | instid1(VALU_DEP_2)
	v_cndmask_b32_e32 v27, v27, v22, vcc_lo
	v_cmp_eq_u32_e32 vcc_lo, 21, v0
	v_cndmask_b32_e32 v27, v27, v23, vcc_lo
	v_cmp_eq_u32_e32 vcc_lo, 22, v0
	s_delay_alu instid0(VALU_DEP_2) | instskip(SKIP_1) | instid1(VALU_DEP_2)
	v_cndmask_b32_e32 v27, v27, v24, vcc_lo
	v_cmp_eq_u32_e32 vcc_lo, 23, v0
	v_cndmask_b32_e32 v27, v27, v25, vcc_lo
	v_cmp_eq_u32_e32 vcc_lo, 24, v0
	s_delay_alu instid0(VALU_DEP_2) | instskip(SKIP_1) | instid1(VALU_DEP_1)
	v_cndmask_b32_e32 v27, v27, v26, vcc_lo
	s_wait_dscnt 0x0
	v_mul_f32_e32 v27, v27, v28
	s_cbranch_execz .LBB88_506
	s_branch .LBB88_507
.LBB88_505:
                                        ; implicit-def: $vgpr27
.LBB88_506:
	ds_load_b32 v27, v119
.LBB88_507:
	s_mov_b32 s1, exec_lo
	v_cmpx_ne_u32_e32 13, v0
	s_cbranch_execz .LBB88_511
; %bb.508:
	v_mov_b64_e32 v[28:29], v[0:1]
	v_lshl_add_u32 v30, v0, 2, 0x74
	s_mov_b32 s2, 0
.LBB88_509:                             ; =>This Inner Loop Header: Depth=1
	s_delay_alu instid0(VALU_DEP_2)
	v_add_nc_u64_e32 v[28:29], 1, v[28:29]
	ds_load_b32 v32, v30
	v_add_nc_u32_e32 v30, 4, v30
	v_cmp_eq_u32_e32 vcc_lo, 1, v28
	v_cndmask_b32_e32 v31, v2, v3, vcc_lo
	v_cmp_eq_u32_e32 vcc_lo, 2, v28
	s_delay_alu instid0(VALU_DEP_2) | instskip(SKIP_1) | instid1(VALU_DEP_2)
	v_cndmask_b32_e32 v31, v31, v4, vcc_lo
	v_cmp_eq_u32_e32 vcc_lo, 3, v28
	v_cndmask_b32_e32 v31, v31, v5, vcc_lo
	v_cmp_eq_u32_e32 vcc_lo, 4, v28
	s_delay_alu instid0(VALU_DEP_2) | instskip(SKIP_1) | instid1(VALU_DEP_2)
	v_cndmask_b32_e32 v31, v31, v6, vcc_lo
	;; [unrolled: 5-line block ×11, first 2 shown]
	v_cmp_eq_u32_e32 vcc_lo, 23, v28
	v_cndmask_b32_e32 v31, v31, v25, vcc_lo
	v_cmp_eq_u32_e32 vcc_lo, 24, v28
	s_delay_alu instid0(VALU_DEP_2) | instskip(SKIP_2) | instid1(VALU_DEP_2)
	v_cndmask_b32_e32 v31, v31, v26, vcc_lo
	v_cmp_lt_u32_e32 vcc_lo, 12, v28
	s_wait_dscnt 0x0
	v_fmac_f32_e32 v27, v31, v32
	s_or_b32 s2, vcc_lo, s2
	s_delay_alu instid0(SALU_CYCLE_1)
	s_and_not1_b32 exec_lo, exec_lo, s2
	s_cbranch_execnz .LBB88_509
; %bb.510:
	s_or_b32 exec_lo, exec_lo, s2
.LBB88_511:
	s_delay_alu instid0(SALU_CYCLE_1)
	s_or_b32 exec_lo, exec_lo, s1
	v_mov_b32_e32 v16, 0
	ds_load_b32 v16, v16 offset:56
	s_wait_dscnt 0x0
	v_mul_f32_e32 v16, v27, v16
.LBB88_512:
	s_or_b32 exec_lo, exec_lo, s0
	s_delay_alu instid0(SALU_CYCLE_1)
	s_mov_b32 s0, exec_lo
	ds_store_b32 v119, v17
	s_wait_dscnt 0x0
	s_barrier_signal -1
	s_barrier_wait -1
	v_cmpx_gt_u32_e32 15, v0
	s_cbranch_execz .LBB88_522
; %bb.513:
	v_cmp_ne_u32_e32 vcc_lo, 1, v34
	s_cbranch_vccnz .LBB88_515
; %bb.514:
	v_cmp_eq_u32_e32 vcc_lo, 1, v0
	ds_load_b32 v28, v119
	v_cndmask_b32_e32 v27, v2, v3, vcc_lo
	v_cmp_eq_u32_e32 vcc_lo, 2, v0
	s_delay_alu instid0(VALU_DEP_2) | instskip(SKIP_1) | instid1(VALU_DEP_2)
	v_cndmask_b32_e32 v27, v27, v4, vcc_lo
	v_cmp_eq_u32_e32 vcc_lo, 3, v0
	v_cndmask_b32_e32 v27, v27, v5, vcc_lo
	v_cmp_eq_u32_e32 vcc_lo, 4, v0
	s_delay_alu instid0(VALU_DEP_2) | instskip(SKIP_1) | instid1(VALU_DEP_2)
	v_cndmask_b32_e32 v27, v27, v6, vcc_lo
	v_cmp_eq_u32_e32 vcc_lo, 5, v0
	;; [unrolled: 5-line block ×11, first 2 shown]
	v_cndmask_b32_e32 v27, v27, v25, vcc_lo
	v_cmp_eq_u32_e32 vcc_lo, 24, v0
	s_delay_alu instid0(VALU_DEP_2) | instskip(SKIP_1) | instid1(VALU_DEP_1)
	v_cndmask_b32_e32 v27, v27, v26, vcc_lo
	s_wait_dscnt 0x0
	v_mul_f32_e32 v27, v27, v28
	s_cbranch_execz .LBB88_516
	s_branch .LBB88_517
.LBB88_515:
                                        ; implicit-def: $vgpr27
.LBB88_516:
	ds_load_b32 v27, v119
.LBB88_517:
	s_mov_b32 s1, exec_lo
	v_cmpx_ne_u32_e32 14, v0
	s_cbranch_execz .LBB88_521
; %bb.518:
	v_mov_b64_e32 v[28:29], v[0:1]
	v_lshl_add_u32 v30, v0, 2, 0x74
	s_mov_b32 s2, 0
.LBB88_519:                             ; =>This Inner Loop Header: Depth=1
	s_delay_alu instid0(VALU_DEP_2)
	v_add_nc_u64_e32 v[28:29], 1, v[28:29]
	ds_load_b32 v32, v30
	v_add_nc_u32_e32 v30, 4, v30
	v_cmp_eq_u32_e32 vcc_lo, 1, v28
	v_cndmask_b32_e32 v31, v2, v3, vcc_lo
	v_cmp_eq_u32_e32 vcc_lo, 2, v28
	s_delay_alu instid0(VALU_DEP_2) | instskip(SKIP_1) | instid1(VALU_DEP_2)
	v_cndmask_b32_e32 v31, v31, v4, vcc_lo
	v_cmp_eq_u32_e32 vcc_lo, 3, v28
	v_cndmask_b32_e32 v31, v31, v5, vcc_lo
	v_cmp_eq_u32_e32 vcc_lo, 4, v28
	s_delay_alu instid0(VALU_DEP_2) | instskip(SKIP_1) | instid1(VALU_DEP_2)
	v_cndmask_b32_e32 v31, v31, v6, vcc_lo
	v_cmp_eq_u32_e32 vcc_lo, 5, v28
	v_cndmask_b32_e32 v31, v31, v7, vcc_lo
	v_cmp_eq_u32_e32 vcc_lo, 6, v28
	s_delay_alu instid0(VALU_DEP_2) | instskip(SKIP_1) | instid1(VALU_DEP_2)
	v_cndmask_b32_e32 v31, v31, v8, vcc_lo
	v_cmp_eq_u32_e32 vcc_lo, 7, v28
	v_cndmask_b32_e32 v31, v31, v9, vcc_lo
	v_cmp_eq_u32_e32 vcc_lo, 8, v28
	s_delay_alu instid0(VALU_DEP_2) | instskip(SKIP_1) | instid1(VALU_DEP_2)
	v_cndmask_b32_e32 v31, v31, v10, vcc_lo
	v_cmp_eq_u32_e32 vcc_lo, 9, v28
	v_cndmask_b32_e32 v31, v31, v11, vcc_lo
	v_cmp_eq_u32_e32 vcc_lo, 10, v28
	s_delay_alu instid0(VALU_DEP_2) | instskip(SKIP_1) | instid1(VALU_DEP_2)
	v_cndmask_b32_e32 v31, v31, v12, vcc_lo
	v_cmp_eq_u32_e32 vcc_lo, 11, v28
	v_cndmask_b32_e32 v31, v31, v13, vcc_lo
	v_cmp_eq_u32_e32 vcc_lo, 12, v28
	s_delay_alu instid0(VALU_DEP_2) | instskip(SKIP_1) | instid1(VALU_DEP_2)
	v_cndmask_b32_e32 v31, v31, v14, vcc_lo
	v_cmp_eq_u32_e32 vcc_lo, 13, v28
	v_cndmask_b32_e32 v31, v31, v15, vcc_lo
	v_cmp_eq_u32_e32 vcc_lo, 14, v28
	s_delay_alu instid0(VALU_DEP_2) | instskip(SKIP_1) | instid1(VALU_DEP_2)
	v_cndmask_b32_e32 v31, v31, v16, vcc_lo
	v_cmp_eq_u32_e32 vcc_lo, 15, v28
	v_cndmask_b32_e32 v31, v31, v17, vcc_lo
	v_cmp_eq_u32_e32 vcc_lo, 16, v28
	s_delay_alu instid0(VALU_DEP_2) | instskip(SKIP_1) | instid1(VALU_DEP_2)
	v_cndmask_b32_e32 v31, v31, v18, vcc_lo
	v_cmp_eq_u32_e32 vcc_lo, 17, v28
	v_cndmask_b32_e32 v31, v31, v19, vcc_lo
	v_cmp_eq_u32_e32 vcc_lo, 18, v28
	s_delay_alu instid0(VALU_DEP_2) | instskip(SKIP_1) | instid1(VALU_DEP_2)
	v_cndmask_b32_e32 v31, v31, v20, vcc_lo
	v_cmp_eq_u32_e32 vcc_lo, 19, v28
	v_cndmask_b32_e32 v31, v31, v21, vcc_lo
	v_cmp_eq_u32_e32 vcc_lo, 20, v28
	s_delay_alu instid0(VALU_DEP_2) | instskip(SKIP_1) | instid1(VALU_DEP_2)
	v_cndmask_b32_e32 v31, v31, v22, vcc_lo
	v_cmp_eq_u32_e32 vcc_lo, 21, v28
	v_cndmask_b32_e32 v31, v31, v23, vcc_lo
	v_cmp_eq_u32_e32 vcc_lo, 22, v28
	s_delay_alu instid0(VALU_DEP_2) | instskip(SKIP_1) | instid1(VALU_DEP_2)
	v_cndmask_b32_e32 v31, v31, v24, vcc_lo
	v_cmp_eq_u32_e32 vcc_lo, 23, v28
	v_cndmask_b32_e32 v31, v31, v25, vcc_lo
	v_cmp_eq_u32_e32 vcc_lo, 24, v28
	s_delay_alu instid0(VALU_DEP_2) | instskip(SKIP_2) | instid1(VALU_DEP_2)
	v_cndmask_b32_e32 v31, v31, v26, vcc_lo
	v_cmp_lt_u32_e32 vcc_lo, 13, v28
	s_wait_dscnt 0x0
	v_fmac_f32_e32 v27, v31, v32
	s_or_b32 s2, vcc_lo, s2
	s_delay_alu instid0(SALU_CYCLE_1)
	s_and_not1_b32 exec_lo, exec_lo, s2
	s_cbranch_execnz .LBB88_519
; %bb.520:
	s_or_b32 exec_lo, exec_lo, s2
.LBB88_521:
	s_delay_alu instid0(SALU_CYCLE_1)
	s_or_b32 exec_lo, exec_lo, s1
	v_mov_b32_e32 v17, 0
	ds_load_b32 v17, v17 offset:60
	s_wait_dscnt 0x0
	v_mul_f32_e32 v17, v27, v17
.LBB88_522:
	s_or_b32 exec_lo, exec_lo, s0
	s_delay_alu instid0(SALU_CYCLE_1)
	s_mov_b32 s0, exec_lo
	ds_store_b32 v119, v18
	s_wait_dscnt 0x0
	s_barrier_signal -1
	s_barrier_wait -1
	v_cmpx_gt_u32_e32 16, v0
	s_cbranch_execz .LBB88_532
; %bb.523:
	v_cmp_ne_u32_e32 vcc_lo, 1, v34
	s_cbranch_vccnz .LBB88_525
; %bb.524:
	v_cmp_eq_u32_e32 vcc_lo, 1, v0
	ds_load_b32 v28, v119
	v_cndmask_b32_e32 v27, v2, v3, vcc_lo
	v_cmp_eq_u32_e32 vcc_lo, 2, v0
	s_delay_alu instid0(VALU_DEP_2) | instskip(SKIP_1) | instid1(VALU_DEP_2)
	v_cndmask_b32_e32 v27, v27, v4, vcc_lo
	v_cmp_eq_u32_e32 vcc_lo, 3, v0
	v_cndmask_b32_e32 v27, v27, v5, vcc_lo
	v_cmp_eq_u32_e32 vcc_lo, 4, v0
	s_delay_alu instid0(VALU_DEP_2) | instskip(SKIP_1) | instid1(VALU_DEP_2)
	v_cndmask_b32_e32 v27, v27, v6, vcc_lo
	v_cmp_eq_u32_e32 vcc_lo, 5, v0
	;; [unrolled: 5-line block ×11, first 2 shown]
	v_cndmask_b32_e32 v27, v27, v25, vcc_lo
	v_cmp_eq_u32_e32 vcc_lo, 24, v0
	s_delay_alu instid0(VALU_DEP_2) | instskip(SKIP_1) | instid1(VALU_DEP_1)
	v_cndmask_b32_e32 v27, v27, v26, vcc_lo
	s_wait_dscnt 0x0
	v_mul_f32_e32 v27, v27, v28
	s_cbranch_execz .LBB88_526
	s_branch .LBB88_527
.LBB88_525:
                                        ; implicit-def: $vgpr27
.LBB88_526:
	ds_load_b32 v27, v119
.LBB88_527:
	s_mov_b32 s1, exec_lo
	v_cmpx_ne_u32_e32 15, v0
	s_cbranch_execz .LBB88_531
; %bb.528:
	v_mov_b64_e32 v[28:29], v[0:1]
	v_lshl_add_u32 v30, v0, 2, 0x74
	s_mov_b32 s2, 0
.LBB88_529:                             ; =>This Inner Loop Header: Depth=1
	s_delay_alu instid0(VALU_DEP_2)
	v_add_nc_u64_e32 v[28:29], 1, v[28:29]
	ds_load_b32 v32, v30
	v_add_nc_u32_e32 v30, 4, v30
	v_cmp_eq_u32_e32 vcc_lo, 1, v28
	v_cndmask_b32_e32 v31, v2, v3, vcc_lo
	v_cmp_eq_u32_e32 vcc_lo, 2, v28
	s_delay_alu instid0(VALU_DEP_2) | instskip(SKIP_1) | instid1(VALU_DEP_2)
	v_cndmask_b32_e32 v31, v31, v4, vcc_lo
	v_cmp_eq_u32_e32 vcc_lo, 3, v28
	v_cndmask_b32_e32 v31, v31, v5, vcc_lo
	v_cmp_eq_u32_e32 vcc_lo, 4, v28
	s_delay_alu instid0(VALU_DEP_2) | instskip(SKIP_1) | instid1(VALU_DEP_2)
	v_cndmask_b32_e32 v31, v31, v6, vcc_lo
	;; [unrolled: 5-line block ×11, first 2 shown]
	v_cmp_eq_u32_e32 vcc_lo, 23, v28
	v_cndmask_b32_e32 v31, v31, v25, vcc_lo
	v_cmp_eq_u32_e32 vcc_lo, 24, v28
	s_delay_alu instid0(VALU_DEP_2) | instskip(SKIP_2) | instid1(VALU_DEP_2)
	v_cndmask_b32_e32 v31, v31, v26, vcc_lo
	v_cmp_lt_u32_e32 vcc_lo, 14, v28
	s_wait_dscnt 0x0
	v_fmac_f32_e32 v27, v31, v32
	s_or_b32 s2, vcc_lo, s2
	s_delay_alu instid0(SALU_CYCLE_1)
	s_and_not1_b32 exec_lo, exec_lo, s2
	s_cbranch_execnz .LBB88_529
; %bb.530:
	s_or_b32 exec_lo, exec_lo, s2
.LBB88_531:
	s_delay_alu instid0(SALU_CYCLE_1)
	s_or_b32 exec_lo, exec_lo, s1
	v_mov_b32_e32 v18, 0
	ds_load_b32 v18, v18 offset:64
	s_wait_dscnt 0x0
	v_mul_f32_e32 v18, v27, v18
.LBB88_532:
	s_or_b32 exec_lo, exec_lo, s0
	s_delay_alu instid0(SALU_CYCLE_1)
	s_mov_b32 s0, exec_lo
	ds_store_b32 v119, v19
	s_wait_dscnt 0x0
	s_barrier_signal -1
	s_barrier_wait -1
	v_cmpx_gt_u32_e32 17, v0
	s_cbranch_execz .LBB88_542
; %bb.533:
	v_cmp_ne_u32_e32 vcc_lo, 1, v34
	s_cbranch_vccnz .LBB88_535
; %bb.534:
	v_cmp_eq_u32_e32 vcc_lo, 1, v0
	ds_load_b32 v28, v119
	v_cndmask_b32_e32 v27, v2, v3, vcc_lo
	v_cmp_eq_u32_e32 vcc_lo, 2, v0
	s_delay_alu instid0(VALU_DEP_2) | instskip(SKIP_1) | instid1(VALU_DEP_2)
	v_cndmask_b32_e32 v27, v27, v4, vcc_lo
	v_cmp_eq_u32_e32 vcc_lo, 3, v0
	v_cndmask_b32_e32 v27, v27, v5, vcc_lo
	v_cmp_eq_u32_e32 vcc_lo, 4, v0
	s_delay_alu instid0(VALU_DEP_2) | instskip(SKIP_1) | instid1(VALU_DEP_2)
	v_cndmask_b32_e32 v27, v27, v6, vcc_lo
	v_cmp_eq_u32_e32 vcc_lo, 5, v0
	v_cndmask_b32_e32 v27, v27, v7, vcc_lo
	v_cmp_eq_u32_e32 vcc_lo, 6, v0
	s_delay_alu instid0(VALU_DEP_2) | instskip(SKIP_1) | instid1(VALU_DEP_2)
	v_cndmask_b32_e32 v27, v27, v8, vcc_lo
	v_cmp_eq_u32_e32 vcc_lo, 7, v0
	v_cndmask_b32_e32 v27, v27, v9, vcc_lo
	v_cmp_eq_u32_e32 vcc_lo, 8, v0
	s_delay_alu instid0(VALU_DEP_2) | instskip(SKIP_1) | instid1(VALU_DEP_2)
	v_cndmask_b32_e32 v27, v27, v10, vcc_lo
	v_cmp_eq_u32_e32 vcc_lo, 9, v0
	v_cndmask_b32_e32 v27, v27, v11, vcc_lo
	v_cmp_eq_u32_e32 vcc_lo, 10, v0
	s_delay_alu instid0(VALU_DEP_2) | instskip(SKIP_1) | instid1(VALU_DEP_2)
	v_cndmask_b32_e32 v27, v27, v12, vcc_lo
	v_cmp_eq_u32_e32 vcc_lo, 11, v0
	v_cndmask_b32_e32 v27, v27, v13, vcc_lo
	v_cmp_eq_u32_e32 vcc_lo, 12, v0
	s_delay_alu instid0(VALU_DEP_2) | instskip(SKIP_1) | instid1(VALU_DEP_2)
	v_cndmask_b32_e32 v27, v27, v14, vcc_lo
	v_cmp_eq_u32_e32 vcc_lo, 13, v0
	v_cndmask_b32_e32 v27, v27, v15, vcc_lo
	v_cmp_eq_u32_e32 vcc_lo, 14, v0
	s_delay_alu instid0(VALU_DEP_2) | instskip(SKIP_1) | instid1(VALU_DEP_2)
	v_cndmask_b32_e32 v27, v27, v16, vcc_lo
	v_cmp_eq_u32_e32 vcc_lo, 15, v0
	v_cndmask_b32_e32 v27, v27, v17, vcc_lo
	v_cmp_eq_u32_e32 vcc_lo, 16, v0
	s_delay_alu instid0(VALU_DEP_2) | instskip(SKIP_1) | instid1(VALU_DEP_2)
	v_cndmask_b32_e32 v27, v27, v18, vcc_lo
	v_cmp_eq_u32_e32 vcc_lo, 17, v0
	v_cndmask_b32_e32 v27, v27, v19, vcc_lo
	v_cmp_eq_u32_e32 vcc_lo, 18, v0
	s_delay_alu instid0(VALU_DEP_2) | instskip(SKIP_1) | instid1(VALU_DEP_2)
	v_cndmask_b32_e32 v27, v27, v20, vcc_lo
	v_cmp_eq_u32_e32 vcc_lo, 19, v0
	v_cndmask_b32_e32 v27, v27, v21, vcc_lo
	v_cmp_eq_u32_e32 vcc_lo, 20, v0
	s_delay_alu instid0(VALU_DEP_2) | instskip(SKIP_1) | instid1(VALU_DEP_2)
	v_cndmask_b32_e32 v27, v27, v22, vcc_lo
	v_cmp_eq_u32_e32 vcc_lo, 21, v0
	v_cndmask_b32_e32 v27, v27, v23, vcc_lo
	v_cmp_eq_u32_e32 vcc_lo, 22, v0
	s_delay_alu instid0(VALU_DEP_2) | instskip(SKIP_1) | instid1(VALU_DEP_2)
	v_cndmask_b32_e32 v27, v27, v24, vcc_lo
	v_cmp_eq_u32_e32 vcc_lo, 23, v0
	v_cndmask_b32_e32 v27, v27, v25, vcc_lo
	v_cmp_eq_u32_e32 vcc_lo, 24, v0
	s_delay_alu instid0(VALU_DEP_2) | instskip(SKIP_1) | instid1(VALU_DEP_1)
	v_cndmask_b32_e32 v27, v27, v26, vcc_lo
	s_wait_dscnt 0x0
	v_mul_f32_e32 v27, v27, v28
	s_cbranch_execz .LBB88_536
	s_branch .LBB88_537
.LBB88_535:
                                        ; implicit-def: $vgpr27
.LBB88_536:
	ds_load_b32 v27, v119
.LBB88_537:
	s_mov_b32 s1, exec_lo
	v_cmpx_ne_u32_e32 16, v0
	s_cbranch_execz .LBB88_541
; %bb.538:
	v_mov_b64_e32 v[28:29], v[0:1]
	v_lshl_add_u32 v30, v0, 2, 0x74
	s_mov_b32 s2, 0
.LBB88_539:                             ; =>This Inner Loop Header: Depth=1
	s_delay_alu instid0(VALU_DEP_2)
	v_add_nc_u64_e32 v[28:29], 1, v[28:29]
	ds_load_b32 v32, v30
	v_add_nc_u32_e32 v30, 4, v30
	v_cmp_eq_u32_e32 vcc_lo, 1, v28
	v_cndmask_b32_e32 v31, v2, v3, vcc_lo
	v_cmp_eq_u32_e32 vcc_lo, 2, v28
	s_delay_alu instid0(VALU_DEP_2) | instskip(SKIP_1) | instid1(VALU_DEP_2)
	v_cndmask_b32_e32 v31, v31, v4, vcc_lo
	v_cmp_eq_u32_e32 vcc_lo, 3, v28
	v_cndmask_b32_e32 v31, v31, v5, vcc_lo
	v_cmp_eq_u32_e32 vcc_lo, 4, v28
	s_delay_alu instid0(VALU_DEP_2) | instskip(SKIP_1) | instid1(VALU_DEP_2)
	v_cndmask_b32_e32 v31, v31, v6, vcc_lo
	;; [unrolled: 5-line block ×11, first 2 shown]
	v_cmp_eq_u32_e32 vcc_lo, 23, v28
	v_cndmask_b32_e32 v31, v31, v25, vcc_lo
	v_cmp_eq_u32_e32 vcc_lo, 24, v28
	s_delay_alu instid0(VALU_DEP_2) | instskip(SKIP_2) | instid1(VALU_DEP_2)
	v_cndmask_b32_e32 v31, v31, v26, vcc_lo
	v_cmp_lt_u32_e32 vcc_lo, 15, v28
	s_wait_dscnt 0x0
	v_fmac_f32_e32 v27, v31, v32
	s_or_b32 s2, vcc_lo, s2
	s_delay_alu instid0(SALU_CYCLE_1)
	s_and_not1_b32 exec_lo, exec_lo, s2
	s_cbranch_execnz .LBB88_539
; %bb.540:
	s_or_b32 exec_lo, exec_lo, s2
.LBB88_541:
	s_delay_alu instid0(SALU_CYCLE_1)
	s_or_b32 exec_lo, exec_lo, s1
	v_mov_b32_e32 v19, 0
	ds_load_b32 v19, v19 offset:68
	s_wait_dscnt 0x0
	v_mul_f32_e32 v19, v27, v19
.LBB88_542:
	s_or_b32 exec_lo, exec_lo, s0
	s_delay_alu instid0(SALU_CYCLE_1)
	s_mov_b32 s0, exec_lo
	ds_store_b32 v119, v20
	s_wait_dscnt 0x0
	s_barrier_signal -1
	s_barrier_wait -1
	v_cmpx_gt_u32_e32 18, v0
	s_cbranch_execz .LBB88_552
; %bb.543:
	v_cmp_ne_u32_e32 vcc_lo, 1, v34
	s_cbranch_vccnz .LBB88_545
; %bb.544:
	v_cmp_eq_u32_e32 vcc_lo, 1, v0
	ds_load_b32 v28, v119
	v_cndmask_b32_e32 v27, v2, v3, vcc_lo
	v_cmp_eq_u32_e32 vcc_lo, 2, v0
	s_delay_alu instid0(VALU_DEP_2) | instskip(SKIP_1) | instid1(VALU_DEP_2)
	v_cndmask_b32_e32 v27, v27, v4, vcc_lo
	v_cmp_eq_u32_e32 vcc_lo, 3, v0
	v_cndmask_b32_e32 v27, v27, v5, vcc_lo
	v_cmp_eq_u32_e32 vcc_lo, 4, v0
	s_delay_alu instid0(VALU_DEP_2) | instskip(SKIP_1) | instid1(VALU_DEP_2)
	v_cndmask_b32_e32 v27, v27, v6, vcc_lo
	v_cmp_eq_u32_e32 vcc_lo, 5, v0
	;; [unrolled: 5-line block ×11, first 2 shown]
	v_cndmask_b32_e32 v27, v27, v25, vcc_lo
	v_cmp_eq_u32_e32 vcc_lo, 24, v0
	s_delay_alu instid0(VALU_DEP_2) | instskip(SKIP_1) | instid1(VALU_DEP_1)
	v_cndmask_b32_e32 v27, v27, v26, vcc_lo
	s_wait_dscnt 0x0
	v_mul_f32_e32 v27, v27, v28
	s_cbranch_execz .LBB88_546
	s_branch .LBB88_547
.LBB88_545:
                                        ; implicit-def: $vgpr27
.LBB88_546:
	ds_load_b32 v27, v119
.LBB88_547:
	s_mov_b32 s1, exec_lo
	v_cmpx_ne_u32_e32 17, v0
	s_cbranch_execz .LBB88_551
; %bb.548:
	v_mov_b64_e32 v[28:29], v[0:1]
	v_lshl_add_u32 v30, v0, 2, 0x74
	s_mov_b32 s2, 0
.LBB88_549:                             ; =>This Inner Loop Header: Depth=1
	s_delay_alu instid0(VALU_DEP_2)
	v_add_nc_u64_e32 v[28:29], 1, v[28:29]
	ds_load_b32 v32, v30
	v_add_nc_u32_e32 v30, 4, v30
	v_cmp_eq_u32_e32 vcc_lo, 1, v28
	v_cndmask_b32_e32 v31, v2, v3, vcc_lo
	v_cmp_eq_u32_e32 vcc_lo, 2, v28
	s_delay_alu instid0(VALU_DEP_2) | instskip(SKIP_1) | instid1(VALU_DEP_2)
	v_cndmask_b32_e32 v31, v31, v4, vcc_lo
	v_cmp_eq_u32_e32 vcc_lo, 3, v28
	v_cndmask_b32_e32 v31, v31, v5, vcc_lo
	v_cmp_eq_u32_e32 vcc_lo, 4, v28
	s_delay_alu instid0(VALU_DEP_2) | instskip(SKIP_1) | instid1(VALU_DEP_2)
	v_cndmask_b32_e32 v31, v31, v6, vcc_lo
	;; [unrolled: 5-line block ×11, first 2 shown]
	v_cmp_eq_u32_e32 vcc_lo, 23, v28
	v_cndmask_b32_e32 v31, v31, v25, vcc_lo
	v_cmp_eq_u32_e32 vcc_lo, 24, v28
	s_delay_alu instid0(VALU_DEP_2) | instskip(SKIP_2) | instid1(VALU_DEP_2)
	v_cndmask_b32_e32 v31, v31, v26, vcc_lo
	v_cmp_lt_u32_e32 vcc_lo, 16, v28
	s_wait_dscnt 0x0
	v_fmac_f32_e32 v27, v31, v32
	s_or_b32 s2, vcc_lo, s2
	s_delay_alu instid0(SALU_CYCLE_1)
	s_and_not1_b32 exec_lo, exec_lo, s2
	s_cbranch_execnz .LBB88_549
; %bb.550:
	s_or_b32 exec_lo, exec_lo, s2
.LBB88_551:
	s_delay_alu instid0(SALU_CYCLE_1)
	s_or_b32 exec_lo, exec_lo, s1
	v_mov_b32_e32 v20, 0
	ds_load_b32 v20, v20 offset:72
	s_wait_dscnt 0x0
	v_mul_f32_e32 v20, v27, v20
.LBB88_552:
	s_or_b32 exec_lo, exec_lo, s0
	s_delay_alu instid0(SALU_CYCLE_1)
	s_mov_b32 s0, exec_lo
	ds_store_b32 v119, v21
	s_wait_dscnt 0x0
	s_barrier_signal -1
	s_barrier_wait -1
	v_cmpx_gt_u32_e32 19, v0
	s_cbranch_execz .LBB88_562
; %bb.553:
	v_cmp_ne_u32_e32 vcc_lo, 1, v34
	s_cbranch_vccnz .LBB88_555
; %bb.554:
	v_cmp_eq_u32_e32 vcc_lo, 1, v0
	ds_load_b32 v28, v119
	v_cndmask_b32_e32 v27, v2, v3, vcc_lo
	v_cmp_eq_u32_e32 vcc_lo, 2, v0
	s_delay_alu instid0(VALU_DEP_2) | instskip(SKIP_1) | instid1(VALU_DEP_2)
	v_cndmask_b32_e32 v27, v27, v4, vcc_lo
	v_cmp_eq_u32_e32 vcc_lo, 3, v0
	v_cndmask_b32_e32 v27, v27, v5, vcc_lo
	v_cmp_eq_u32_e32 vcc_lo, 4, v0
	s_delay_alu instid0(VALU_DEP_2) | instskip(SKIP_1) | instid1(VALU_DEP_2)
	v_cndmask_b32_e32 v27, v27, v6, vcc_lo
	v_cmp_eq_u32_e32 vcc_lo, 5, v0
	;; [unrolled: 5-line block ×11, first 2 shown]
	v_cndmask_b32_e32 v27, v27, v25, vcc_lo
	v_cmp_eq_u32_e32 vcc_lo, 24, v0
	s_delay_alu instid0(VALU_DEP_2) | instskip(SKIP_1) | instid1(VALU_DEP_1)
	v_cndmask_b32_e32 v27, v27, v26, vcc_lo
	s_wait_dscnt 0x0
	v_mul_f32_e32 v27, v27, v28
	s_cbranch_execz .LBB88_556
	s_branch .LBB88_557
.LBB88_555:
                                        ; implicit-def: $vgpr27
.LBB88_556:
	ds_load_b32 v27, v119
.LBB88_557:
	s_mov_b32 s1, exec_lo
	v_cmpx_ne_u32_e32 18, v0
	s_cbranch_execz .LBB88_561
; %bb.558:
	v_mov_b64_e32 v[28:29], v[0:1]
	v_lshl_add_u32 v30, v0, 2, 0x74
	s_mov_b32 s2, 0
.LBB88_559:                             ; =>This Inner Loop Header: Depth=1
	s_delay_alu instid0(VALU_DEP_2)
	v_add_nc_u64_e32 v[28:29], 1, v[28:29]
	ds_load_b32 v32, v30
	v_add_nc_u32_e32 v30, 4, v30
	v_cmp_eq_u32_e32 vcc_lo, 1, v28
	v_cndmask_b32_e32 v31, v2, v3, vcc_lo
	v_cmp_eq_u32_e32 vcc_lo, 2, v28
	s_delay_alu instid0(VALU_DEP_2) | instskip(SKIP_1) | instid1(VALU_DEP_2)
	v_cndmask_b32_e32 v31, v31, v4, vcc_lo
	v_cmp_eq_u32_e32 vcc_lo, 3, v28
	v_cndmask_b32_e32 v31, v31, v5, vcc_lo
	v_cmp_eq_u32_e32 vcc_lo, 4, v28
	s_delay_alu instid0(VALU_DEP_2) | instskip(SKIP_1) | instid1(VALU_DEP_2)
	v_cndmask_b32_e32 v31, v31, v6, vcc_lo
	;; [unrolled: 5-line block ×11, first 2 shown]
	v_cmp_eq_u32_e32 vcc_lo, 23, v28
	v_cndmask_b32_e32 v31, v31, v25, vcc_lo
	v_cmp_eq_u32_e32 vcc_lo, 24, v28
	s_delay_alu instid0(VALU_DEP_2) | instskip(SKIP_2) | instid1(VALU_DEP_2)
	v_cndmask_b32_e32 v31, v31, v26, vcc_lo
	v_cmp_lt_u32_e32 vcc_lo, 17, v28
	s_wait_dscnt 0x0
	v_fmac_f32_e32 v27, v31, v32
	s_or_b32 s2, vcc_lo, s2
	s_delay_alu instid0(SALU_CYCLE_1)
	s_and_not1_b32 exec_lo, exec_lo, s2
	s_cbranch_execnz .LBB88_559
; %bb.560:
	s_or_b32 exec_lo, exec_lo, s2
.LBB88_561:
	s_delay_alu instid0(SALU_CYCLE_1)
	s_or_b32 exec_lo, exec_lo, s1
	v_mov_b32_e32 v21, 0
	ds_load_b32 v21, v21 offset:76
	s_wait_dscnt 0x0
	v_mul_f32_e32 v21, v27, v21
.LBB88_562:
	s_or_b32 exec_lo, exec_lo, s0
	s_delay_alu instid0(SALU_CYCLE_1)
	s_mov_b32 s0, exec_lo
	ds_store_b32 v119, v22
	s_wait_dscnt 0x0
	s_barrier_signal -1
	s_barrier_wait -1
	v_cmpx_gt_u32_e32 20, v0
	s_cbranch_execz .LBB88_572
; %bb.563:
	v_cmp_ne_u32_e32 vcc_lo, 1, v34
	s_cbranch_vccnz .LBB88_565
; %bb.564:
	v_cmp_eq_u32_e32 vcc_lo, 1, v0
	ds_load_b32 v28, v119
	v_cndmask_b32_e32 v27, v2, v3, vcc_lo
	v_cmp_eq_u32_e32 vcc_lo, 2, v0
	s_delay_alu instid0(VALU_DEP_2) | instskip(SKIP_1) | instid1(VALU_DEP_2)
	v_cndmask_b32_e32 v27, v27, v4, vcc_lo
	v_cmp_eq_u32_e32 vcc_lo, 3, v0
	v_cndmask_b32_e32 v27, v27, v5, vcc_lo
	v_cmp_eq_u32_e32 vcc_lo, 4, v0
	s_delay_alu instid0(VALU_DEP_2) | instskip(SKIP_1) | instid1(VALU_DEP_2)
	v_cndmask_b32_e32 v27, v27, v6, vcc_lo
	v_cmp_eq_u32_e32 vcc_lo, 5, v0
	;; [unrolled: 5-line block ×11, first 2 shown]
	v_cndmask_b32_e32 v27, v27, v25, vcc_lo
	v_cmp_eq_u32_e32 vcc_lo, 24, v0
	s_delay_alu instid0(VALU_DEP_2) | instskip(SKIP_1) | instid1(VALU_DEP_1)
	v_cndmask_b32_e32 v27, v27, v26, vcc_lo
	s_wait_dscnt 0x0
	v_mul_f32_e32 v27, v27, v28
	s_cbranch_execz .LBB88_566
	s_branch .LBB88_567
.LBB88_565:
                                        ; implicit-def: $vgpr27
.LBB88_566:
	ds_load_b32 v27, v119
.LBB88_567:
	s_mov_b32 s1, exec_lo
	v_cmpx_ne_u32_e32 19, v0
	s_cbranch_execz .LBB88_571
; %bb.568:
	v_mov_b64_e32 v[28:29], v[0:1]
	v_lshl_add_u32 v30, v0, 2, 0x74
	s_mov_b32 s2, 0
.LBB88_569:                             ; =>This Inner Loop Header: Depth=1
	s_delay_alu instid0(VALU_DEP_2)
	v_add_nc_u64_e32 v[28:29], 1, v[28:29]
	ds_load_b32 v32, v30
	v_add_nc_u32_e32 v30, 4, v30
	v_cmp_eq_u32_e32 vcc_lo, 1, v28
	v_cndmask_b32_e32 v31, v2, v3, vcc_lo
	v_cmp_eq_u32_e32 vcc_lo, 2, v28
	s_delay_alu instid0(VALU_DEP_2) | instskip(SKIP_1) | instid1(VALU_DEP_2)
	v_cndmask_b32_e32 v31, v31, v4, vcc_lo
	v_cmp_eq_u32_e32 vcc_lo, 3, v28
	v_cndmask_b32_e32 v31, v31, v5, vcc_lo
	v_cmp_eq_u32_e32 vcc_lo, 4, v28
	s_delay_alu instid0(VALU_DEP_2) | instskip(SKIP_1) | instid1(VALU_DEP_2)
	v_cndmask_b32_e32 v31, v31, v6, vcc_lo
	;; [unrolled: 5-line block ×11, first 2 shown]
	v_cmp_eq_u32_e32 vcc_lo, 23, v28
	v_cndmask_b32_e32 v31, v31, v25, vcc_lo
	v_cmp_eq_u32_e32 vcc_lo, 24, v28
	s_delay_alu instid0(VALU_DEP_2) | instskip(SKIP_2) | instid1(VALU_DEP_2)
	v_cndmask_b32_e32 v31, v31, v26, vcc_lo
	v_cmp_lt_u32_e32 vcc_lo, 18, v28
	s_wait_dscnt 0x0
	v_fmac_f32_e32 v27, v31, v32
	s_or_b32 s2, vcc_lo, s2
	s_delay_alu instid0(SALU_CYCLE_1)
	s_and_not1_b32 exec_lo, exec_lo, s2
	s_cbranch_execnz .LBB88_569
; %bb.570:
	s_or_b32 exec_lo, exec_lo, s2
.LBB88_571:
	s_delay_alu instid0(SALU_CYCLE_1)
	s_or_b32 exec_lo, exec_lo, s1
	v_mov_b32_e32 v22, 0
	ds_load_b32 v22, v22 offset:80
	s_wait_dscnt 0x0
	v_mul_f32_e32 v22, v27, v22
.LBB88_572:
	s_or_b32 exec_lo, exec_lo, s0
	s_delay_alu instid0(SALU_CYCLE_1)
	s_mov_b32 s0, exec_lo
	ds_store_b32 v119, v23
	s_wait_dscnt 0x0
	s_barrier_signal -1
	s_barrier_wait -1
	v_cmpx_gt_u32_e32 21, v0
	s_cbranch_execz .LBB88_582
; %bb.573:
	v_cmp_ne_u32_e32 vcc_lo, 1, v34
	s_cbranch_vccnz .LBB88_575
; %bb.574:
	v_cmp_eq_u32_e32 vcc_lo, 1, v0
	ds_load_b32 v28, v119
	v_cndmask_b32_e32 v27, v2, v3, vcc_lo
	v_cmp_eq_u32_e32 vcc_lo, 2, v0
	s_delay_alu instid0(VALU_DEP_2) | instskip(SKIP_1) | instid1(VALU_DEP_2)
	v_cndmask_b32_e32 v27, v27, v4, vcc_lo
	v_cmp_eq_u32_e32 vcc_lo, 3, v0
	v_cndmask_b32_e32 v27, v27, v5, vcc_lo
	v_cmp_eq_u32_e32 vcc_lo, 4, v0
	s_delay_alu instid0(VALU_DEP_2) | instskip(SKIP_1) | instid1(VALU_DEP_2)
	v_cndmask_b32_e32 v27, v27, v6, vcc_lo
	v_cmp_eq_u32_e32 vcc_lo, 5, v0
	;; [unrolled: 5-line block ×11, first 2 shown]
	v_cndmask_b32_e32 v27, v27, v25, vcc_lo
	v_cmp_eq_u32_e32 vcc_lo, 24, v0
	s_delay_alu instid0(VALU_DEP_2) | instskip(SKIP_1) | instid1(VALU_DEP_1)
	v_cndmask_b32_e32 v27, v27, v26, vcc_lo
	s_wait_dscnt 0x0
	v_mul_f32_e32 v27, v27, v28
	s_cbranch_execz .LBB88_576
	s_branch .LBB88_577
.LBB88_575:
                                        ; implicit-def: $vgpr27
.LBB88_576:
	ds_load_b32 v27, v119
.LBB88_577:
	s_mov_b32 s1, exec_lo
	v_cmpx_ne_u32_e32 20, v0
	s_cbranch_execz .LBB88_581
; %bb.578:
	v_mov_b64_e32 v[28:29], v[0:1]
	v_lshl_add_u32 v30, v0, 2, 0x74
	s_mov_b32 s2, 0
.LBB88_579:                             ; =>This Inner Loop Header: Depth=1
	s_delay_alu instid0(VALU_DEP_2)
	v_add_nc_u64_e32 v[28:29], 1, v[28:29]
	ds_load_b32 v32, v30
	v_add_nc_u32_e32 v30, 4, v30
	v_cmp_eq_u32_e32 vcc_lo, 1, v28
	v_cndmask_b32_e32 v31, v2, v3, vcc_lo
	v_cmp_eq_u32_e32 vcc_lo, 2, v28
	s_delay_alu instid0(VALU_DEP_2) | instskip(SKIP_1) | instid1(VALU_DEP_2)
	v_cndmask_b32_e32 v31, v31, v4, vcc_lo
	v_cmp_eq_u32_e32 vcc_lo, 3, v28
	v_cndmask_b32_e32 v31, v31, v5, vcc_lo
	v_cmp_eq_u32_e32 vcc_lo, 4, v28
	s_delay_alu instid0(VALU_DEP_2) | instskip(SKIP_1) | instid1(VALU_DEP_2)
	v_cndmask_b32_e32 v31, v31, v6, vcc_lo
	;; [unrolled: 5-line block ×11, first 2 shown]
	v_cmp_eq_u32_e32 vcc_lo, 23, v28
	v_cndmask_b32_e32 v31, v31, v25, vcc_lo
	v_cmp_eq_u32_e32 vcc_lo, 24, v28
	s_delay_alu instid0(VALU_DEP_2) | instskip(SKIP_2) | instid1(VALU_DEP_2)
	v_cndmask_b32_e32 v31, v31, v26, vcc_lo
	v_cmp_lt_u32_e32 vcc_lo, 19, v28
	s_wait_dscnt 0x0
	v_fmac_f32_e32 v27, v31, v32
	s_or_b32 s2, vcc_lo, s2
	s_delay_alu instid0(SALU_CYCLE_1)
	s_and_not1_b32 exec_lo, exec_lo, s2
	s_cbranch_execnz .LBB88_579
; %bb.580:
	s_or_b32 exec_lo, exec_lo, s2
.LBB88_581:
	s_delay_alu instid0(SALU_CYCLE_1)
	s_or_b32 exec_lo, exec_lo, s1
	v_mov_b32_e32 v23, 0
	ds_load_b32 v23, v23 offset:84
	s_wait_dscnt 0x0
	v_mul_f32_e32 v23, v27, v23
.LBB88_582:
	s_or_b32 exec_lo, exec_lo, s0
	s_delay_alu instid0(SALU_CYCLE_1)
	s_mov_b32 s0, exec_lo
	ds_store_b32 v119, v24
	s_wait_dscnt 0x0
	s_barrier_signal -1
	s_barrier_wait -1
	v_cmpx_gt_u32_e32 22, v0
	s_cbranch_execz .LBB88_592
; %bb.583:
	v_cmp_ne_u32_e32 vcc_lo, 1, v34
	s_cbranch_vccnz .LBB88_585
; %bb.584:
	v_cmp_eq_u32_e32 vcc_lo, 1, v0
	ds_load_b32 v28, v119
	v_cndmask_b32_e32 v27, v2, v3, vcc_lo
	v_cmp_eq_u32_e32 vcc_lo, 2, v0
	s_delay_alu instid0(VALU_DEP_2) | instskip(SKIP_1) | instid1(VALU_DEP_2)
	v_cndmask_b32_e32 v27, v27, v4, vcc_lo
	v_cmp_eq_u32_e32 vcc_lo, 3, v0
	v_cndmask_b32_e32 v27, v27, v5, vcc_lo
	v_cmp_eq_u32_e32 vcc_lo, 4, v0
	s_delay_alu instid0(VALU_DEP_2) | instskip(SKIP_1) | instid1(VALU_DEP_2)
	v_cndmask_b32_e32 v27, v27, v6, vcc_lo
	v_cmp_eq_u32_e32 vcc_lo, 5, v0
	;; [unrolled: 5-line block ×11, first 2 shown]
	v_cndmask_b32_e32 v27, v27, v25, vcc_lo
	v_cmp_eq_u32_e32 vcc_lo, 24, v0
	s_delay_alu instid0(VALU_DEP_2) | instskip(SKIP_1) | instid1(VALU_DEP_1)
	v_cndmask_b32_e32 v27, v27, v26, vcc_lo
	s_wait_dscnt 0x0
	v_mul_f32_e32 v27, v27, v28
	s_cbranch_execz .LBB88_586
	s_branch .LBB88_587
.LBB88_585:
                                        ; implicit-def: $vgpr27
.LBB88_586:
	ds_load_b32 v27, v119
.LBB88_587:
	s_mov_b32 s1, exec_lo
	v_cmpx_ne_u32_e32 21, v0
	s_cbranch_execz .LBB88_591
; %bb.588:
	v_mov_b64_e32 v[28:29], v[0:1]
	v_lshl_add_u32 v30, v0, 2, 0x74
	s_mov_b32 s2, 0
.LBB88_589:                             ; =>This Inner Loop Header: Depth=1
	s_delay_alu instid0(VALU_DEP_2)
	v_add_nc_u64_e32 v[28:29], 1, v[28:29]
	ds_load_b32 v32, v30
	v_add_nc_u32_e32 v30, 4, v30
	v_cmp_eq_u32_e32 vcc_lo, 1, v28
	v_cndmask_b32_e32 v31, v2, v3, vcc_lo
	v_cmp_eq_u32_e32 vcc_lo, 2, v28
	s_delay_alu instid0(VALU_DEP_2) | instskip(SKIP_1) | instid1(VALU_DEP_2)
	v_cndmask_b32_e32 v31, v31, v4, vcc_lo
	v_cmp_eq_u32_e32 vcc_lo, 3, v28
	v_cndmask_b32_e32 v31, v31, v5, vcc_lo
	v_cmp_eq_u32_e32 vcc_lo, 4, v28
	s_delay_alu instid0(VALU_DEP_2) | instskip(SKIP_1) | instid1(VALU_DEP_2)
	v_cndmask_b32_e32 v31, v31, v6, vcc_lo
	;; [unrolled: 5-line block ×11, first 2 shown]
	v_cmp_eq_u32_e32 vcc_lo, 23, v28
	v_cndmask_b32_e32 v31, v31, v25, vcc_lo
	v_cmp_eq_u32_e32 vcc_lo, 24, v28
	s_delay_alu instid0(VALU_DEP_2) | instskip(SKIP_2) | instid1(VALU_DEP_2)
	v_cndmask_b32_e32 v31, v31, v26, vcc_lo
	v_cmp_lt_u32_e32 vcc_lo, 20, v28
	s_wait_dscnt 0x0
	v_fmac_f32_e32 v27, v31, v32
	s_or_b32 s2, vcc_lo, s2
	s_delay_alu instid0(SALU_CYCLE_1)
	s_and_not1_b32 exec_lo, exec_lo, s2
	s_cbranch_execnz .LBB88_589
; %bb.590:
	s_or_b32 exec_lo, exec_lo, s2
.LBB88_591:
	s_delay_alu instid0(SALU_CYCLE_1)
	s_or_b32 exec_lo, exec_lo, s1
	v_mov_b32_e32 v24, 0
	ds_load_b32 v24, v24 offset:88
	s_wait_dscnt 0x0
	v_mul_f32_e32 v24, v27, v24
.LBB88_592:
	s_or_b32 exec_lo, exec_lo, s0
	v_cmp_gt_u32_e64 s0, 23, v0
	ds_store_b32 v119, v25
	s_wait_dscnt 0x0
	s_barrier_signal -1
	s_barrier_wait -1
	s_and_saveexec_b32 s1, s0
	s_cbranch_execz .LBB88_602
; %bb.593:
	v_cmp_ne_u32_e32 vcc_lo, 1, v34
	s_cbranch_vccnz .LBB88_595
; %bb.594:
	v_cmp_eq_u32_e32 vcc_lo, 1, v0
	ds_load_b32 v28, v119
	v_cndmask_b32_e32 v27, v2, v3, vcc_lo
	v_cmp_eq_u32_e32 vcc_lo, 2, v0
	s_delay_alu instid0(VALU_DEP_2) | instskip(SKIP_1) | instid1(VALU_DEP_2)
	v_cndmask_b32_e32 v27, v27, v4, vcc_lo
	v_cmp_eq_u32_e32 vcc_lo, 3, v0
	v_cndmask_b32_e32 v27, v27, v5, vcc_lo
	v_cmp_eq_u32_e32 vcc_lo, 4, v0
	s_delay_alu instid0(VALU_DEP_2) | instskip(SKIP_1) | instid1(VALU_DEP_2)
	v_cndmask_b32_e32 v27, v27, v6, vcc_lo
	v_cmp_eq_u32_e32 vcc_lo, 5, v0
	;; [unrolled: 5-line block ×11, first 2 shown]
	v_cndmask_b32_e32 v27, v27, v25, vcc_lo
	v_cmp_eq_u32_e32 vcc_lo, 24, v0
	s_delay_alu instid0(VALU_DEP_2) | instskip(SKIP_1) | instid1(VALU_DEP_1)
	v_cndmask_b32_e32 v27, v27, v26, vcc_lo
	s_wait_dscnt 0x0
	v_mul_f32_e32 v27, v27, v28
	s_cbranch_execz .LBB88_596
	s_branch .LBB88_597
.LBB88_595:
                                        ; implicit-def: $vgpr27
.LBB88_596:
	ds_load_b32 v27, v119
.LBB88_597:
	s_mov_b32 s2, exec_lo
	v_cmpx_ne_u32_e32 22, v0
	s_cbranch_execz .LBB88_601
; %bb.598:
	v_mov_b64_e32 v[28:29], v[0:1]
	v_lshl_add_u32 v30, v0, 2, 0x74
	s_mov_b32 s3, 0
.LBB88_599:                             ; =>This Inner Loop Header: Depth=1
	s_delay_alu instid0(VALU_DEP_2)
	v_add_nc_u64_e32 v[28:29], 1, v[28:29]
	ds_load_b32 v32, v30
	v_add_nc_u32_e32 v30, 4, v30
	v_cmp_eq_u32_e32 vcc_lo, 1, v28
	v_cndmask_b32_e32 v31, v2, v3, vcc_lo
	v_cmp_eq_u32_e32 vcc_lo, 2, v28
	s_delay_alu instid0(VALU_DEP_2) | instskip(SKIP_1) | instid1(VALU_DEP_2)
	v_cndmask_b32_e32 v31, v31, v4, vcc_lo
	v_cmp_eq_u32_e32 vcc_lo, 3, v28
	v_cndmask_b32_e32 v31, v31, v5, vcc_lo
	v_cmp_eq_u32_e32 vcc_lo, 4, v28
	s_delay_alu instid0(VALU_DEP_2) | instskip(SKIP_1) | instid1(VALU_DEP_2)
	v_cndmask_b32_e32 v31, v31, v6, vcc_lo
	;; [unrolled: 5-line block ×11, first 2 shown]
	v_cmp_eq_u32_e32 vcc_lo, 23, v28
	v_cndmask_b32_e32 v31, v31, v25, vcc_lo
	v_cmp_eq_u32_e32 vcc_lo, 24, v28
	s_delay_alu instid0(VALU_DEP_2) | instskip(SKIP_2) | instid1(VALU_DEP_2)
	v_cndmask_b32_e32 v31, v31, v26, vcc_lo
	v_cmp_lt_u32_e32 vcc_lo, 21, v28
	s_wait_dscnt 0x0
	v_fmac_f32_e32 v27, v31, v32
	s_or_b32 s3, vcc_lo, s3
	s_delay_alu instid0(SALU_CYCLE_1)
	s_and_not1_b32 exec_lo, exec_lo, s3
	s_cbranch_execnz .LBB88_599
; %bb.600:
	s_or_b32 exec_lo, exec_lo, s3
.LBB88_601:
	s_delay_alu instid0(SALU_CYCLE_1)
	s_or_b32 exec_lo, exec_lo, s2
	v_mov_b32_e32 v25, 0
	ds_load_b32 v25, v25 offset:92
	s_wait_dscnt 0x0
	v_mul_f32_e32 v25, v27, v25
.LBB88_602:
	s_or_b32 exec_lo, exec_lo, s1
	s_delay_alu instid0(SALU_CYCLE_1)
	s_mov_b32 s1, exec_lo
	ds_store_b32 v119, v26
	s_wait_dscnt 0x0
	s_barrier_signal -1
	s_barrier_wait -1
	v_cmpx_ne_u32_e32 24, v0
	s_cbranch_execz .LBB88_612
; %bb.603:
	v_cmp_ne_u32_e32 vcc_lo, 1, v34
	s_cbranch_vccnz .LBB88_605
; %bb.604:
	v_cmp_eq_u32_e32 vcc_lo, 1, v0
	ds_load_b32 v28, v119
	v_cndmask_b32_e32 v27, v2, v3, vcc_lo
	v_cmp_eq_u32_e32 vcc_lo, 2, v0
	s_delay_alu instid0(VALU_DEP_2) | instskip(SKIP_1) | instid1(VALU_DEP_2)
	v_cndmask_b32_e32 v27, v27, v4, vcc_lo
	v_cmp_eq_u32_e32 vcc_lo, 3, v0
	v_cndmask_b32_e32 v27, v27, v5, vcc_lo
	v_cmp_eq_u32_e32 vcc_lo, 4, v0
	s_delay_alu instid0(VALU_DEP_2) | instskip(SKIP_1) | instid1(VALU_DEP_2)
	v_cndmask_b32_e32 v27, v27, v6, vcc_lo
	v_cmp_eq_u32_e32 vcc_lo, 5, v0
	v_cndmask_b32_e32 v27, v27, v7, vcc_lo
	v_cmp_eq_u32_e32 vcc_lo, 6, v0
	s_delay_alu instid0(VALU_DEP_2) | instskip(SKIP_1) | instid1(VALU_DEP_2)
	v_cndmask_b32_e32 v27, v27, v8, vcc_lo
	v_cmp_eq_u32_e32 vcc_lo, 7, v0
	v_cndmask_b32_e32 v27, v27, v9, vcc_lo
	v_cmp_eq_u32_e32 vcc_lo, 8, v0
	s_delay_alu instid0(VALU_DEP_2) | instskip(SKIP_1) | instid1(VALU_DEP_2)
	v_cndmask_b32_e32 v27, v27, v10, vcc_lo
	v_cmp_eq_u32_e32 vcc_lo, 9, v0
	v_cndmask_b32_e32 v27, v27, v11, vcc_lo
	v_cmp_eq_u32_e32 vcc_lo, 10, v0
	s_delay_alu instid0(VALU_DEP_2) | instskip(SKIP_1) | instid1(VALU_DEP_2)
	v_cndmask_b32_e32 v27, v27, v12, vcc_lo
	v_cmp_eq_u32_e32 vcc_lo, 11, v0
	v_cndmask_b32_e32 v27, v27, v13, vcc_lo
	v_cmp_eq_u32_e32 vcc_lo, 12, v0
	s_delay_alu instid0(VALU_DEP_2) | instskip(SKIP_1) | instid1(VALU_DEP_2)
	v_cndmask_b32_e32 v27, v27, v14, vcc_lo
	v_cmp_eq_u32_e32 vcc_lo, 13, v0
	v_cndmask_b32_e32 v27, v27, v15, vcc_lo
	v_cmp_eq_u32_e32 vcc_lo, 14, v0
	s_delay_alu instid0(VALU_DEP_2) | instskip(SKIP_1) | instid1(VALU_DEP_2)
	v_cndmask_b32_e32 v27, v27, v16, vcc_lo
	v_cmp_eq_u32_e32 vcc_lo, 15, v0
	v_cndmask_b32_e32 v27, v27, v17, vcc_lo
	v_cmp_eq_u32_e32 vcc_lo, 16, v0
	s_delay_alu instid0(VALU_DEP_2) | instskip(SKIP_1) | instid1(VALU_DEP_2)
	v_cndmask_b32_e32 v27, v27, v18, vcc_lo
	v_cmp_eq_u32_e32 vcc_lo, 17, v0
	v_cndmask_b32_e32 v27, v27, v19, vcc_lo
	v_cmp_eq_u32_e32 vcc_lo, 18, v0
	s_delay_alu instid0(VALU_DEP_2) | instskip(SKIP_1) | instid1(VALU_DEP_2)
	v_cndmask_b32_e32 v27, v27, v20, vcc_lo
	v_cmp_eq_u32_e32 vcc_lo, 19, v0
	v_cndmask_b32_e32 v27, v27, v21, vcc_lo
	v_cmp_eq_u32_e32 vcc_lo, 20, v0
	s_delay_alu instid0(VALU_DEP_2) | instskip(SKIP_1) | instid1(VALU_DEP_2)
	v_cndmask_b32_e32 v27, v27, v22, vcc_lo
	v_cmp_eq_u32_e32 vcc_lo, 21, v0
	v_cndmask_b32_e32 v27, v27, v23, vcc_lo
	v_cmp_eq_u32_e32 vcc_lo, 22, v0
	s_delay_alu instid0(VALU_DEP_2) | instskip(SKIP_1) | instid1(VALU_DEP_2)
	v_cndmask_b32_e32 v27, v27, v24, vcc_lo
	v_cmp_eq_u32_e32 vcc_lo, 23, v0
	v_cndmask_b32_e32 v27, v27, v25, vcc_lo
	v_cmp_eq_u32_e32 vcc_lo, 24, v0
	s_delay_alu instid0(VALU_DEP_2) | instskip(SKIP_1) | instid1(VALU_DEP_1)
	v_cndmask_b32_e32 v27, v27, v26, vcc_lo
	s_wait_dscnt 0x0
	v_mul_f32_e32 v27, v27, v28
	s_cbranch_execz .LBB88_606
	s_branch .LBB88_607
.LBB88_605:
                                        ; implicit-def: $vgpr27
.LBB88_606:
	ds_load_b32 v27, v119
.LBB88_607:
	s_and_saveexec_b32 s2, s0
	s_cbranch_execz .LBB88_611
; %bb.608:
	v_lshl_add_u32 v28, v0, 2, 0x74
	s_mov_b32 s0, 0
.LBB88_609:                             ; =>This Inner Loop Header: Depth=1
	v_add_nc_u64_e32 v[0:1], 1, v[0:1]
	ds_load_b32 v30, v28
	v_add_nc_u32_e32 v28, 4, v28
	v_cmp_eq_u32_e32 vcc_lo, 1, v0
	v_cndmask_b32_e32 v29, v2, v3, vcc_lo
	v_cmp_eq_u32_e32 vcc_lo, 2, v0
	s_delay_alu instid0(VALU_DEP_2) | instskip(SKIP_1) | instid1(VALU_DEP_2)
	v_cndmask_b32_e32 v29, v29, v4, vcc_lo
	v_cmp_eq_u32_e32 vcc_lo, 3, v0
	v_cndmask_b32_e32 v29, v29, v5, vcc_lo
	v_cmp_eq_u32_e32 vcc_lo, 4, v0
	s_delay_alu instid0(VALU_DEP_2) | instskip(SKIP_1) | instid1(VALU_DEP_2)
	v_cndmask_b32_e32 v29, v29, v6, vcc_lo
	;; [unrolled: 5-line block ×11, first 2 shown]
	v_cmp_eq_u32_e32 vcc_lo, 23, v0
	v_cndmask_b32_e32 v29, v29, v25, vcc_lo
	v_cmp_eq_u32_e32 vcc_lo, 24, v0
	s_delay_alu instid0(VALU_DEP_2) | instskip(SKIP_2) | instid1(VALU_DEP_2)
	v_cndmask_b32_e32 v29, v29, v26, vcc_lo
	v_cmp_lt_u32_e32 vcc_lo, 22, v0
	s_wait_dscnt 0x0
	v_fmac_f32_e32 v27, v29, v30
	s_or_b32 s0, vcc_lo, s0
	s_delay_alu instid0(SALU_CYCLE_1)
	s_and_not1_b32 exec_lo, exec_lo, s0
	s_cbranch_execnz .LBB88_609
; %bb.610:
	s_or_b32 exec_lo, exec_lo, s0
.LBB88_611:
	s_delay_alu instid0(SALU_CYCLE_1)
	s_or_b32 exec_lo, exec_lo, s2
	v_mov_b32_e32 v0, 0
	ds_load_b32 v0, v0 offset:96
	s_wait_dscnt 0x0
	v_mul_f32_e32 v26, v27, v0
.LBB88_612:
	s_or_b32 exec_lo, exec_lo, s1
	v_mov_b64_e32 v[64:65], v[32:33]
	s_delay_alu instid0(VALU_DEP_2)
	v_mov_b64_e32 v[58:59], v[26:27]
	v_mov_b64_e32 v[56:57], v[24:25]
	;; [unrolled: 1-line block ×15, first 2 shown]
.LBB88_613:
	s_wait_xcnt 0x18
	v_lshl_add_u64 v[0:1], v[66:67], 2, s[26:27]
	s_wait_loadcnt_dscnt 0x1718
	v_lshl_add_u64 v[2:3], v[68:69], 2, s[26:27]
	s_wait_loadcnt_dscnt 0x1516
	;; [unrolled: 2-line block ×13, first 2 shown]
	v_lshl_add_u64 v[26:27], v[92:93], 2, s[26:27]
	v_lshl_add_u64 v[28:29], v[94:95], 2, s[26:27]
	;; [unrolled: 1-line block ×10, first 2 shown]
	s_clause 0x18
	flat_store_b32 v[98:99], v34
	flat_store_b32 v[102:103], v35
	;; [unrolled: 1-line block ×25, first 2 shown]
.LBB88_614:
	s_sendmsg sendmsg(MSG_DEALLOC_VGPRS)
	s_endpgm
	.section	.rodata,"a",@progbits
	.p2align	6, 0x0
	.amdhsa_kernel _ZN9rocsolver6v33100L18trti2_kernel_smallILi25EfPKPfEEv13rocblas_fill_17rocblas_diagonal_T1_iil
		.amdhsa_group_segment_fixed_size 212
		.amdhsa_private_segment_fixed_size 0
		.amdhsa_kernarg_size 32
		.amdhsa_user_sgpr_count 2
		.amdhsa_user_sgpr_dispatch_ptr 0
		.amdhsa_user_sgpr_queue_ptr 0
		.amdhsa_user_sgpr_kernarg_segment_ptr 1
		.amdhsa_user_sgpr_dispatch_id 0
		.amdhsa_user_sgpr_kernarg_preload_length 0
		.amdhsa_user_sgpr_kernarg_preload_offset 0
		.amdhsa_user_sgpr_private_segment_size 0
		.amdhsa_wavefront_size32 1
		.amdhsa_uses_dynamic_stack 0
		.amdhsa_enable_private_segment 0
		.amdhsa_system_sgpr_workgroup_id_x 1
		.amdhsa_system_sgpr_workgroup_id_y 0
		.amdhsa_system_sgpr_workgroup_id_z 0
		.amdhsa_system_sgpr_workgroup_info 0
		.amdhsa_system_vgpr_workitem_id 0
		.amdhsa_next_free_vgpr 131
		.amdhsa_next_free_sgpr 32
		.amdhsa_named_barrier_count 0
		.amdhsa_reserve_vcc 1
		.amdhsa_float_round_mode_32 0
		.amdhsa_float_round_mode_16_64 0
		.amdhsa_float_denorm_mode_32 3
		.amdhsa_float_denorm_mode_16_64 3
		.amdhsa_fp16_overflow 0
		.amdhsa_memory_ordered 1
		.amdhsa_forward_progress 1
		.amdhsa_inst_pref_size 255
		.amdhsa_round_robin_scheduling 0
		.amdhsa_exception_fp_ieee_invalid_op 0
		.amdhsa_exception_fp_denorm_src 0
		.amdhsa_exception_fp_ieee_div_zero 0
		.amdhsa_exception_fp_ieee_overflow 0
		.amdhsa_exception_fp_ieee_underflow 0
		.amdhsa_exception_fp_ieee_inexact 0
		.amdhsa_exception_int_div_zero 0
	.end_amdhsa_kernel
	.section	.text._ZN9rocsolver6v33100L18trti2_kernel_smallILi25EfPKPfEEv13rocblas_fill_17rocblas_diagonal_T1_iil,"axG",@progbits,_ZN9rocsolver6v33100L18trti2_kernel_smallILi25EfPKPfEEv13rocblas_fill_17rocblas_diagonal_T1_iil,comdat
.Lfunc_end88:
	.size	_ZN9rocsolver6v33100L18trti2_kernel_smallILi25EfPKPfEEv13rocblas_fill_17rocblas_diagonal_T1_iil, .Lfunc_end88-_ZN9rocsolver6v33100L18trti2_kernel_smallILi25EfPKPfEEv13rocblas_fill_17rocblas_diagonal_T1_iil
                                        ; -- End function
	.set _ZN9rocsolver6v33100L18trti2_kernel_smallILi25EfPKPfEEv13rocblas_fill_17rocblas_diagonal_T1_iil.num_vgpr, 131
	.set _ZN9rocsolver6v33100L18trti2_kernel_smallILi25EfPKPfEEv13rocblas_fill_17rocblas_diagonal_T1_iil.num_agpr, 0
	.set _ZN9rocsolver6v33100L18trti2_kernel_smallILi25EfPKPfEEv13rocblas_fill_17rocblas_diagonal_T1_iil.numbered_sgpr, 32
	.set _ZN9rocsolver6v33100L18trti2_kernel_smallILi25EfPKPfEEv13rocblas_fill_17rocblas_diagonal_T1_iil.num_named_barrier, 0
	.set _ZN9rocsolver6v33100L18trti2_kernel_smallILi25EfPKPfEEv13rocblas_fill_17rocblas_diagonal_T1_iil.private_seg_size, 0
	.set _ZN9rocsolver6v33100L18trti2_kernel_smallILi25EfPKPfEEv13rocblas_fill_17rocblas_diagonal_T1_iil.uses_vcc, 1
	.set _ZN9rocsolver6v33100L18trti2_kernel_smallILi25EfPKPfEEv13rocblas_fill_17rocblas_diagonal_T1_iil.uses_flat_scratch, 1
	.set _ZN9rocsolver6v33100L18trti2_kernel_smallILi25EfPKPfEEv13rocblas_fill_17rocblas_diagonal_T1_iil.has_dyn_sized_stack, 0
	.set _ZN9rocsolver6v33100L18trti2_kernel_smallILi25EfPKPfEEv13rocblas_fill_17rocblas_diagonal_T1_iil.has_recursion, 0
	.set _ZN9rocsolver6v33100L18trti2_kernel_smallILi25EfPKPfEEv13rocblas_fill_17rocblas_diagonal_T1_iil.has_indirect_call, 0
	.section	.AMDGPU.csdata,"",@progbits
; Kernel info:
; codeLenInByte = 41172
; TotalNumSgprs: 34
; NumVgprs: 131
; ScratchSize: 0
; MemoryBound: 0
; FloatMode: 240
; IeeeMode: 1
; LDSByteSize: 212 bytes/workgroup (compile time only)
; SGPRBlocks: 0
; VGPRBlocks: 8
; NumSGPRsForWavesPerEU: 34
; NumVGPRsForWavesPerEU: 131
; NamedBarCnt: 0
; Occupancy: 7
; WaveLimiterHint : 1
; COMPUTE_PGM_RSRC2:SCRATCH_EN: 0
; COMPUTE_PGM_RSRC2:USER_SGPR: 2
; COMPUTE_PGM_RSRC2:TRAP_HANDLER: 0
; COMPUTE_PGM_RSRC2:TGID_X_EN: 1
; COMPUTE_PGM_RSRC2:TGID_Y_EN: 0
; COMPUTE_PGM_RSRC2:TGID_Z_EN: 0
; COMPUTE_PGM_RSRC2:TIDIG_COMP_CNT: 0
	.section	.text._ZN9rocsolver6v33100L18trti2_kernel_smallILi26EfPKPfEEv13rocblas_fill_17rocblas_diagonal_T1_iil,"axG",@progbits,_ZN9rocsolver6v33100L18trti2_kernel_smallILi26EfPKPfEEv13rocblas_fill_17rocblas_diagonal_T1_iil,comdat
	.globl	_ZN9rocsolver6v33100L18trti2_kernel_smallILi26EfPKPfEEv13rocblas_fill_17rocblas_diagonal_T1_iil ; -- Begin function _ZN9rocsolver6v33100L18trti2_kernel_smallILi26EfPKPfEEv13rocblas_fill_17rocblas_diagonal_T1_iil
	.p2align	8
	.type	_ZN9rocsolver6v33100L18trti2_kernel_smallILi26EfPKPfEEv13rocblas_fill_17rocblas_diagonal_T1_iil,@function
_ZN9rocsolver6v33100L18trti2_kernel_smallILi26EfPKPfEEv13rocblas_fill_17rocblas_diagonal_T1_iil: ; @_ZN9rocsolver6v33100L18trti2_kernel_smallILi26EfPKPfEEv13rocblas_fill_17rocblas_diagonal_T1_iil
; %bb.0:
	s_mov_b32 s2, exec_lo
	v_cmpx_gt_u32_e32 26, v0
	s_cbranch_execz .LBB89_640
; %bb.1:
	s_clause 0x1
	s_load_b64 s[2:3], s[0:1], 0x10
	s_load_b128 s[28:31], s[0:1], 0x0
	s_wait_xcnt 0x0
	s_bfe_u32 s0, ttmp6, 0x4000c
	s_and_b32 s1, ttmp6, 15
	s_add_co_i32 s0, s0, 1
	s_getreg_b32 s4, hwreg(HW_REG_IB_STS2, 6, 4)
	s_mul_i32 s0, ttmp9, s0
	v_mov_b32_e32 v1, 0
	s_add_co_i32 s0, s1, s0
	s_delay_alu instid0(VALU_DEP_1)
	v_dual_mov_b32 v35, v1 :: v_dual_lshlrev_b32 v34, 2, v0
	s_wait_kmcnt 0x0
	v_add3_u32 v66, s3, s3, v0
	s_ashr_i32 s1, s2, 31
	s_cmp_eq_u32 s4, 0
	s_cselect_b32 s4, ttmp9, s0
	s_delay_alu instid0(VALU_DEP_1)
	v_add_nc_u32_e32 v68, s3, v66
	s_ashr_i32 s5, s4, 31
	s_mov_b32 s0, s2
	s_lshl_b64 s[4:5], s[4:5], 3
	s_lshl_b64 s[0:1], s[0:1], 2
	v_add_nc_u32_e32 v70, s3, v68
	s_add_nc_u64 s[4:5], s[30:31], s[4:5]
	s_load_b64 s[4:5], s[4:5], 0x0
	s_delay_alu instid0(VALU_DEP_1) | instskip(NEXT) | instid1(VALU_DEP_1)
	v_add_nc_u32_e32 v72, s3, v70
	v_add_nc_u32_e32 v74, s3, v72
	s_delay_alu instid0(VALU_DEP_1) | instskip(NEXT) | instid1(VALU_DEP_1)
	v_add_nc_u32_e32 v76, s3, v74
	v_add_nc_u32_e32 v78, s3, v76
	s_wait_kmcnt 0x0
	s_add_nc_u64 s[26:27], s[4:5], s[0:1]
	s_mov_b32 s0, s3
	s_delay_alu instid0(VALU_DEP_1)
	v_add_nc_u32_e32 v80, s3, v78
	s_ashr_i32 s1, s3, 31
	s_cmp_lg_u32 s29, 0x84
	v_add_nc_u64_e32 v[100:101], s[26:27], v[34:35]
	s_cselect_b32 s30, -1, 0
	v_add_nc_u32_e32 v82, s3, v80
	s_cmp_eq_u32 s29, 0x84
	s_delay_alu instid0(VALU_DEP_1) | instskip(NEXT) | instid1(VALU_DEP_3)
	v_dual_mov_b32 v35, -1.0 :: v_dual_add_nc_u32 v84, s3, v82
	v_lshl_add_u64 v[104:105], s[0:1], 2, v[100:101]
	s_clause 0x7
	flat_load_b32 v3, v[104:105]
	flat_load_b32 v4, v66, s[26:27] scale_offset
	flat_load_b32 v5, v68, s[26:27] scale_offset
	;; [unrolled: 1-line block ×7, first 2 shown]
	v_add_nc_u32_e32 v86, s3, v84
	v_cmp_eq_u32_e64 s0, 0, v0
	s_delay_alu instid0(VALU_DEP_2) | instskip(NEXT) | instid1(VALU_DEP_1)
	v_add_nc_u32_e32 v88, s3, v86
	v_add_nc_u32_e32 v90, s3, v88
	s_delay_alu instid0(VALU_DEP_1) | instskip(NEXT) | instid1(VALU_DEP_1)
	v_add_nc_u32_e32 v92, s3, v90
	v_add_nc_u32_e32 v94, s3, v92
	s_delay_alu instid0(VALU_DEP_1) | instskip(NEXT) | instid1(VALU_DEP_1)
	v_add_nc_u32_e32 v96, s3, v94
	v_add_nc_u32_e32 v98, s3, v96
	s_clause 0x7
	flat_load_b32 v11, v80, s[26:27] scale_offset
	flat_load_b32 v12, v82, s[26:27] scale_offset
	;; [unrolled: 1-line block ×8, first 2 shown]
	v_add_nc_u32_e32 v102, s3, v98
	s_delay_alu instid0(VALU_DEP_1) | instskip(NEXT) | instid1(VALU_DEP_1)
	v_add_nc_u32_e32 v106, s3, v102
	v_add_nc_u32_e32 v108, s3, v106
	s_delay_alu instid0(VALU_DEP_1) | instskip(NEXT) | instid1(VALU_DEP_1)
	v_add_nc_u32_e32 v110, s3, v108
	;; [unrolled: 3-line block ×3, first 2 shown]
	v_add_nc_u32_e32 v116, s3, v114
	s_clause 0x9
	flat_load_b32 v19, v96, s[26:27] scale_offset
	flat_load_b32 v20, v98, s[26:27] scale_offset
	;; [unrolled: 1-line block ×10, first 2 shown]
	s_cbranch_scc1 .LBB89_3
; %bb.2:
	v_cmp_eq_u32_e64 s1, 1, v0
	v_cmp_eq_u32_e64 s2, 2, v0
	;; [unrolled: 1-line block ×5, first 2 shown]
	s_wait_loadcnt_dscnt 0x101
	v_cndmask_b32_e64 v28, v2, v3, s1
	v_cmp_eq_u32_e64 s6, 6, v0
	v_cmp_eq_u32_e64 s7, 7, v0
	v_cmp_eq_u32_e64 s8, 8, v0
	v_cmp_eq_u32_e64 s9, 9, v0
	v_cndmask_b32_e64 v28, v28, v4, s2
	v_cmp_eq_u32_e64 s10, 10, v0
	v_cmp_eq_u32_e64 s11, 11, v0
	v_cmp_eq_u32_e64 s12, 12, v0
	v_cmp_eq_u32_e64 s13, 13, v0
	;; [unrolled: 5-line block ×5, first 2 shown]
	v_cndmask_b32_e64 v28, v28, v8, s6
	s_delay_alu instid0(VALU_DEP_1) | instskip(NEXT) | instid1(VALU_DEP_1)
	v_cndmask_b32_e64 v28, v28, v9, s7
	v_cndmask_b32_e64 v28, v28, v10, s8
	s_delay_alu instid0(VALU_DEP_1) | instskip(NEXT) | instid1(VALU_DEP_1)
	v_cndmask_b32_e64 v28, v28, v11, s9
	;; [unrolled: 3-line block ×9, first 2 shown]
	v_cndmask_b32_e64 v28, v28, v26, s24
	s_wait_loadcnt_dscnt 0x0
	s_delay_alu instid0(VALU_DEP_1) | instskip(NEXT) | instid1(VALU_DEP_1)
	v_cndmask_b32_e64 v28, v28, v27, s25
	v_div_scale_f32 v29, null, v28, v28, 1.0
	v_div_scale_f32 v32, vcc_lo, 1.0, v28, 1.0
	s_delay_alu instid0(VALU_DEP_2) | instskip(SKIP_1) | instid1(TRANS32_DEP_1)
	v_rcp_f32_e32 v30, v29
	v_nop
	v_fma_f32 v31, -v29, v30, 1.0
	s_delay_alu instid0(VALU_DEP_1) | instskip(NEXT) | instid1(VALU_DEP_1)
	v_fmac_f32_e32 v30, v31, v30
	v_mul_f32_e32 v31, v32, v30
	s_delay_alu instid0(VALU_DEP_1) | instskip(NEXT) | instid1(VALU_DEP_1)
	v_fma_f32 v33, -v29, v31, v32
	v_fmac_f32_e32 v31, v33, v30
	s_delay_alu instid0(VALU_DEP_1) | instskip(NEXT) | instid1(VALU_DEP_1)
	v_fma_f32 v29, -v29, v31, v32
	v_div_fmas_f32 v29, v29, v30, v31
	s_delay_alu instid0(VALU_DEP_1) | instskip(NEXT) | instid1(VALU_DEP_1)
	v_div_fixup_f32 v28, v29, v28, 1.0
	v_dual_cndmask_b32 v27, v27, v28, s25 :: v_dual_cndmask_b32 v26, v26, v28, s24
	v_dual_cndmask_b32 v25, v25, v28, s23 :: v_dual_cndmask_b32 v24, v24, v28, s22
	v_dual_cndmask_b32 v23, v23, v28, s21 :: v_dual_cndmask_b32 v22, v22, v28, s20
	v_dual_cndmask_b32 v21, v21, v28, s19 :: v_dual_cndmask_b32 v20, v20, v28, s18
	v_dual_cndmask_b32 v19, v19, v28, s17 :: v_dual_cndmask_b32 v18, v18, v28, s16
	v_dual_cndmask_b32 v17, v17, v28, s15 :: v_dual_cndmask_b32 v16, v16, v28, s14
	v_dual_cndmask_b32 v15, v15, v28, s13 :: v_dual_cndmask_b32 v14, v14, v28, s12
	v_dual_cndmask_b32 v13, v13, v28, s11 :: v_dual_cndmask_b32 v12, v12, v28, s10
	v_dual_cndmask_b32 v11, v11, v28, s9 :: v_dual_cndmask_b32 v10, v10, v28, s8
	v_dual_cndmask_b32 v9, v9, v28, s7 :: v_dual_cndmask_b32 v8, v8, v28, s6
	v_dual_cndmask_b32 v7, v7, v28, s5 :: v_dual_cndmask_b32 v6, v6, v28, s4
	v_dual_cndmask_b32 v5, v5, v28, s3 :: v_dual_cndmask_b32 v4, v4, v28, s2
	v_dual_cndmask_b32 v3, v3, v28, s1 :: v_dual_cndmask_b32 v2, v2, v28, s0
	v_xor_b32_e32 v35, 0x80000000, v28
.LBB89_3:
	v_dual_ashrrev_i32 v67, 31, v66 :: v_dual_ashrrev_i32 v69, 31, v68
	v_dual_ashrrev_i32 v71, 31, v70 :: v_dual_ashrrev_i32 v73, 31, v72
	;; [unrolled: 1-line block ×11, first 2 shown]
	v_ashrrev_i32_e32 v111, 31, v110
	v_ashrrev_i32_e32 v115, 31, v114
	v_add_nc_u32_e32 v121, 0x70, v34
	s_cmp_eq_u32 s28, 0x79
	ds_store_b32 v34, v35
	s_cbranch_scc1 .LBB89_7
; %bb.4:
	s_wait_loadcnt_dscnt 0x1
	v_mov_b64_e32 v[64:65], v[32:33]
	v_mov_b64_e32 v[62:63], v[30:31]
	;; [unrolled: 1-line block ×16, first 2 shown]
	v_cmp_eq_u32_e64 s0, 25, v0
	ds_store_b32 v121, v26
	s_wait_dscnt 0x0
	s_barrier_signal -1
	s_barrier_wait -1
	s_and_saveexec_b32 s1, s0
	s_cbranch_execz .LBB89_11
; %bb.5:
	s_and_b32 vcc_lo, exec_lo, s30
	s_cbranch_vccz .LBB89_8
; %bb.6:
	v_cmp_eq_u32_e32 vcc_lo, 1, v0
	ds_load_b32 v35, v121
	v_cndmask_b32_e32 v34, v2, v3, vcc_lo
	v_cmp_eq_u32_e32 vcc_lo, 2, v0
	s_delay_alu instid0(VALU_DEP_2) | instskip(SKIP_1) | instid1(VALU_DEP_2)
	v_cndmask_b32_e32 v34, v34, v4, vcc_lo
	v_cmp_eq_u32_e32 vcc_lo, 3, v0
	v_cndmask_b32_e32 v34, v34, v5, vcc_lo
	v_cmp_eq_u32_e32 vcc_lo, 4, v0
	s_delay_alu instid0(VALU_DEP_2) | instskip(SKIP_1) | instid1(VALU_DEP_2)
	v_cndmask_b32_e32 v34, v34, v6, vcc_lo
	v_cmp_eq_u32_e32 vcc_lo, 5, v0
	;; [unrolled: 5-line block ×12, first 2 shown]
	v_cndmask_b32_e32 v34, v34, v27, vcc_lo
	s_wait_dscnt 0x0
	s_delay_alu instid0(VALU_DEP_1)
	v_mul_f32_e32 v57, v34, v35
	s_cbranch_execz .LBB89_9
	s_branch .LBB89_10
.LBB89_7:
                                        ; implicit-def: $vgpr34_vgpr35_vgpr36_vgpr37_vgpr38_vgpr39_vgpr40_vgpr41_vgpr42_vgpr43_vgpr44_vgpr45_vgpr46_vgpr47_vgpr48_vgpr49_vgpr50_vgpr51_vgpr52_vgpr53_vgpr54_vgpr55_vgpr56_vgpr57_vgpr58_vgpr59_vgpr60_vgpr61_vgpr62_vgpr63_vgpr64_vgpr65
	s_cbranch_execnz .LBB89_386
	s_branch .LBB89_639
.LBB89_8:
                                        ; implicit-def: $vgpr57
.LBB89_9:
	ds_load_b32 v57, v121
.LBB89_10:
	v_dual_mov_b32 v38, 0 :: v_dual_mov_b32 v34, v2
	v_dual_mov_b32 v35, v3 :: v_dual_mov_b32 v36, v4
	v_mov_b32_e32 v37, v5
	ds_load_b32 v58, v38 offset:96
	v_dual_mov_b32 v38, v6 :: v_dual_mov_b32 v39, v7
	v_dual_mov_b32 v40, v8 :: v_dual_mov_b32 v41, v9
	v_dual_mov_b32 v42, v10 :: v_dual_mov_b32 v43, v11
	v_dual_mov_b32 v44, v12 :: v_dual_mov_b32 v45, v13
	v_dual_mov_b32 v46, v14 :: v_dual_mov_b32 v47, v15
	v_dual_mov_b32 v48, v16 :: v_dual_mov_b32 v49, v17
	v_dual_mov_b32 v50, v18 :: v_dual_mov_b32 v51, v19
	v_dual_mov_b32 v52, v20 :: v_dual_mov_b32 v53, v21
	v_dual_mov_b32 v54, v22 :: v_dual_mov_b32 v55, v23
	s_wait_dscnt 0x0
	v_dual_mov_b32 v56, v24 :: v_dual_mul_f32 v58, v57, v58
	v_dual_mov_b32 v59, v27 :: v_dual_mov_b32 v57, v25
.LBB89_11:
	s_or_b32 exec_lo, exec_lo, s1
	v_cmp_lt_u32_e64 s1, 23, v0
	ds_store_b32 v121, v57
	s_wait_dscnt 0x0
	s_barrier_signal -1
	s_barrier_wait -1
	s_and_saveexec_b32 s2, s1
	s_cbranch_execz .LBB89_17
; %bb.12:
	s_and_not1_b32 vcc_lo, exec_lo, s30
	s_cbranch_vccnz .LBB89_14
; %bb.13:
	v_cmp_eq_u32_e32 vcc_lo, 1, v0
	ds_load_b32 v61, v121
	v_cndmask_b32_e32 v60, v34, v35, vcc_lo
	v_cmp_eq_u32_e32 vcc_lo, 2, v0
	s_delay_alu instid0(VALU_DEP_2) | instskip(SKIP_1) | instid1(VALU_DEP_2)
	v_cndmask_b32_e32 v60, v60, v36, vcc_lo
	v_cmp_eq_u32_e32 vcc_lo, 3, v0
	v_cndmask_b32_e32 v60, v60, v37, vcc_lo
	v_cmp_eq_u32_e32 vcc_lo, 4, v0
	s_delay_alu instid0(VALU_DEP_2) | instskip(SKIP_1) | instid1(VALU_DEP_2)
	v_cndmask_b32_e32 v60, v60, v38, vcc_lo
	v_cmp_eq_u32_e32 vcc_lo, 5, v0
	;; [unrolled: 5-line block ×12, first 2 shown]
	v_cndmask_b32_e32 v57, v57, v59, vcc_lo
	s_wait_dscnt 0x0
	s_delay_alu instid0(VALU_DEP_1)
	v_mul_f32_e32 v57, v57, v61
	s_cbranch_execz .LBB89_15
	s_branch .LBB89_16
.LBB89_14:
                                        ; implicit-def: $vgpr57
.LBB89_15:
	ds_load_b32 v57, v121
.LBB89_16:
	v_mov_b32_e32 v60, 0
	ds_load_2addr_b32 v[60:61], v60 offset0:23 offset1:52
	s_wait_dscnt 0x0
	v_fma_f32 v61, v58, v61, v57
	s_delay_alu instid0(VALU_DEP_1) | instskip(NEXT) | instid1(VALU_DEP_1)
	v_cndmask_b32_e64 v57, v57, v61, s0
	v_mul_f32_e32 v57, v57, v60
.LBB89_17:
	s_or_b32 exec_lo, exec_lo, s2
	v_cmp_lt_u32_e64 s0, 22, v0
	ds_store_b32 v121, v56
	s_wait_dscnt 0x0
	s_barrier_signal -1
	s_barrier_wait -1
	s_and_saveexec_b32 s4, s0
	s_cbranch_execz .LBB89_33
; %bb.18:
	s_and_not1_b32 vcc_lo, exec_lo, s30
	s_cbranch_vccnz .LBB89_20
; %bb.19:
	v_cmp_eq_u32_e32 vcc_lo, 1, v0
	ds_load_b32 v119, v121
	v_cndmask_b32_e32 v118, v34, v35, vcc_lo
	v_cmp_eq_u32_e32 vcc_lo, 2, v0
	s_delay_alu instid0(VALU_DEP_2) | instskip(SKIP_1) | instid1(VALU_DEP_2)
	v_cndmask_b32_e32 v118, v118, v36, vcc_lo
	v_cmp_eq_u32_e32 vcc_lo, 3, v0
	v_cndmask_b32_e32 v118, v118, v37, vcc_lo
	v_cmp_eq_u32_e32 vcc_lo, 4, v0
	s_delay_alu instid0(VALU_DEP_2) | instskip(SKIP_1) | instid1(VALU_DEP_2)
	v_cndmask_b32_e32 v118, v118, v38, vcc_lo
	v_cmp_eq_u32_e32 vcc_lo, 5, v0
	;; [unrolled: 5-line block ×12, first 2 shown]
	v_cndmask_b32_e32 v118, v118, v59, vcc_lo
	s_wait_dscnt 0x0
	s_delay_alu instid0(VALU_DEP_1)
	v_mul_f32_e32 v122, v118, v119
	s_cbranch_execz .LBB89_21
	s_branch .LBB89_22
.LBB89_20:
                                        ; implicit-def: $vgpr122
.LBB89_21:
	ds_load_b32 v122, v121
.LBB89_22:
	s_and_saveexec_b32 s5, s1
	s_cbranch_execz .LBB89_32
; %bb.23:
	v_subrev_nc_u32_e32 v120, 24, v0
	v_mov_b32_e32 v118, 23
	v_subrev_nc_u32_e32 v119, 23, v0
	s_mov_b32 s1, exec_lo
	s_delay_alu instid0(VALU_DEP_3)
	v_cmpx_lt_u32_e32 6, v120
	s_cbranch_execz .LBB89_27
; %bb.24:
	s_delay_alu instid0(VALU_DEP_2) | instskip(SKIP_3) | instid1(VALU_DEP_1)
	v_and_b32_e32 v118, -8, v119
	s_mov_b32 s6, 0
	s_mov_b64 s[2:3], 30
	s_movk_i32 s7, 0xcc
	v_sub_nc_u32_e32 v120, 0, v118
.LBB89_25:                              ; =>This Inner Loop Header: Depth=1
	s_add_co_i32 m0, s2, -7
	v_movrels_b32_e32 v123, v34
	v_mov_b32_e32 v118, s7
	s_add_co_i32 m0, s2, -6
	s_add_co_i32 s7, s7, 32
	v_movrels_b32_e32 v132, v34
	ds_load_2addr_b32 v[124:125], v118 offset1:1
	ds_load_2addr_b32 v[126:127], v118 offset0:2 offset1:3
	s_add_co_i32 m0, s2, -5
	s_wait_dscnt 0x1
	v_fmac_f32_e32 v122, v123, v124
	ds_load_2addr_b32 v[128:129], v118 offset0:4 offset1:5
	ds_load_2addr_b32 v[130:131], v118 offset0:6 offset1:7
	v_movrels_b32_e32 v118, v34
	s_add_co_i32 m0, s2, -4
	v_fmac_f32_e32 v122, v132, v125
	v_movrels_b32_e32 v123, v34
	s_add_co_i32 m0, s2, -3
	s_wait_dscnt 0x2
	s_delay_alu instid0(VALU_DEP_2) | instskip(SKIP_2) | instid1(VALU_DEP_2)
	v_fmac_f32_e32 v122, v118, v126
	v_movrels_b32_e32 v118, v34
	s_add_co_i32 m0, s2, -2
	v_fmac_f32_e32 v122, v123, v127
	v_movrels_b32_e32 v123, v34
	s_add_co_i32 m0, s2, -1
	s_wait_dscnt 0x1
	s_delay_alu instid0(VALU_DEP_2)
	v_fmac_f32_e32 v122, v118, v128
	v_movrels_b32_e32 v118, v34
	s_mov_b32 m0, s2
	s_add_nc_u64 s[2:3], s[2:3], 8
	v_movrels_b32_e32 v124, v34
	v_dual_fmac_f32 v122, v123, v129 :: v_dual_add_nc_u32 v123, s2, v120
	s_add_co_i32 s8, s2, -7
	s_wait_dscnt 0x0
	s_delay_alu instid0(VALU_DEP_1) | instskip(NEXT) | instid1(VALU_DEP_2)
	v_fmac_f32_e32 v122, v118, v130
	v_cmp_eq_u32_e32 vcc_lo, 30, v123
	s_delay_alu instid0(VALU_DEP_2) | instskip(SKIP_1) | instid1(SALU_CYCLE_1)
	v_dual_mov_b32 v118, s8 :: v_dual_fmac_f32 v122, v124, v131
	s_or_b32 s6, vcc_lo, s6
	s_and_not1_b32 exec_lo, exec_lo, s6
	s_cbranch_execnz .LBB89_25
; %bb.26:
	s_or_b32 exec_lo, exec_lo, s6
.LBB89_27:
	s_delay_alu instid0(SALU_CYCLE_1) | instskip(SKIP_3) | instid1(VALU_DEP_1)
	s_or_b32 exec_lo, exec_lo, s1
	v_and_b32_e32 v60, 7, v119
	s_mov_b32 s2, 0
	s_mov_b32 s1, exec_lo
	v_cmpx_ne_u32_e32 0, v60
	s_cbranch_execz .LBB89_31
; %bb.28:
	v_lshl_add_u32 v61, v118, 2, 0x70
	v_mov_b32_e32 v119, 0
.LBB89_29:                              ; =>This Inner Loop Header: Depth=1
	v_cmp_eq_u32_e32 vcc_lo, 1, v118
	ds_load_b32 v63, v61
	v_dual_add_nc_u32 v60, -1, v60 :: v_dual_add_nc_u32 v61, 4, v61
	v_cndmask_b32_e32 v62, v34, v35, vcc_lo
	v_cmp_eq_u32_e32 vcc_lo, 2, v118
	s_delay_alu instid0(VALU_DEP_2) | instskip(SKIP_1) | instid1(VALU_DEP_2)
	v_cndmask_b32_e32 v62, v62, v36, vcc_lo
	v_cmp_eq_u32_e32 vcc_lo, 3, v118
	v_cndmask_b32_e32 v62, v62, v37, vcc_lo
	v_cmp_eq_u32_e32 vcc_lo, 4, v118
	s_delay_alu instid0(VALU_DEP_2) | instskip(SKIP_1) | instid1(VALU_DEP_2)
	v_cndmask_b32_e32 v62, v62, v38, vcc_lo
	v_cmp_eq_u32_e32 vcc_lo, 5, v118
	;; [unrolled: 5-line block ×11, first 2 shown]
	v_cndmask_b32_e32 v62, v62, v57, vcc_lo
	v_cmp_eq_u32_e32 vcc_lo, 24, v118
	s_delay_alu instid0(VALU_DEP_2) | instskip(SKIP_2) | instid1(VALU_DEP_3)
	v_cndmask_b32_e32 v62, v62, v58, vcc_lo
	v_cmp_eq_u32_e32 vcc_lo, 25, v118
	v_add_nc_u64_e32 v[118:119], 1, v[118:119]
	v_cndmask_b32_e32 v62, v62, v59, vcc_lo
	v_cmp_eq_u32_e32 vcc_lo, 0, v60
	s_wait_dscnt 0x0
	s_delay_alu instid0(VALU_DEP_2) | instskip(SKIP_1) | instid1(SALU_CYCLE_1)
	v_fmac_f32_e32 v122, v62, v63
	s_or_b32 s2, vcc_lo, s2
	s_and_not1_b32 exec_lo, exec_lo, s2
	s_cbranch_execnz .LBB89_29
; %bb.30:
	s_or_b32 exec_lo, exec_lo, s2
.LBB89_31:
	s_delay_alu instid0(SALU_CYCLE_1)
	s_or_b32 exec_lo, exec_lo, s1
.LBB89_32:
	s_delay_alu instid0(SALU_CYCLE_1)
	s_or_b32 exec_lo, exec_lo, s5
	v_mov_b32_e32 v56, 0
	ds_load_b32 v56, v56 offset:88
	s_wait_dscnt 0x0
	v_mul_f32_e32 v56, v122, v56
.LBB89_33:
	s_or_b32 exec_lo, exec_lo, s4
	v_cmp_lt_u32_e64 s1, 21, v0
	ds_store_b32 v121, v55
	s_wait_dscnt 0x0
	s_barrier_signal -1
	s_barrier_wait -1
	s_and_saveexec_b32 s4, s1
	s_cbranch_execz .LBB89_49
; %bb.34:
	s_and_not1_b32 vcc_lo, exec_lo, s30
	s_cbranch_vccnz .LBB89_36
; %bb.35:
	v_cmp_eq_u32_e32 vcc_lo, 1, v0
	ds_load_b32 v119, v121
	v_cndmask_b32_e32 v118, v34, v35, vcc_lo
	v_cmp_eq_u32_e32 vcc_lo, 2, v0
	s_delay_alu instid0(VALU_DEP_2) | instskip(SKIP_1) | instid1(VALU_DEP_2)
	v_cndmask_b32_e32 v118, v118, v36, vcc_lo
	v_cmp_eq_u32_e32 vcc_lo, 3, v0
	v_cndmask_b32_e32 v118, v118, v37, vcc_lo
	v_cmp_eq_u32_e32 vcc_lo, 4, v0
	s_delay_alu instid0(VALU_DEP_2) | instskip(SKIP_1) | instid1(VALU_DEP_2)
	v_cndmask_b32_e32 v118, v118, v38, vcc_lo
	v_cmp_eq_u32_e32 vcc_lo, 5, v0
	;; [unrolled: 5-line block ×12, first 2 shown]
	v_cndmask_b32_e32 v118, v118, v59, vcc_lo
	s_wait_dscnt 0x0
	s_delay_alu instid0(VALU_DEP_1)
	v_mul_f32_e32 v122, v118, v119
	s_cbranch_execz .LBB89_37
	s_branch .LBB89_38
.LBB89_36:
                                        ; implicit-def: $vgpr122
.LBB89_37:
	ds_load_b32 v122, v121
.LBB89_38:
	s_and_saveexec_b32 s5, s0
	s_cbranch_execz .LBB89_48
; %bb.39:
	v_subrev_nc_u32_e32 v120, 23, v0
	v_mov_b32_e32 v118, 22
	v_subrev_nc_u32_e32 v119, 22, v0
	s_mov_b32 s0, exec_lo
	s_delay_alu instid0(VALU_DEP_3)
	v_cmpx_lt_u32_e32 6, v120
	s_cbranch_execz .LBB89_43
; %bb.40:
	s_delay_alu instid0(VALU_DEP_2) | instskip(SKIP_3) | instid1(VALU_DEP_1)
	v_and_b32_e32 v118, -8, v119
	s_mov_b32 s6, 0
	s_mov_b64 s[2:3], 29
	s_movk_i32 s7, 0xc8
	v_sub_nc_u32_e32 v120, 0, v118
.LBB89_41:                              ; =>This Inner Loop Header: Depth=1
	s_add_co_i32 m0, s2, -7
	v_movrels_b32_e32 v123, v34
	v_mov_b32_e32 v118, s7
	s_add_co_i32 m0, s2, -6
	s_add_co_i32 s7, s7, 32
	v_movrels_b32_e32 v132, v34
	s_add_co_i32 m0, s2, -5
	ds_load_2addr_b64 v[124:127], v118 offset1:1
	ds_load_2addr_b64 v[128:131], v118 offset0:2 offset1:3
	v_movrels_b32_e32 v118, v34
	s_add_co_i32 m0, s2, -4
	s_wait_dscnt 0x1
	v_fmac_f32_e32 v122, v123, v124
	v_movrels_b32_e32 v123, v34
	s_add_co_i32 m0, s2, -3
	s_delay_alu instid0(VALU_DEP_2) | instskip(NEXT) | instid1(VALU_DEP_1)
	v_fmac_f32_e32 v122, v132, v125
	v_fmac_f32_e32 v122, v118, v126
	v_movrels_b32_e32 v118, v34
	s_add_co_i32 m0, s2, -2
	s_delay_alu instid0(VALU_DEP_2) | instskip(SKIP_3) | instid1(VALU_DEP_2)
	v_fmac_f32_e32 v122, v123, v127
	v_movrels_b32_e32 v123, v34
	s_add_co_i32 m0, s2, -1
	s_wait_dscnt 0x0
	v_fmac_f32_e32 v122, v118, v128
	v_movrels_b32_e32 v118, v34
	s_mov_b32 m0, s2
	s_add_nc_u64 s[2:3], s[2:3], 8
	v_movrels_b32_e32 v124, v34
	v_dual_fmac_f32 v122, v123, v129 :: v_dual_add_nc_u32 v123, s2, v120
	s_add_co_i32 s8, s2, -7
	s_delay_alu instid0(VALU_DEP_1) | instskip(NEXT) | instid1(VALU_DEP_2)
	v_fmac_f32_e32 v122, v118, v130
	v_cmp_eq_u32_e32 vcc_lo, 29, v123
	s_delay_alu instid0(VALU_DEP_2) | instskip(SKIP_1) | instid1(SALU_CYCLE_1)
	v_dual_mov_b32 v118, s8 :: v_dual_fmac_f32 v122, v124, v131
	s_or_b32 s6, vcc_lo, s6
	s_and_not1_b32 exec_lo, exec_lo, s6
	s_cbranch_execnz .LBB89_41
; %bb.42:
	s_or_b32 exec_lo, exec_lo, s6
.LBB89_43:
	s_delay_alu instid0(SALU_CYCLE_1) | instskip(SKIP_3) | instid1(VALU_DEP_1)
	s_or_b32 exec_lo, exec_lo, s0
	v_and_b32_e32 v60, 7, v119
	s_mov_b32 s2, 0
	s_mov_b32 s0, exec_lo
	v_cmpx_ne_u32_e32 0, v60
	s_cbranch_execz .LBB89_47
; %bb.44:
	v_lshl_add_u32 v61, v118, 2, 0x70
	v_mov_b32_e32 v119, 0
.LBB89_45:                              ; =>This Inner Loop Header: Depth=1
	v_cmp_eq_u32_e32 vcc_lo, 1, v118
	ds_load_b32 v63, v61
	v_dual_add_nc_u32 v60, -1, v60 :: v_dual_add_nc_u32 v61, 4, v61
	v_cndmask_b32_e32 v62, v34, v35, vcc_lo
	v_cmp_eq_u32_e32 vcc_lo, 2, v118
	s_delay_alu instid0(VALU_DEP_2) | instskip(SKIP_1) | instid1(VALU_DEP_2)
	v_cndmask_b32_e32 v62, v62, v36, vcc_lo
	v_cmp_eq_u32_e32 vcc_lo, 3, v118
	v_cndmask_b32_e32 v62, v62, v37, vcc_lo
	v_cmp_eq_u32_e32 vcc_lo, 4, v118
	s_delay_alu instid0(VALU_DEP_2) | instskip(SKIP_1) | instid1(VALU_DEP_2)
	v_cndmask_b32_e32 v62, v62, v38, vcc_lo
	v_cmp_eq_u32_e32 vcc_lo, 5, v118
	;; [unrolled: 5-line block ×11, first 2 shown]
	v_cndmask_b32_e32 v62, v62, v57, vcc_lo
	v_cmp_eq_u32_e32 vcc_lo, 24, v118
	s_delay_alu instid0(VALU_DEP_2) | instskip(SKIP_2) | instid1(VALU_DEP_3)
	v_cndmask_b32_e32 v62, v62, v58, vcc_lo
	v_cmp_eq_u32_e32 vcc_lo, 25, v118
	v_add_nc_u64_e32 v[118:119], 1, v[118:119]
	v_cndmask_b32_e32 v62, v62, v59, vcc_lo
	v_cmp_eq_u32_e32 vcc_lo, 0, v60
	s_wait_dscnt 0x0
	s_delay_alu instid0(VALU_DEP_2) | instskip(SKIP_1) | instid1(SALU_CYCLE_1)
	v_fmac_f32_e32 v122, v62, v63
	s_or_b32 s2, vcc_lo, s2
	s_and_not1_b32 exec_lo, exec_lo, s2
	s_cbranch_execnz .LBB89_45
; %bb.46:
	s_or_b32 exec_lo, exec_lo, s2
.LBB89_47:
	s_delay_alu instid0(SALU_CYCLE_1)
	s_or_b32 exec_lo, exec_lo, s0
.LBB89_48:
	s_delay_alu instid0(SALU_CYCLE_1)
	s_or_b32 exec_lo, exec_lo, s5
	v_mov_b32_e32 v55, 0
	ds_load_b32 v55, v55 offset:84
	s_wait_dscnt 0x0
	v_mul_f32_e32 v55, v122, v55
.LBB89_49:
	s_or_b32 exec_lo, exec_lo, s4
	v_cmp_lt_u32_e64 s0, 20, v0
	ds_store_b32 v121, v54
	s_wait_dscnt 0x0
	s_barrier_signal -1
	s_barrier_wait -1
	s_and_saveexec_b32 s4, s0
	s_cbranch_execz .LBB89_65
; %bb.50:
	s_and_not1_b32 vcc_lo, exec_lo, s30
	s_cbranch_vccnz .LBB89_52
; %bb.51:
	v_cmp_eq_u32_e32 vcc_lo, 1, v0
	ds_load_b32 v119, v121
	v_cndmask_b32_e32 v118, v34, v35, vcc_lo
	v_cmp_eq_u32_e32 vcc_lo, 2, v0
	s_delay_alu instid0(VALU_DEP_2) | instskip(SKIP_1) | instid1(VALU_DEP_2)
	v_cndmask_b32_e32 v118, v118, v36, vcc_lo
	v_cmp_eq_u32_e32 vcc_lo, 3, v0
	v_cndmask_b32_e32 v118, v118, v37, vcc_lo
	v_cmp_eq_u32_e32 vcc_lo, 4, v0
	s_delay_alu instid0(VALU_DEP_2) | instskip(SKIP_1) | instid1(VALU_DEP_2)
	v_cndmask_b32_e32 v118, v118, v38, vcc_lo
	v_cmp_eq_u32_e32 vcc_lo, 5, v0
	;; [unrolled: 5-line block ×12, first 2 shown]
	v_cndmask_b32_e32 v118, v118, v59, vcc_lo
	s_wait_dscnt 0x0
	s_delay_alu instid0(VALU_DEP_1)
	v_mul_f32_e32 v122, v118, v119
	s_cbranch_execz .LBB89_53
	s_branch .LBB89_54
.LBB89_52:
                                        ; implicit-def: $vgpr122
.LBB89_53:
	ds_load_b32 v122, v121
.LBB89_54:
	s_and_saveexec_b32 s5, s1
	s_cbranch_execz .LBB89_64
; %bb.55:
	v_subrev_nc_u32_e32 v120, 22, v0
	v_mov_b32_e32 v118, 21
	v_subrev_nc_u32_e32 v119, 21, v0
	s_mov_b32 s1, exec_lo
	s_delay_alu instid0(VALU_DEP_3)
	v_cmpx_lt_u32_e32 6, v120
	s_cbranch_execz .LBB89_59
; %bb.56:
	s_delay_alu instid0(VALU_DEP_2) | instskip(SKIP_3) | instid1(VALU_DEP_1)
	v_and_b32_e32 v118, -8, v119
	s_mov_b32 s6, 0
	s_mov_b64 s[2:3], 28
	s_movk_i32 s7, 0xc4
	v_sub_nc_u32_e32 v120, 0, v118
.LBB89_57:                              ; =>This Inner Loop Header: Depth=1
	s_add_co_i32 m0, s2, -7
	v_movrels_b32_e32 v123, v34
	v_mov_b32_e32 v118, s7
	s_add_co_i32 m0, s2, -6
	s_add_co_i32 s7, s7, 32
	v_movrels_b32_e32 v132, v34
	ds_load_2addr_b32 v[124:125], v118 offset1:1
	ds_load_2addr_b32 v[126:127], v118 offset0:2 offset1:3
	s_add_co_i32 m0, s2, -5
	s_wait_dscnt 0x1
	v_fmac_f32_e32 v122, v123, v124
	ds_load_2addr_b32 v[128:129], v118 offset0:4 offset1:5
	ds_load_2addr_b32 v[130:131], v118 offset0:6 offset1:7
	v_movrels_b32_e32 v118, v34
	s_add_co_i32 m0, s2, -4
	v_fmac_f32_e32 v122, v132, v125
	v_movrels_b32_e32 v123, v34
	s_add_co_i32 m0, s2, -3
	s_wait_dscnt 0x2
	s_delay_alu instid0(VALU_DEP_2) | instskip(SKIP_2) | instid1(VALU_DEP_2)
	v_fmac_f32_e32 v122, v118, v126
	v_movrels_b32_e32 v118, v34
	s_add_co_i32 m0, s2, -2
	v_fmac_f32_e32 v122, v123, v127
	v_movrels_b32_e32 v123, v34
	s_add_co_i32 m0, s2, -1
	s_wait_dscnt 0x1
	s_delay_alu instid0(VALU_DEP_2)
	v_fmac_f32_e32 v122, v118, v128
	v_movrels_b32_e32 v118, v34
	s_mov_b32 m0, s2
	s_add_nc_u64 s[2:3], s[2:3], 8
	v_movrels_b32_e32 v124, v34
	v_dual_fmac_f32 v122, v123, v129 :: v_dual_add_nc_u32 v123, s2, v120
	s_add_co_i32 s8, s2, -7
	s_wait_dscnt 0x0
	s_delay_alu instid0(VALU_DEP_1) | instskip(NEXT) | instid1(VALU_DEP_2)
	v_fmac_f32_e32 v122, v118, v130
	v_cmp_eq_u32_e32 vcc_lo, 28, v123
	s_delay_alu instid0(VALU_DEP_2) | instskip(SKIP_1) | instid1(SALU_CYCLE_1)
	v_dual_mov_b32 v118, s8 :: v_dual_fmac_f32 v122, v124, v131
	s_or_b32 s6, vcc_lo, s6
	s_and_not1_b32 exec_lo, exec_lo, s6
	s_cbranch_execnz .LBB89_57
; %bb.58:
	s_or_b32 exec_lo, exec_lo, s6
.LBB89_59:
	s_delay_alu instid0(SALU_CYCLE_1) | instskip(SKIP_3) | instid1(VALU_DEP_1)
	s_or_b32 exec_lo, exec_lo, s1
	v_and_b32_e32 v60, 7, v119
	s_mov_b32 s2, 0
	s_mov_b32 s1, exec_lo
	v_cmpx_ne_u32_e32 0, v60
	s_cbranch_execz .LBB89_63
; %bb.60:
	v_lshl_add_u32 v61, v118, 2, 0x70
	v_mov_b32_e32 v119, 0
.LBB89_61:                              ; =>This Inner Loop Header: Depth=1
	v_cmp_eq_u32_e32 vcc_lo, 1, v118
	ds_load_b32 v63, v61
	v_dual_add_nc_u32 v60, -1, v60 :: v_dual_add_nc_u32 v61, 4, v61
	v_cndmask_b32_e32 v62, v34, v35, vcc_lo
	v_cmp_eq_u32_e32 vcc_lo, 2, v118
	s_delay_alu instid0(VALU_DEP_2) | instskip(SKIP_1) | instid1(VALU_DEP_2)
	v_cndmask_b32_e32 v62, v62, v36, vcc_lo
	v_cmp_eq_u32_e32 vcc_lo, 3, v118
	v_cndmask_b32_e32 v62, v62, v37, vcc_lo
	v_cmp_eq_u32_e32 vcc_lo, 4, v118
	s_delay_alu instid0(VALU_DEP_2) | instskip(SKIP_1) | instid1(VALU_DEP_2)
	v_cndmask_b32_e32 v62, v62, v38, vcc_lo
	v_cmp_eq_u32_e32 vcc_lo, 5, v118
	;; [unrolled: 5-line block ×11, first 2 shown]
	v_cndmask_b32_e32 v62, v62, v57, vcc_lo
	v_cmp_eq_u32_e32 vcc_lo, 24, v118
	s_delay_alu instid0(VALU_DEP_2) | instskip(SKIP_2) | instid1(VALU_DEP_3)
	v_cndmask_b32_e32 v62, v62, v58, vcc_lo
	v_cmp_eq_u32_e32 vcc_lo, 25, v118
	v_add_nc_u64_e32 v[118:119], 1, v[118:119]
	v_cndmask_b32_e32 v62, v62, v59, vcc_lo
	v_cmp_eq_u32_e32 vcc_lo, 0, v60
	s_wait_dscnt 0x0
	s_delay_alu instid0(VALU_DEP_2) | instskip(SKIP_1) | instid1(SALU_CYCLE_1)
	v_fmac_f32_e32 v122, v62, v63
	s_or_b32 s2, vcc_lo, s2
	s_and_not1_b32 exec_lo, exec_lo, s2
	s_cbranch_execnz .LBB89_61
; %bb.62:
	s_or_b32 exec_lo, exec_lo, s2
.LBB89_63:
	s_delay_alu instid0(SALU_CYCLE_1)
	s_or_b32 exec_lo, exec_lo, s1
.LBB89_64:
	s_delay_alu instid0(SALU_CYCLE_1)
	s_or_b32 exec_lo, exec_lo, s5
	v_mov_b32_e32 v54, 0
	ds_load_b32 v54, v54 offset:80
	s_wait_dscnt 0x0
	v_mul_f32_e32 v54, v122, v54
.LBB89_65:
	s_or_b32 exec_lo, exec_lo, s4
	v_cmp_lt_u32_e64 s1, 19, v0
	ds_store_b32 v121, v53
	s_wait_dscnt 0x0
	s_barrier_signal -1
	s_barrier_wait -1
	s_and_saveexec_b32 s4, s1
	s_cbranch_execz .LBB89_81
; %bb.66:
	s_and_not1_b32 vcc_lo, exec_lo, s30
	s_cbranch_vccnz .LBB89_68
; %bb.67:
	v_cmp_eq_u32_e32 vcc_lo, 1, v0
	ds_load_b32 v119, v121
	v_cndmask_b32_e32 v118, v34, v35, vcc_lo
	v_cmp_eq_u32_e32 vcc_lo, 2, v0
	s_delay_alu instid0(VALU_DEP_2) | instskip(SKIP_1) | instid1(VALU_DEP_2)
	v_cndmask_b32_e32 v118, v118, v36, vcc_lo
	v_cmp_eq_u32_e32 vcc_lo, 3, v0
	v_cndmask_b32_e32 v118, v118, v37, vcc_lo
	v_cmp_eq_u32_e32 vcc_lo, 4, v0
	s_delay_alu instid0(VALU_DEP_2) | instskip(SKIP_1) | instid1(VALU_DEP_2)
	v_cndmask_b32_e32 v118, v118, v38, vcc_lo
	v_cmp_eq_u32_e32 vcc_lo, 5, v0
	;; [unrolled: 5-line block ×12, first 2 shown]
	v_cndmask_b32_e32 v118, v118, v59, vcc_lo
	s_wait_dscnt 0x0
	s_delay_alu instid0(VALU_DEP_1)
	v_mul_f32_e32 v122, v118, v119
	s_cbranch_execz .LBB89_69
	s_branch .LBB89_70
.LBB89_68:
                                        ; implicit-def: $vgpr122
.LBB89_69:
	ds_load_b32 v122, v121
.LBB89_70:
	s_and_saveexec_b32 s5, s0
	s_cbranch_execz .LBB89_80
; %bb.71:
	v_subrev_nc_u32_e32 v120, 21, v0
	v_mov_b32_e32 v118, 20
	v_subrev_nc_u32_e32 v119, 20, v0
	s_mov_b32 s0, exec_lo
	s_delay_alu instid0(VALU_DEP_3)
	v_cmpx_lt_u32_e32 6, v120
	s_cbranch_execz .LBB89_75
; %bb.72:
	s_delay_alu instid0(VALU_DEP_2) | instskip(SKIP_3) | instid1(VALU_DEP_1)
	v_and_b32_e32 v118, -8, v119
	s_mov_b32 s6, 0
	s_mov_b64 s[2:3], 27
	s_movk_i32 s7, 0xc0
	v_sub_nc_u32_e32 v120, 0, v118
.LBB89_73:                              ; =>This Inner Loop Header: Depth=1
	s_add_co_i32 m0, s2, -7
	v_movrels_b32_e32 v123, v34
	v_mov_b32_e32 v118, s7
	s_add_co_i32 m0, s2, -6
	s_add_co_i32 s7, s7, 32
	v_movrels_b32_e32 v132, v34
	s_add_co_i32 m0, s2, -5
	ds_load_b128 v[124:127], v118
	ds_load_b128 v[128:131], v118 offset:16
	v_movrels_b32_e32 v118, v34
	s_add_co_i32 m0, s2, -4
	s_wait_dscnt 0x1
	v_fmac_f32_e32 v122, v123, v124
	v_movrels_b32_e32 v123, v34
	s_add_co_i32 m0, s2, -3
	s_delay_alu instid0(VALU_DEP_2) | instskip(NEXT) | instid1(VALU_DEP_1)
	v_fmac_f32_e32 v122, v132, v125
	v_fmac_f32_e32 v122, v118, v126
	v_movrels_b32_e32 v118, v34
	s_add_co_i32 m0, s2, -2
	s_delay_alu instid0(VALU_DEP_2) | instskip(SKIP_3) | instid1(VALU_DEP_2)
	v_fmac_f32_e32 v122, v123, v127
	v_movrels_b32_e32 v123, v34
	s_add_co_i32 m0, s2, -1
	s_wait_dscnt 0x0
	v_fmac_f32_e32 v122, v118, v128
	v_movrels_b32_e32 v118, v34
	s_mov_b32 m0, s2
	s_add_nc_u64 s[2:3], s[2:3], 8
	v_movrels_b32_e32 v124, v34
	v_dual_fmac_f32 v122, v123, v129 :: v_dual_add_nc_u32 v123, s2, v120
	s_add_co_i32 s8, s2, -7
	s_delay_alu instid0(VALU_DEP_1) | instskip(NEXT) | instid1(VALU_DEP_2)
	v_fmac_f32_e32 v122, v118, v130
	v_cmp_eq_u32_e32 vcc_lo, 27, v123
	s_delay_alu instid0(VALU_DEP_2) | instskip(SKIP_1) | instid1(SALU_CYCLE_1)
	v_dual_mov_b32 v118, s8 :: v_dual_fmac_f32 v122, v124, v131
	s_or_b32 s6, vcc_lo, s6
	s_and_not1_b32 exec_lo, exec_lo, s6
	s_cbranch_execnz .LBB89_73
; %bb.74:
	s_or_b32 exec_lo, exec_lo, s6
.LBB89_75:
	s_delay_alu instid0(SALU_CYCLE_1) | instskip(SKIP_3) | instid1(VALU_DEP_1)
	s_or_b32 exec_lo, exec_lo, s0
	v_and_b32_e32 v60, 7, v119
	s_mov_b32 s2, 0
	s_mov_b32 s0, exec_lo
	v_cmpx_ne_u32_e32 0, v60
	s_cbranch_execz .LBB89_79
; %bb.76:
	v_lshl_add_u32 v61, v118, 2, 0x70
	v_mov_b32_e32 v119, 0
.LBB89_77:                              ; =>This Inner Loop Header: Depth=1
	v_cmp_eq_u32_e32 vcc_lo, 1, v118
	ds_load_b32 v63, v61
	v_dual_add_nc_u32 v60, -1, v60 :: v_dual_add_nc_u32 v61, 4, v61
	v_cndmask_b32_e32 v62, v34, v35, vcc_lo
	v_cmp_eq_u32_e32 vcc_lo, 2, v118
	s_delay_alu instid0(VALU_DEP_2) | instskip(SKIP_1) | instid1(VALU_DEP_2)
	v_cndmask_b32_e32 v62, v62, v36, vcc_lo
	v_cmp_eq_u32_e32 vcc_lo, 3, v118
	v_cndmask_b32_e32 v62, v62, v37, vcc_lo
	v_cmp_eq_u32_e32 vcc_lo, 4, v118
	s_delay_alu instid0(VALU_DEP_2) | instskip(SKIP_1) | instid1(VALU_DEP_2)
	v_cndmask_b32_e32 v62, v62, v38, vcc_lo
	v_cmp_eq_u32_e32 vcc_lo, 5, v118
	;; [unrolled: 5-line block ×11, first 2 shown]
	v_cndmask_b32_e32 v62, v62, v57, vcc_lo
	v_cmp_eq_u32_e32 vcc_lo, 24, v118
	s_delay_alu instid0(VALU_DEP_2) | instskip(SKIP_2) | instid1(VALU_DEP_3)
	v_cndmask_b32_e32 v62, v62, v58, vcc_lo
	v_cmp_eq_u32_e32 vcc_lo, 25, v118
	v_add_nc_u64_e32 v[118:119], 1, v[118:119]
	v_cndmask_b32_e32 v62, v62, v59, vcc_lo
	v_cmp_eq_u32_e32 vcc_lo, 0, v60
	s_wait_dscnt 0x0
	s_delay_alu instid0(VALU_DEP_2) | instskip(SKIP_1) | instid1(SALU_CYCLE_1)
	v_fmac_f32_e32 v122, v62, v63
	s_or_b32 s2, vcc_lo, s2
	s_and_not1_b32 exec_lo, exec_lo, s2
	s_cbranch_execnz .LBB89_77
; %bb.78:
	s_or_b32 exec_lo, exec_lo, s2
.LBB89_79:
	s_delay_alu instid0(SALU_CYCLE_1)
	s_or_b32 exec_lo, exec_lo, s0
.LBB89_80:
	s_delay_alu instid0(SALU_CYCLE_1)
	s_or_b32 exec_lo, exec_lo, s5
	v_mov_b32_e32 v53, 0
	ds_load_b32 v53, v53 offset:76
	s_wait_dscnt 0x0
	v_mul_f32_e32 v53, v122, v53
.LBB89_81:
	s_or_b32 exec_lo, exec_lo, s4
	v_cmp_lt_u32_e64 s0, 18, v0
	ds_store_b32 v121, v52
	s_wait_dscnt 0x0
	s_barrier_signal -1
	s_barrier_wait -1
	s_and_saveexec_b32 s4, s0
	s_cbranch_execz .LBB89_97
; %bb.82:
	s_and_not1_b32 vcc_lo, exec_lo, s30
	s_cbranch_vccnz .LBB89_84
; %bb.83:
	v_cmp_eq_u32_e32 vcc_lo, 1, v0
	ds_load_b32 v119, v121
	v_cndmask_b32_e32 v118, v34, v35, vcc_lo
	v_cmp_eq_u32_e32 vcc_lo, 2, v0
	s_delay_alu instid0(VALU_DEP_2) | instskip(SKIP_1) | instid1(VALU_DEP_2)
	v_cndmask_b32_e32 v118, v118, v36, vcc_lo
	v_cmp_eq_u32_e32 vcc_lo, 3, v0
	v_cndmask_b32_e32 v118, v118, v37, vcc_lo
	v_cmp_eq_u32_e32 vcc_lo, 4, v0
	s_delay_alu instid0(VALU_DEP_2) | instskip(SKIP_1) | instid1(VALU_DEP_2)
	v_cndmask_b32_e32 v118, v118, v38, vcc_lo
	v_cmp_eq_u32_e32 vcc_lo, 5, v0
	;; [unrolled: 5-line block ×12, first 2 shown]
	v_cndmask_b32_e32 v118, v118, v59, vcc_lo
	s_wait_dscnt 0x0
	s_delay_alu instid0(VALU_DEP_1)
	v_mul_f32_e32 v122, v118, v119
	s_cbranch_execz .LBB89_85
	s_branch .LBB89_86
.LBB89_84:
                                        ; implicit-def: $vgpr122
.LBB89_85:
	ds_load_b32 v122, v121
.LBB89_86:
	s_and_saveexec_b32 s5, s1
	s_cbranch_execz .LBB89_96
; %bb.87:
	v_subrev_nc_u32_e32 v120, 20, v0
	v_mov_b32_e32 v118, 19
	v_subrev_nc_u32_e32 v119, 19, v0
	s_mov_b32 s1, exec_lo
	s_delay_alu instid0(VALU_DEP_3)
	v_cmpx_lt_u32_e32 6, v120
	s_cbranch_execz .LBB89_91
; %bb.88:
	s_delay_alu instid0(VALU_DEP_2) | instskip(SKIP_3) | instid1(VALU_DEP_1)
	v_and_b32_e32 v118, -8, v119
	s_mov_b32 s6, 0
	s_mov_b64 s[2:3], 26
	s_movk_i32 s7, 0xbc
	v_sub_nc_u32_e32 v120, 0, v118
.LBB89_89:                              ; =>This Inner Loop Header: Depth=1
	s_add_co_i32 m0, s2, -7
	v_movrels_b32_e32 v123, v34
	v_mov_b32_e32 v118, s7
	s_add_co_i32 m0, s2, -6
	s_add_co_i32 s7, s7, 32
	v_movrels_b32_e32 v132, v34
	ds_load_2addr_b32 v[124:125], v118 offset1:1
	ds_load_2addr_b32 v[126:127], v118 offset0:2 offset1:3
	s_add_co_i32 m0, s2, -5
	s_wait_dscnt 0x1
	v_fmac_f32_e32 v122, v123, v124
	ds_load_2addr_b32 v[128:129], v118 offset0:4 offset1:5
	ds_load_2addr_b32 v[130:131], v118 offset0:6 offset1:7
	v_movrels_b32_e32 v118, v34
	s_add_co_i32 m0, s2, -4
	v_fmac_f32_e32 v122, v132, v125
	v_movrels_b32_e32 v123, v34
	s_add_co_i32 m0, s2, -3
	s_wait_dscnt 0x2
	s_delay_alu instid0(VALU_DEP_2) | instskip(SKIP_2) | instid1(VALU_DEP_2)
	v_fmac_f32_e32 v122, v118, v126
	v_movrels_b32_e32 v118, v34
	s_add_co_i32 m0, s2, -2
	v_fmac_f32_e32 v122, v123, v127
	v_movrels_b32_e32 v123, v34
	s_add_co_i32 m0, s2, -1
	s_wait_dscnt 0x1
	s_delay_alu instid0(VALU_DEP_2)
	v_fmac_f32_e32 v122, v118, v128
	v_movrels_b32_e32 v118, v34
	s_mov_b32 m0, s2
	s_add_nc_u64 s[2:3], s[2:3], 8
	v_movrels_b32_e32 v124, v34
	v_dual_fmac_f32 v122, v123, v129 :: v_dual_add_nc_u32 v123, s2, v120
	s_add_co_i32 s8, s2, -7
	s_wait_dscnt 0x0
	s_delay_alu instid0(VALU_DEP_1) | instskip(NEXT) | instid1(VALU_DEP_2)
	v_fmac_f32_e32 v122, v118, v130
	v_cmp_eq_u32_e32 vcc_lo, 26, v123
	s_delay_alu instid0(VALU_DEP_2) | instskip(SKIP_1) | instid1(SALU_CYCLE_1)
	v_dual_mov_b32 v118, s8 :: v_dual_fmac_f32 v122, v124, v131
	s_or_b32 s6, vcc_lo, s6
	s_and_not1_b32 exec_lo, exec_lo, s6
	s_cbranch_execnz .LBB89_89
; %bb.90:
	s_or_b32 exec_lo, exec_lo, s6
.LBB89_91:
	s_delay_alu instid0(SALU_CYCLE_1) | instskip(SKIP_3) | instid1(VALU_DEP_1)
	s_or_b32 exec_lo, exec_lo, s1
	v_and_b32_e32 v60, 7, v119
	s_mov_b32 s2, 0
	s_mov_b32 s1, exec_lo
	v_cmpx_ne_u32_e32 0, v60
	s_cbranch_execz .LBB89_95
; %bb.92:
	v_lshl_add_u32 v61, v118, 2, 0x70
	v_mov_b32_e32 v119, 0
.LBB89_93:                              ; =>This Inner Loop Header: Depth=1
	v_cmp_eq_u32_e32 vcc_lo, 1, v118
	ds_load_b32 v63, v61
	v_dual_add_nc_u32 v60, -1, v60 :: v_dual_add_nc_u32 v61, 4, v61
	v_cndmask_b32_e32 v62, v34, v35, vcc_lo
	v_cmp_eq_u32_e32 vcc_lo, 2, v118
	s_delay_alu instid0(VALU_DEP_2) | instskip(SKIP_1) | instid1(VALU_DEP_2)
	v_cndmask_b32_e32 v62, v62, v36, vcc_lo
	v_cmp_eq_u32_e32 vcc_lo, 3, v118
	v_cndmask_b32_e32 v62, v62, v37, vcc_lo
	v_cmp_eq_u32_e32 vcc_lo, 4, v118
	s_delay_alu instid0(VALU_DEP_2) | instskip(SKIP_1) | instid1(VALU_DEP_2)
	v_cndmask_b32_e32 v62, v62, v38, vcc_lo
	v_cmp_eq_u32_e32 vcc_lo, 5, v118
	;; [unrolled: 5-line block ×11, first 2 shown]
	v_cndmask_b32_e32 v62, v62, v57, vcc_lo
	v_cmp_eq_u32_e32 vcc_lo, 24, v118
	s_delay_alu instid0(VALU_DEP_2) | instskip(SKIP_2) | instid1(VALU_DEP_3)
	v_cndmask_b32_e32 v62, v62, v58, vcc_lo
	v_cmp_eq_u32_e32 vcc_lo, 25, v118
	v_add_nc_u64_e32 v[118:119], 1, v[118:119]
	v_cndmask_b32_e32 v62, v62, v59, vcc_lo
	v_cmp_eq_u32_e32 vcc_lo, 0, v60
	s_wait_dscnt 0x0
	s_delay_alu instid0(VALU_DEP_2) | instskip(SKIP_1) | instid1(SALU_CYCLE_1)
	v_fmac_f32_e32 v122, v62, v63
	s_or_b32 s2, vcc_lo, s2
	s_and_not1_b32 exec_lo, exec_lo, s2
	s_cbranch_execnz .LBB89_93
; %bb.94:
	s_or_b32 exec_lo, exec_lo, s2
.LBB89_95:
	s_delay_alu instid0(SALU_CYCLE_1)
	s_or_b32 exec_lo, exec_lo, s1
.LBB89_96:
	s_delay_alu instid0(SALU_CYCLE_1)
	s_or_b32 exec_lo, exec_lo, s5
	v_mov_b32_e32 v52, 0
	ds_load_b32 v52, v52 offset:72
	s_wait_dscnt 0x0
	v_mul_f32_e32 v52, v122, v52
.LBB89_97:
	s_or_b32 exec_lo, exec_lo, s4
	v_cmp_lt_u32_e64 s1, 17, v0
	ds_store_b32 v121, v51
	s_wait_dscnt 0x0
	s_barrier_signal -1
	s_barrier_wait -1
	s_and_saveexec_b32 s4, s1
	s_cbranch_execz .LBB89_113
; %bb.98:
	s_and_not1_b32 vcc_lo, exec_lo, s30
	s_cbranch_vccnz .LBB89_100
; %bb.99:
	v_cmp_eq_u32_e32 vcc_lo, 1, v0
	ds_load_b32 v119, v121
	v_cndmask_b32_e32 v118, v34, v35, vcc_lo
	v_cmp_eq_u32_e32 vcc_lo, 2, v0
	s_delay_alu instid0(VALU_DEP_2) | instskip(SKIP_1) | instid1(VALU_DEP_2)
	v_cndmask_b32_e32 v118, v118, v36, vcc_lo
	v_cmp_eq_u32_e32 vcc_lo, 3, v0
	v_cndmask_b32_e32 v118, v118, v37, vcc_lo
	v_cmp_eq_u32_e32 vcc_lo, 4, v0
	s_delay_alu instid0(VALU_DEP_2) | instskip(SKIP_1) | instid1(VALU_DEP_2)
	v_cndmask_b32_e32 v118, v118, v38, vcc_lo
	v_cmp_eq_u32_e32 vcc_lo, 5, v0
	;; [unrolled: 5-line block ×12, first 2 shown]
	v_cndmask_b32_e32 v118, v118, v59, vcc_lo
	s_wait_dscnt 0x0
	s_delay_alu instid0(VALU_DEP_1)
	v_mul_f32_e32 v122, v118, v119
	s_cbranch_execz .LBB89_101
	s_branch .LBB89_102
.LBB89_100:
                                        ; implicit-def: $vgpr122
.LBB89_101:
	ds_load_b32 v122, v121
.LBB89_102:
	s_and_saveexec_b32 s5, s0
	s_cbranch_execz .LBB89_112
; %bb.103:
	v_subrev_nc_u32_e32 v120, 19, v0
	v_mov_b32_e32 v118, 18
	v_subrev_nc_u32_e32 v119, 18, v0
	s_mov_b32 s0, exec_lo
	s_delay_alu instid0(VALU_DEP_3)
	v_cmpx_lt_u32_e32 6, v120
	s_cbranch_execz .LBB89_107
; %bb.104:
	s_delay_alu instid0(VALU_DEP_2) | instskip(SKIP_3) | instid1(VALU_DEP_1)
	v_and_b32_e32 v118, -8, v119
	s_mov_b32 s6, 0
	s_mov_b64 s[2:3], 25
	s_movk_i32 s7, 0xb8
	v_sub_nc_u32_e32 v120, 0, v118
.LBB89_105:                             ; =>This Inner Loop Header: Depth=1
	s_add_co_i32 m0, s2, -7
	v_movrels_b32_e32 v123, v34
	v_mov_b32_e32 v118, s7
	s_add_co_i32 m0, s2, -6
	s_add_co_i32 s7, s7, 32
	v_movrels_b32_e32 v132, v34
	s_add_co_i32 m0, s2, -5
	ds_load_2addr_b64 v[124:127], v118 offset1:1
	ds_load_2addr_b64 v[128:131], v118 offset0:2 offset1:3
	v_movrels_b32_e32 v118, v34
	s_add_co_i32 m0, s2, -4
	s_wait_dscnt 0x1
	v_fmac_f32_e32 v122, v123, v124
	v_movrels_b32_e32 v123, v34
	s_add_co_i32 m0, s2, -3
	s_delay_alu instid0(VALU_DEP_2) | instskip(NEXT) | instid1(VALU_DEP_1)
	v_fmac_f32_e32 v122, v132, v125
	v_fmac_f32_e32 v122, v118, v126
	v_movrels_b32_e32 v118, v34
	s_add_co_i32 m0, s2, -2
	s_delay_alu instid0(VALU_DEP_2) | instskip(SKIP_3) | instid1(VALU_DEP_2)
	v_fmac_f32_e32 v122, v123, v127
	v_movrels_b32_e32 v123, v34
	s_add_co_i32 m0, s2, -1
	s_wait_dscnt 0x0
	v_fmac_f32_e32 v122, v118, v128
	v_movrels_b32_e32 v118, v34
	s_mov_b32 m0, s2
	s_add_nc_u64 s[2:3], s[2:3], 8
	v_movrels_b32_e32 v124, v34
	v_dual_fmac_f32 v122, v123, v129 :: v_dual_add_nc_u32 v123, s2, v120
	s_add_co_i32 s8, s2, -7
	s_delay_alu instid0(VALU_DEP_1) | instskip(NEXT) | instid1(VALU_DEP_2)
	v_fmac_f32_e32 v122, v118, v130
	v_cmp_eq_u32_e32 vcc_lo, 25, v123
	s_delay_alu instid0(VALU_DEP_2) | instskip(SKIP_1) | instid1(SALU_CYCLE_1)
	v_dual_mov_b32 v118, s8 :: v_dual_fmac_f32 v122, v124, v131
	s_or_b32 s6, vcc_lo, s6
	s_and_not1_b32 exec_lo, exec_lo, s6
	s_cbranch_execnz .LBB89_105
; %bb.106:
	s_or_b32 exec_lo, exec_lo, s6
.LBB89_107:
	s_delay_alu instid0(SALU_CYCLE_1) | instskip(SKIP_3) | instid1(VALU_DEP_1)
	s_or_b32 exec_lo, exec_lo, s0
	v_and_b32_e32 v60, 7, v119
	s_mov_b32 s2, 0
	s_mov_b32 s0, exec_lo
	v_cmpx_ne_u32_e32 0, v60
	s_cbranch_execz .LBB89_111
; %bb.108:
	v_lshl_add_u32 v61, v118, 2, 0x70
	v_mov_b32_e32 v119, 0
.LBB89_109:                             ; =>This Inner Loop Header: Depth=1
	v_cmp_eq_u32_e32 vcc_lo, 1, v118
	ds_load_b32 v63, v61
	v_dual_add_nc_u32 v60, -1, v60 :: v_dual_add_nc_u32 v61, 4, v61
	v_cndmask_b32_e32 v62, v34, v35, vcc_lo
	v_cmp_eq_u32_e32 vcc_lo, 2, v118
	s_delay_alu instid0(VALU_DEP_2) | instskip(SKIP_1) | instid1(VALU_DEP_2)
	v_cndmask_b32_e32 v62, v62, v36, vcc_lo
	v_cmp_eq_u32_e32 vcc_lo, 3, v118
	v_cndmask_b32_e32 v62, v62, v37, vcc_lo
	v_cmp_eq_u32_e32 vcc_lo, 4, v118
	s_delay_alu instid0(VALU_DEP_2) | instskip(SKIP_1) | instid1(VALU_DEP_2)
	v_cndmask_b32_e32 v62, v62, v38, vcc_lo
	v_cmp_eq_u32_e32 vcc_lo, 5, v118
	;; [unrolled: 5-line block ×11, first 2 shown]
	v_cndmask_b32_e32 v62, v62, v57, vcc_lo
	v_cmp_eq_u32_e32 vcc_lo, 24, v118
	s_delay_alu instid0(VALU_DEP_2) | instskip(SKIP_2) | instid1(VALU_DEP_3)
	v_cndmask_b32_e32 v62, v62, v58, vcc_lo
	v_cmp_eq_u32_e32 vcc_lo, 25, v118
	v_add_nc_u64_e32 v[118:119], 1, v[118:119]
	v_cndmask_b32_e32 v62, v62, v59, vcc_lo
	v_cmp_eq_u32_e32 vcc_lo, 0, v60
	s_wait_dscnt 0x0
	s_delay_alu instid0(VALU_DEP_2) | instskip(SKIP_1) | instid1(SALU_CYCLE_1)
	v_fmac_f32_e32 v122, v62, v63
	s_or_b32 s2, vcc_lo, s2
	s_and_not1_b32 exec_lo, exec_lo, s2
	s_cbranch_execnz .LBB89_109
; %bb.110:
	s_or_b32 exec_lo, exec_lo, s2
.LBB89_111:
	s_delay_alu instid0(SALU_CYCLE_1)
	s_or_b32 exec_lo, exec_lo, s0
.LBB89_112:
	s_delay_alu instid0(SALU_CYCLE_1)
	s_or_b32 exec_lo, exec_lo, s5
	v_mov_b32_e32 v51, 0
	ds_load_b32 v51, v51 offset:68
	s_wait_dscnt 0x0
	v_mul_f32_e32 v51, v122, v51
.LBB89_113:
	s_or_b32 exec_lo, exec_lo, s4
	v_cmp_lt_u32_e64 s0, 16, v0
	ds_store_b32 v121, v50
	s_wait_dscnt 0x0
	s_barrier_signal -1
	s_barrier_wait -1
	s_and_saveexec_b32 s4, s0
	s_cbranch_execz .LBB89_129
; %bb.114:
	s_and_not1_b32 vcc_lo, exec_lo, s30
	s_cbranch_vccnz .LBB89_116
; %bb.115:
	v_cmp_eq_u32_e32 vcc_lo, 1, v0
	ds_load_b32 v119, v121
	v_cndmask_b32_e32 v118, v34, v35, vcc_lo
	v_cmp_eq_u32_e32 vcc_lo, 2, v0
	s_delay_alu instid0(VALU_DEP_2) | instskip(SKIP_1) | instid1(VALU_DEP_2)
	v_cndmask_b32_e32 v118, v118, v36, vcc_lo
	v_cmp_eq_u32_e32 vcc_lo, 3, v0
	v_cndmask_b32_e32 v118, v118, v37, vcc_lo
	v_cmp_eq_u32_e32 vcc_lo, 4, v0
	s_delay_alu instid0(VALU_DEP_2) | instskip(SKIP_1) | instid1(VALU_DEP_2)
	v_cndmask_b32_e32 v118, v118, v38, vcc_lo
	v_cmp_eq_u32_e32 vcc_lo, 5, v0
	;; [unrolled: 5-line block ×12, first 2 shown]
	v_cndmask_b32_e32 v118, v118, v59, vcc_lo
	s_wait_dscnt 0x0
	s_delay_alu instid0(VALU_DEP_1)
	v_mul_f32_e32 v122, v118, v119
	s_cbranch_execz .LBB89_117
	s_branch .LBB89_118
.LBB89_116:
                                        ; implicit-def: $vgpr122
.LBB89_117:
	ds_load_b32 v122, v121
.LBB89_118:
	s_and_saveexec_b32 s5, s1
	s_cbranch_execz .LBB89_128
; %bb.119:
	v_subrev_nc_u32_e32 v120, 18, v0
	v_mov_b32_e32 v118, 17
	v_subrev_nc_u32_e32 v119, 17, v0
	s_mov_b32 s1, exec_lo
	s_delay_alu instid0(VALU_DEP_3)
	v_cmpx_lt_u32_e32 6, v120
	s_cbranch_execz .LBB89_123
; %bb.120:
	s_delay_alu instid0(VALU_DEP_2) | instskip(SKIP_3) | instid1(VALU_DEP_1)
	v_and_b32_e32 v118, -8, v119
	s_mov_b32 s6, 0
	s_mov_b64 s[2:3], 24
	s_movk_i32 s7, 0xb4
	v_sub_nc_u32_e32 v120, 0, v118
.LBB89_121:                             ; =>This Inner Loop Header: Depth=1
	s_add_co_i32 m0, s2, -7
	v_movrels_b32_e32 v123, v34
	v_mov_b32_e32 v118, s7
	s_add_co_i32 m0, s2, -6
	s_add_co_i32 s7, s7, 32
	v_movrels_b32_e32 v132, v34
	ds_load_2addr_b32 v[124:125], v118 offset1:1
	ds_load_2addr_b32 v[126:127], v118 offset0:2 offset1:3
	s_add_co_i32 m0, s2, -5
	s_wait_dscnt 0x1
	v_fmac_f32_e32 v122, v123, v124
	ds_load_2addr_b32 v[128:129], v118 offset0:4 offset1:5
	ds_load_2addr_b32 v[130:131], v118 offset0:6 offset1:7
	v_movrels_b32_e32 v118, v34
	s_add_co_i32 m0, s2, -4
	v_fmac_f32_e32 v122, v132, v125
	v_movrels_b32_e32 v123, v34
	s_add_co_i32 m0, s2, -3
	s_wait_dscnt 0x2
	s_delay_alu instid0(VALU_DEP_2) | instskip(SKIP_2) | instid1(VALU_DEP_2)
	v_fmac_f32_e32 v122, v118, v126
	v_movrels_b32_e32 v118, v34
	s_add_co_i32 m0, s2, -2
	v_fmac_f32_e32 v122, v123, v127
	v_movrels_b32_e32 v123, v34
	s_add_co_i32 m0, s2, -1
	s_wait_dscnt 0x1
	s_delay_alu instid0(VALU_DEP_2)
	v_fmac_f32_e32 v122, v118, v128
	v_movrels_b32_e32 v118, v34
	s_mov_b32 m0, s2
	s_add_nc_u64 s[2:3], s[2:3], 8
	v_movrels_b32_e32 v124, v34
	v_dual_fmac_f32 v122, v123, v129 :: v_dual_add_nc_u32 v123, s2, v120
	s_add_co_i32 s8, s2, -7
	s_wait_dscnt 0x0
	s_delay_alu instid0(VALU_DEP_1) | instskip(NEXT) | instid1(VALU_DEP_2)
	v_fmac_f32_e32 v122, v118, v130
	v_cmp_eq_u32_e32 vcc_lo, 24, v123
	s_delay_alu instid0(VALU_DEP_2) | instskip(SKIP_1) | instid1(SALU_CYCLE_1)
	v_dual_mov_b32 v118, s8 :: v_dual_fmac_f32 v122, v124, v131
	s_or_b32 s6, vcc_lo, s6
	s_and_not1_b32 exec_lo, exec_lo, s6
	s_cbranch_execnz .LBB89_121
; %bb.122:
	s_or_b32 exec_lo, exec_lo, s6
.LBB89_123:
	s_delay_alu instid0(SALU_CYCLE_1) | instskip(SKIP_3) | instid1(VALU_DEP_1)
	s_or_b32 exec_lo, exec_lo, s1
	v_and_b32_e32 v60, 7, v119
	s_mov_b32 s2, 0
	s_mov_b32 s1, exec_lo
	v_cmpx_ne_u32_e32 0, v60
	s_cbranch_execz .LBB89_127
; %bb.124:
	v_lshl_add_u32 v61, v118, 2, 0x70
	v_mov_b32_e32 v119, 0
.LBB89_125:                             ; =>This Inner Loop Header: Depth=1
	v_cmp_eq_u32_e32 vcc_lo, 1, v118
	ds_load_b32 v63, v61
	v_dual_add_nc_u32 v60, -1, v60 :: v_dual_add_nc_u32 v61, 4, v61
	v_cndmask_b32_e32 v62, v34, v35, vcc_lo
	v_cmp_eq_u32_e32 vcc_lo, 2, v118
	s_delay_alu instid0(VALU_DEP_2) | instskip(SKIP_1) | instid1(VALU_DEP_2)
	v_cndmask_b32_e32 v62, v62, v36, vcc_lo
	v_cmp_eq_u32_e32 vcc_lo, 3, v118
	v_cndmask_b32_e32 v62, v62, v37, vcc_lo
	v_cmp_eq_u32_e32 vcc_lo, 4, v118
	s_delay_alu instid0(VALU_DEP_2) | instskip(SKIP_1) | instid1(VALU_DEP_2)
	v_cndmask_b32_e32 v62, v62, v38, vcc_lo
	v_cmp_eq_u32_e32 vcc_lo, 5, v118
	;; [unrolled: 5-line block ×11, first 2 shown]
	v_cndmask_b32_e32 v62, v62, v57, vcc_lo
	v_cmp_eq_u32_e32 vcc_lo, 24, v118
	s_delay_alu instid0(VALU_DEP_2) | instskip(SKIP_2) | instid1(VALU_DEP_3)
	v_cndmask_b32_e32 v62, v62, v58, vcc_lo
	v_cmp_eq_u32_e32 vcc_lo, 25, v118
	v_add_nc_u64_e32 v[118:119], 1, v[118:119]
	v_cndmask_b32_e32 v62, v62, v59, vcc_lo
	v_cmp_eq_u32_e32 vcc_lo, 0, v60
	s_wait_dscnt 0x0
	s_delay_alu instid0(VALU_DEP_2) | instskip(SKIP_1) | instid1(SALU_CYCLE_1)
	v_fmac_f32_e32 v122, v62, v63
	s_or_b32 s2, vcc_lo, s2
	s_and_not1_b32 exec_lo, exec_lo, s2
	s_cbranch_execnz .LBB89_125
; %bb.126:
	s_or_b32 exec_lo, exec_lo, s2
.LBB89_127:
	s_delay_alu instid0(SALU_CYCLE_1)
	s_or_b32 exec_lo, exec_lo, s1
.LBB89_128:
	s_delay_alu instid0(SALU_CYCLE_1)
	s_or_b32 exec_lo, exec_lo, s5
	v_mov_b32_e32 v50, 0
	ds_load_b32 v50, v50 offset:64
	s_wait_dscnt 0x0
	v_mul_f32_e32 v50, v122, v50
.LBB89_129:
	s_or_b32 exec_lo, exec_lo, s4
	v_cmp_lt_u32_e64 s1, 15, v0
	ds_store_b32 v121, v49
	s_wait_dscnt 0x0
	s_barrier_signal -1
	s_barrier_wait -1
	s_and_saveexec_b32 s4, s1
	s_cbranch_execz .LBB89_145
; %bb.130:
	s_and_not1_b32 vcc_lo, exec_lo, s30
	s_cbranch_vccnz .LBB89_132
; %bb.131:
	v_cmp_eq_u32_e32 vcc_lo, 1, v0
	ds_load_b32 v119, v121
	v_cndmask_b32_e32 v118, v34, v35, vcc_lo
	v_cmp_eq_u32_e32 vcc_lo, 2, v0
	s_delay_alu instid0(VALU_DEP_2) | instskip(SKIP_1) | instid1(VALU_DEP_2)
	v_cndmask_b32_e32 v118, v118, v36, vcc_lo
	v_cmp_eq_u32_e32 vcc_lo, 3, v0
	v_cndmask_b32_e32 v118, v118, v37, vcc_lo
	v_cmp_eq_u32_e32 vcc_lo, 4, v0
	s_delay_alu instid0(VALU_DEP_2) | instskip(SKIP_1) | instid1(VALU_DEP_2)
	v_cndmask_b32_e32 v118, v118, v38, vcc_lo
	v_cmp_eq_u32_e32 vcc_lo, 5, v0
	;; [unrolled: 5-line block ×12, first 2 shown]
	v_cndmask_b32_e32 v118, v118, v59, vcc_lo
	s_wait_dscnt 0x0
	s_delay_alu instid0(VALU_DEP_1)
	v_mul_f32_e32 v122, v118, v119
	s_cbranch_execz .LBB89_133
	s_branch .LBB89_134
.LBB89_132:
                                        ; implicit-def: $vgpr122
.LBB89_133:
	ds_load_b32 v122, v121
.LBB89_134:
	s_and_saveexec_b32 s5, s0
	s_cbranch_execz .LBB89_144
; %bb.135:
	v_subrev_nc_u32_e32 v118, 17, v0
	s_delay_alu instid0(VALU_DEP_1)
	v_cmp_lt_u32_e32 vcc_lo, 6, v118
	v_mov_b32_e32 v118, 16
	s_and_saveexec_b32 s0, vcc_lo
	s_cbranch_execz .LBB89_139
; %bb.136:
	v_and_b32_e32 v118, 24, v0
	s_mov_b32 s6, 0
	s_mov_b64 s[2:3], 23
	s_movk_i32 s7, 0xb0
	s_delay_alu instid0(VALU_DEP_1)
	v_sub_nc_u32_e32 v120, 0, v118
.LBB89_137:                             ; =>This Inner Loop Header: Depth=1
	s_add_co_i32 m0, s2, -7
	v_movrels_b32_e32 v119, v34
	v_mov_b32_e32 v118, s7
	s_add_co_i32 m0, s2, -6
	s_add_co_i32 s7, s7, 32
	v_movrels_b32_e32 v123, v34
	s_add_co_i32 m0, s2, -5
	ds_load_b128 v[124:127], v118
	ds_load_b128 v[128:131], v118 offset:16
	v_movrels_b32_e32 v118, v34
	s_add_co_i32 m0, s2, -4
	s_wait_dscnt 0x1
	v_fmac_f32_e32 v122, v119, v124
	v_movrels_b32_e32 v119, v34
	s_add_co_i32 m0, s2, -3
	s_delay_alu instid0(VALU_DEP_2) | instskip(NEXT) | instid1(VALU_DEP_1)
	v_fmac_f32_e32 v122, v123, v125
	v_fmac_f32_e32 v122, v118, v126
	v_movrels_b32_e32 v118, v34
	s_add_co_i32 m0, s2, -2
	s_delay_alu instid0(VALU_DEP_2) | instskip(SKIP_3) | instid1(VALU_DEP_2)
	v_fmac_f32_e32 v122, v119, v127
	v_movrels_b32_e32 v119, v34
	s_add_co_i32 m0, s2, -1
	s_wait_dscnt 0x0
	v_fmac_f32_e32 v122, v118, v128
	v_movrels_b32_e32 v118, v34
	s_mov_b32 m0, s2
	s_add_nc_u64 s[2:3], s[2:3], 8
	v_movrels_b32_e32 v123, v34
	v_dual_fmac_f32 v122, v119, v129 :: v_dual_add_nc_u32 v119, s2, v120
	s_add_co_i32 s8, s2, -7
	s_delay_alu instid0(VALU_DEP_1) | instskip(NEXT) | instid1(VALU_DEP_2)
	v_fmac_f32_e32 v122, v118, v130
	v_cmp_eq_u32_e32 vcc_lo, 7, v119
	s_delay_alu instid0(VALU_DEP_2) | instskip(SKIP_1) | instid1(SALU_CYCLE_1)
	v_dual_mov_b32 v118, s8 :: v_dual_fmac_f32 v122, v123, v131
	s_or_b32 s6, vcc_lo, s6
	s_and_not1_b32 exec_lo, exec_lo, s6
	s_cbranch_execnz .LBB89_137
; %bb.138:
	s_or_b32 exec_lo, exec_lo, s6
.LBB89_139:
	s_delay_alu instid0(SALU_CYCLE_1) | instskip(SKIP_3) | instid1(VALU_DEP_1)
	s_or_b32 exec_lo, exec_lo, s0
	v_and_b32_e32 v60, 7, v0
	s_mov_b32 s2, 0
	s_mov_b32 s0, exec_lo
	v_cmpx_ne_u32_e32 0, v60
	s_cbranch_execz .LBB89_143
; %bb.140:
	v_lshl_add_u32 v61, v118, 2, 0x70
	v_mov_b32_e32 v119, 0
.LBB89_141:                             ; =>This Inner Loop Header: Depth=1
	v_cmp_eq_u32_e32 vcc_lo, 1, v118
	ds_load_b32 v63, v61
	v_dual_add_nc_u32 v60, -1, v60 :: v_dual_add_nc_u32 v61, 4, v61
	v_cndmask_b32_e32 v62, v34, v35, vcc_lo
	v_cmp_eq_u32_e32 vcc_lo, 2, v118
	s_delay_alu instid0(VALU_DEP_2) | instskip(SKIP_1) | instid1(VALU_DEP_2)
	v_cndmask_b32_e32 v62, v62, v36, vcc_lo
	v_cmp_eq_u32_e32 vcc_lo, 3, v118
	v_cndmask_b32_e32 v62, v62, v37, vcc_lo
	v_cmp_eq_u32_e32 vcc_lo, 4, v118
	s_delay_alu instid0(VALU_DEP_2) | instskip(SKIP_1) | instid1(VALU_DEP_2)
	v_cndmask_b32_e32 v62, v62, v38, vcc_lo
	v_cmp_eq_u32_e32 vcc_lo, 5, v118
	v_cndmask_b32_e32 v62, v62, v39, vcc_lo
	v_cmp_eq_u32_e32 vcc_lo, 6, v118
	s_delay_alu instid0(VALU_DEP_2) | instskip(SKIP_1) | instid1(VALU_DEP_2)
	v_cndmask_b32_e32 v62, v62, v40, vcc_lo
	v_cmp_eq_u32_e32 vcc_lo, 7, v118
	v_cndmask_b32_e32 v62, v62, v41, vcc_lo
	v_cmp_eq_u32_e32 vcc_lo, 8, v118
	s_delay_alu instid0(VALU_DEP_2) | instskip(SKIP_1) | instid1(VALU_DEP_2)
	v_cndmask_b32_e32 v62, v62, v42, vcc_lo
	v_cmp_eq_u32_e32 vcc_lo, 9, v118
	v_cndmask_b32_e32 v62, v62, v43, vcc_lo
	v_cmp_eq_u32_e32 vcc_lo, 10, v118
	s_delay_alu instid0(VALU_DEP_2) | instskip(SKIP_1) | instid1(VALU_DEP_2)
	v_cndmask_b32_e32 v62, v62, v44, vcc_lo
	v_cmp_eq_u32_e32 vcc_lo, 11, v118
	v_cndmask_b32_e32 v62, v62, v45, vcc_lo
	v_cmp_eq_u32_e32 vcc_lo, 12, v118
	s_delay_alu instid0(VALU_DEP_2) | instskip(SKIP_1) | instid1(VALU_DEP_2)
	v_cndmask_b32_e32 v62, v62, v46, vcc_lo
	v_cmp_eq_u32_e32 vcc_lo, 13, v118
	v_cndmask_b32_e32 v62, v62, v47, vcc_lo
	v_cmp_eq_u32_e32 vcc_lo, 14, v118
	s_delay_alu instid0(VALU_DEP_2) | instskip(SKIP_1) | instid1(VALU_DEP_2)
	v_cndmask_b32_e32 v62, v62, v48, vcc_lo
	v_cmp_eq_u32_e32 vcc_lo, 15, v118
	v_cndmask_b32_e32 v62, v62, v49, vcc_lo
	v_cmp_eq_u32_e32 vcc_lo, 16, v118
	s_delay_alu instid0(VALU_DEP_2) | instskip(SKIP_1) | instid1(VALU_DEP_2)
	v_cndmask_b32_e32 v62, v62, v50, vcc_lo
	v_cmp_eq_u32_e32 vcc_lo, 17, v118
	v_cndmask_b32_e32 v62, v62, v51, vcc_lo
	v_cmp_eq_u32_e32 vcc_lo, 18, v118
	s_delay_alu instid0(VALU_DEP_2) | instskip(SKIP_1) | instid1(VALU_DEP_2)
	v_cndmask_b32_e32 v62, v62, v52, vcc_lo
	v_cmp_eq_u32_e32 vcc_lo, 19, v118
	v_cndmask_b32_e32 v62, v62, v53, vcc_lo
	v_cmp_eq_u32_e32 vcc_lo, 20, v118
	s_delay_alu instid0(VALU_DEP_2) | instskip(SKIP_1) | instid1(VALU_DEP_2)
	v_cndmask_b32_e32 v62, v62, v54, vcc_lo
	v_cmp_eq_u32_e32 vcc_lo, 21, v118
	v_cndmask_b32_e32 v62, v62, v55, vcc_lo
	v_cmp_eq_u32_e32 vcc_lo, 22, v118
	s_delay_alu instid0(VALU_DEP_2) | instskip(SKIP_1) | instid1(VALU_DEP_2)
	v_cndmask_b32_e32 v62, v62, v56, vcc_lo
	v_cmp_eq_u32_e32 vcc_lo, 23, v118
	v_cndmask_b32_e32 v62, v62, v57, vcc_lo
	v_cmp_eq_u32_e32 vcc_lo, 24, v118
	s_delay_alu instid0(VALU_DEP_2) | instskip(SKIP_2) | instid1(VALU_DEP_3)
	v_cndmask_b32_e32 v62, v62, v58, vcc_lo
	v_cmp_eq_u32_e32 vcc_lo, 25, v118
	v_add_nc_u64_e32 v[118:119], 1, v[118:119]
	v_cndmask_b32_e32 v62, v62, v59, vcc_lo
	v_cmp_eq_u32_e32 vcc_lo, 0, v60
	s_wait_dscnt 0x0
	s_delay_alu instid0(VALU_DEP_2) | instskip(SKIP_1) | instid1(SALU_CYCLE_1)
	v_fmac_f32_e32 v122, v62, v63
	s_or_b32 s2, vcc_lo, s2
	s_and_not1_b32 exec_lo, exec_lo, s2
	s_cbranch_execnz .LBB89_141
; %bb.142:
	s_or_b32 exec_lo, exec_lo, s2
.LBB89_143:
	s_delay_alu instid0(SALU_CYCLE_1)
	s_or_b32 exec_lo, exec_lo, s0
.LBB89_144:
	s_delay_alu instid0(SALU_CYCLE_1)
	s_or_b32 exec_lo, exec_lo, s5
	v_mov_b32_e32 v49, 0
	ds_load_b32 v49, v49 offset:60
	s_wait_dscnt 0x0
	v_mul_f32_e32 v49, v122, v49
.LBB89_145:
	s_or_b32 exec_lo, exec_lo, s4
	v_cmp_lt_u32_e64 s0, 14, v0
	ds_store_b32 v121, v48
	s_wait_dscnt 0x0
	s_barrier_signal -1
	s_barrier_wait -1
	s_and_saveexec_b32 s4, s0
	s_cbranch_execz .LBB89_161
; %bb.146:
	s_and_not1_b32 vcc_lo, exec_lo, s30
	s_cbranch_vccnz .LBB89_148
; %bb.147:
	v_cmp_eq_u32_e32 vcc_lo, 1, v0
	ds_load_b32 v119, v121
	v_cndmask_b32_e32 v118, v34, v35, vcc_lo
	v_cmp_eq_u32_e32 vcc_lo, 2, v0
	s_delay_alu instid0(VALU_DEP_2) | instskip(SKIP_1) | instid1(VALU_DEP_2)
	v_cndmask_b32_e32 v118, v118, v36, vcc_lo
	v_cmp_eq_u32_e32 vcc_lo, 3, v0
	v_cndmask_b32_e32 v118, v118, v37, vcc_lo
	v_cmp_eq_u32_e32 vcc_lo, 4, v0
	s_delay_alu instid0(VALU_DEP_2) | instskip(SKIP_1) | instid1(VALU_DEP_2)
	v_cndmask_b32_e32 v118, v118, v38, vcc_lo
	v_cmp_eq_u32_e32 vcc_lo, 5, v0
	;; [unrolled: 5-line block ×12, first 2 shown]
	v_cndmask_b32_e32 v118, v118, v59, vcc_lo
	s_wait_dscnt 0x0
	s_delay_alu instid0(VALU_DEP_1)
	v_mul_f32_e32 v122, v118, v119
	s_cbranch_execz .LBB89_149
	s_branch .LBB89_150
.LBB89_148:
                                        ; implicit-def: $vgpr122
.LBB89_149:
	ds_load_b32 v122, v121
.LBB89_150:
	s_and_saveexec_b32 s5, s1
	s_cbranch_execz .LBB89_160
; %bb.151:
	v_dual_add_nc_u32 v118, -16, v0 :: v_dual_add_nc_u32 v119, -15, v0
	s_delay_alu instid0(VALU_DEP_1)
	v_cmp_lt_u32_e32 vcc_lo, 6, v118
	v_mov_b32_e32 v118, 15
	s_and_saveexec_b32 s1, vcc_lo
	s_cbranch_execz .LBB89_155
; %bb.152:
	v_and_b32_e32 v118, -8, v119
	s_mov_b32 s6, 0
	s_mov_b64 s[2:3], 22
	s_movk_i32 s7, 0xac
	s_delay_alu instid0(VALU_DEP_1)
	v_sub_nc_u32_e32 v120, 0, v118
.LBB89_153:                             ; =>This Inner Loop Header: Depth=1
	s_add_co_i32 m0, s2, -7
	v_movrels_b32_e32 v123, v34
	v_mov_b32_e32 v118, s7
	s_add_co_i32 m0, s2, -6
	s_add_co_i32 s7, s7, 32
	v_movrels_b32_e32 v132, v34
	ds_load_2addr_b32 v[124:125], v118 offset1:1
	ds_load_2addr_b32 v[126:127], v118 offset0:2 offset1:3
	s_add_co_i32 m0, s2, -5
	s_wait_dscnt 0x1
	v_fmac_f32_e32 v122, v123, v124
	ds_load_2addr_b32 v[128:129], v118 offset0:4 offset1:5
	ds_load_2addr_b32 v[130:131], v118 offset0:6 offset1:7
	v_movrels_b32_e32 v118, v34
	s_add_co_i32 m0, s2, -4
	v_fmac_f32_e32 v122, v132, v125
	v_movrels_b32_e32 v123, v34
	s_add_co_i32 m0, s2, -3
	s_wait_dscnt 0x2
	s_delay_alu instid0(VALU_DEP_2) | instskip(SKIP_2) | instid1(VALU_DEP_2)
	v_fmac_f32_e32 v122, v118, v126
	v_movrels_b32_e32 v118, v34
	s_add_co_i32 m0, s2, -2
	v_fmac_f32_e32 v122, v123, v127
	v_movrels_b32_e32 v123, v34
	s_add_co_i32 m0, s2, -1
	s_wait_dscnt 0x1
	s_delay_alu instid0(VALU_DEP_2)
	v_fmac_f32_e32 v122, v118, v128
	v_movrels_b32_e32 v118, v34
	s_mov_b32 m0, s2
	s_add_nc_u64 s[2:3], s[2:3], 8
	v_movrels_b32_e32 v124, v34
	v_dual_fmac_f32 v122, v123, v129 :: v_dual_add_nc_u32 v123, s2, v120
	s_add_co_i32 s8, s2, -7
	s_wait_dscnt 0x0
	s_delay_alu instid0(VALU_DEP_1) | instskip(NEXT) | instid1(VALU_DEP_2)
	v_fmac_f32_e32 v122, v118, v130
	v_cmp_eq_u32_e32 vcc_lo, 22, v123
	s_delay_alu instid0(VALU_DEP_2) | instskip(SKIP_1) | instid1(SALU_CYCLE_1)
	v_dual_mov_b32 v118, s8 :: v_dual_fmac_f32 v122, v124, v131
	s_or_b32 s6, vcc_lo, s6
	s_and_not1_b32 exec_lo, exec_lo, s6
	s_cbranch_execnz .LBB89_153
; %bb.154:
	s_or_b32 exec_lo, exec_lo, s6
.LBB89_155:
	s_delay_alu instid0(SALU_CYCLE_1) | instskip(SKIP_3) | instid1(VALU_DEP_1)
	s_or_b32 exec_lo, exec_lo, s1
	v_and_b32_e32 v60, 7, v119
	s_mov_b32 s2, 0
	s_mov_b32 s1, exec_lo
	v_cmpx_ne_u32_e32 0, v60
	s_cbranch_execz .LBB89_159
; %bb.156:
	v_lshl_add_u32 v61, v118, 2, 0x70
	v_mov_b32_e32 v119, 0
.LBB89_157:                             ; =>This Inner Loop Header: Depth=1
	v_cmp_eq_u32_e32 vcc_lo, 1, v118
	ds_load_b32 v63, v61
	v_dual_add_nc_u32 v60, -1, v60 :: v_dual_add_nc_u32 v61, 4, v61
	v_cndmask_b32_e32 v62, v34, v35, vcc_lo
	v_cmp_eq_u32_e32 vcc_lo, 2, v118
	s_delay_alu instid0(VALU_DEP_2) | instskip(SKIP_1) | instid1(VALU_DEP_2)
	v_cndmask_b32_e32 v62, v62, v36, vcc_lo
	v_cmp_eq_u32_e32 vcc_lo, 3, v118
	v_cndmask_b32_e32 v62, v62, v37, vcc_lo
	v_cmp_eq_u32_e32 vcc_lo, 4, v118
	s_delay_alu instid0(VALU_DEP_2) | instskip(SKIP_1) | instid1(VALU_DEP_2)
	v_cndmask_b32_e32 v62, v62, v38, vcc_lo
	v_cmp_eq_u32_e32 vcc_lo, 5, v118
	;; [unrolled: 5-line block ×11, first 2 shown]
	v_cndmask_b32_e32 v62, v62, v57, vcc_lo
	v_cmp_eq_u32_e32 vcc_lo, 24, v118
	s_delay_alu instid0(VALU_DEP_2) | instskip(SKIP_2) | instid1(VALU_DEP_3)
	v_cndmask_b32_e32 v62, v62, v58, vcc_lo
	v_cmp_eq_u32_e32 vcc_lo, 25, v118
	v_add_nc_u64_e32 v[118:119], 1, v[118:119]
	v_cndmask_b32_e32 v62, v62, v59, vcc_lo
	v_cmp_eq_u32_e32 vcc_lo, 0, v60
	s_wait_dscnt 0x0
	s_delay_alu instid0(VALU_DEP_2) | instskip(SKIP_1) | instid1(SALU_CYCLE_1)
	v_fmac_f32_e32 v122, v62, v63
	s_or_b32 s2, vcc_lo, s2
	s_and_not1_b32 exec_lo, exec_lo, s2
	s_cbranch_execnz .LBB89_157
; %bb.158:
	s_or_b32 exec_lo, exec_lo, s2
.LBB89_159:
	s_delay_alu instid0(SALU_CYCLE_1)
	s_or_b32 exec_lo, exec_lo, s1
.LBB89_160:
	s_delay_alu instid0(SALU_CYCLE_1)
	s_or_b32 exec_lo, exec_lo, s5
	v_mov_b32_e32 v48, 0
	ds_load_b32 v48, v48 offset:56
	s_wait_dscnt 0x0
	v_mul_f32_e32 v48, v122, v48
.LBB89_161:
	s_or_b32 exec_lo, exec_lo, s4
	v_cmp_lt_u32_e64 s1, 13, v0
	ds_store_b32 v121, v47
	s_wait_dscnt 0x0
	s_barrier_signal -1
	s_barrier_wait -1
	s_and_saveexec_b32 s4, s1
	s_cbranch_execz .LBB89_177
; %bb.162:
	s_and_not1_b32 vcc_lo, exec_lo, s30
	s_cbranch_vccnz .LBB89_164
; %bb.163:
	v_cmp_eq_u32_e32 vcc_lo, 1, v0
	ds_load_b32 v119, v121
	v_cndmask_b32_e32 v118, v34, v35, vcc_lo
	v_cmp_eq_u32_e32 vcc_lo, 2, v0
	s_delay_alu instid0(VALU_DEP_2) | instskip(SKIP_1) | instid1(VALU_DEP_2)
	v_cndmask_b32_e32 v118, v118, v36, vcc_lo
	v_cmp_eq_u32_e32 vcc_lo, 3, v0
	v_cndmask_b32_e32 v118, v118, v37, vcc_lo
	v_cmp_eq_u32_e32 vcc_lo, 4, v0
	s_delay_alu instid0(VALU_DEP_2) | instskip(SKIP_1) | instid1(VALU_DEP_2)
	v_cndmask_b32_e32 v118, v118, v38, vcc_lo
	v_cmp_eq_u32_e32 vcc_lo, 5, v0
	;; [unrolled: 5-line block ×12, first 2 shown]
	v_cndmask_b32_e32 v118, v118, v59, vcc_lo
	s_wait_dscnt 0x0
	s_delay_alu instid0(VALU_DEP_1)
	v_mul_f32_e32 v122, v118, v119
	s_cbranch_execz .LBB89_165
	s_branch .LBB89_166
.LBB89_164:
                                        ; implicit-def: $vgpr122
.LBB89_165:
	ds_load_b32 v122, v121
.LBB89_166:
	s_and_saveexec_b32 s5, s0
	s_cbranch_execz .LBB89_176
; %bb.167:
	v_dual_add_nc_u32 v118, -15, v0 :: v_dual_add_nc_u32 v119, -14, v0
	s_delay_alu instid0(VALU_DEP_1)
	v_cmp_lt_u32_e32 vcc_lo, 6, v118
	v_mov_b32_e32 v118, 14
	s_and_saveexec_b32 s0, vcc_lo
	s_cbranch_execz .LBB89_171
; %bb.168:
	v_and_b32_e32 v118, -8, v119
	s_mov_b32 s6, 0
	s_mov_b64 s[2:3], 21
	s_movk_i32 s7, 0xa8
	s_delay_alu instid0(VALU_DEP_1)
	v_sub_nc_u32_e32 v120, 0, v118
.LBB89_169:                             ; =>This Inner Loop Header: Depth=1
	s_add_co_i32 m0, s2, -7
	v_movrels_b32_e32 v123, v34
	v_mov_b32_e32 v118, s7
	s_add_co_i32 m0, s2, -6
	s_add_co_i32 s7, s7, 32
	v_movrels_b32_e32 v132, v34
	s_add_co_i32 m0, s2, -5
	ds_load_2addr_b64 v[124:127], v118 offset1:1
	ds_load_2addr_b64 v[128:131], v118 offset0:2 offset1:3
	v_movrels_b32_e32 v118, v34
	s_add_co_i32 m0, s2, -4
	s_wait_dscnt 0x1
	v_fmac_f32_e32 v122, v123, v124
	v_movrels_b32_e32 v123, v34
	s_add_co_i32 m0, s2, -3
	s_delay_alu instid0(VALU_DEP_2) | instskip(NEXT) | instid1(VALU_DEP_1)
	v_fmac_f32_e32 v122, v132, v125
	v_fmac_f32_e32 v122, v118, v126
	v_movrels_b32_e32 v118, v34
	s_add_co_i32 m0, s2, -2
	s_delay_alu instid0(VALU_DEP_2) | instskip(SKIP_3) | instid1(VALU_DEP_2)
	v_fmac_f32_e32 v122, v123, v127
	v_movrels_b32_e32 v123, v34
	s_add_co_i32 m0, s2, -1
	s_wait_dscnt 0x0
	v_fmac_f32_e32 v122, v118, v128
	v_movrels_b32_e32 v118, v34
	s_mov_b32 m0, s2
	s_add_nc_u64 s[2:3], s[2:3], 8
	v_movrels_b32_e32 v124, v34
	v_dual_fmac_f32 v122, v123, v129 :: v_dual_add_nc_u32 v123, s2, v120
	s_add_co_i32 s8, s2, -7
	s_delay_alu instid0(VALU_DEP_1) | instskip(NEXT) | instid1(VALU_DEP_2)
	v_fmac_f32_e32 v122, v118, v130
	v_cmp_eq_u32_e32 vcc_lo, 21, v123
	s_delay_alu instid0(VALU_DEP_2) | instskip(SKIP_1) | instid1(SALU_CYCLE_1)
	v_dual_mov_b32 v118, s8 :: v_dual_fmac_f32 v122, v124, v131
	s_or_b32 s6, vcc_lo, s6
	s_and_not1_b32 exec_lo, exec_lo, s6
	s_cbranch_execnz .LBB89_169
; %bb.170:
	s_or_b32 exec_lo, exec_lo, s6
.LBB89_171:
	s_delay_alu instid0(SALU_CYCLE_1) | instskip(SKIP_3) | instid1(VALU_DEP_1)
	s_or_b32 exec_lo, exec_lo, s0
	v_and_b32_e32 v60, 7, v119
	s_mov_b32 s2, 0
	s_mov_b32 s0, exec_lo
	v_cmpx_ne_u32_e32 0, v60
	s_cbranch_execz .LBB89_175
; %bb.172:
	v_lshl_add_u32 v61, v118, 2, 0x70
	v_mov_b32_e32 v119, 0
.LBB89_173:                             ; =>This Inner Loop Header: Depth=1
	v_cmp_eq_u32_e32 vcc_lo, 1, v118
	ds_load_b32 v63, v61
	v_dual_add_nc_u32 v60, -1, v60 :: v_dual_add_nc_u32 v61, 4, v61
	v_cndmask_b32_e32 v62, v34, v35, vcc_lo
	v_cmp_eq_u32_e32 vcc_lo, 2, v118
	s_delay_alu instid0(VALU_DEP_2) | instskip(SKIP_1) | instid1(VALU_DEP_2)
	v_cndmask_b32_e32 v62, v62, v36, vcc_lo
	v_cmp_eq_u32_e32 vcc_lo, 3, v118
	v_cndmask_b32_e32 v62, v62, v37, vcc_lo
	v_cmp_eq_u32_e32 vcc_lo, 4, v118
	s_delay_alu instid0(VALU_DEP_2) | instskip(SKIP_1) | instid1(VALU_DEP_2)
	v_cndmask_b32_e32 v62, v62, v38, vcc_lo
	v_cmp_eq_u32_e32 vcc_lo, 5, v118
	;; [unrolled: 5-line block ×11, first 2 shown]
	v_cndmask_b32_e32 v62, v62, v57, vcc_lo
	v_cmp_eq_u32_e32 vcc_lo, 24, v118
	s_delay_alu instid0(VALU_DEP_2) | instskip(SKIP_2) | instid1(VALU_DEP_3)
	v_cndmask_b32_e32 v62, v62, v58, vcc_lo
	v_cmp_eq_u32_e32 vcc_lo, 25, v118
	v_add_nc_u64_e32 v[118:119], 1, v[118:119]
	v_cndmask_b32_e32 v62, v62, v59, vcc_lo
	v_cmp_eq_u32_e32 vcc_lo, 0, v60
	s_wait_dscnt 0x0
	s_delay_alu instid0(VALU_DEP_2) | instskip(SKIP_1) | instid1(SALU_CYCLE_1)
	v_fmac_f32_e32 v122, v62, v63
	s_or_b32 s2, vcc_lo, s2
	s_and_not1_b32 exec_lo, exec_lo, s2
	s_cbranch_execnz .LBB89_173
; %bb.174:
	s_or_b32 exec_lo, exec_lo, s2
.LBB89_175:
	s_delay_alu instid0(SALU_CYCLE_1)
	s_or_b32 exec_lo, exec_lo, s0
.LBB89_176:
	s_delay_alu instid0(SALU_CYCLE_1)
	s_or_b32 exec_lo, exec_lo, s5
	v_mov_b32_e32 v47, 0
	ds_load_b32 v47, v47 offset:52
	s_wait_dscnt 0x0
	v_mul_f32_e32 v47, v122, v47
.LBB89_177:
	s_or_b32 exec_lo, exec_lo, s4
	v_cmp_lt_u32_e64 s0, 12, v0
	ds_store_b32 v121, v46
	s_wait_dscnt 0x0
	s_barrier_signal -1
	s_barrier_wait -1
	s_and_saveexec_b32 s4, s0
	s_cbranch_execz .LBB89_193
; %bb.178:
	s_and_not1_b32 vcc_lo, exec_lo, s30
	s_cbranch_vccnz .LBB89_180
; %bb.179:
	v_cmp_eq_u32_e32 vcc_lo, 1, v0
	ds_load_b32 v119, v121
	v_cndmask_b32_e32 v118, v34, v35, vcc_lo
	v_cmp_eq_u32_e32 vcc_lo, 2, v0
	s_delay_alu instid0(VALU_DEP_2) | instskip(SKIP_1) | instid1(VALU_DEP_2)
	v_cndmask_b32_e32 v118, v118, v36, vcc_lo
	v_cmp_eq_u32_e32 vcc_lo, 3, v0
	v_cndmask_b32_e32 v118, v118, v37, vcc_lo
	v_cmp_eq_u32_e32 vcc_lo, 4, v0
	s_delay_alu instid0(VALU_DEP_2) | instskip(SKIP_1) | instid1(VALU_DEP_2)
	v_cndmask_b32_e32 v118, v118, v38, vcc_lo
	v_cmp_eq_u32_e32 vcc_lo, 5, v0
	;; [unrolled: 5-line block ×12, first 2 shown]
	v_cndmask_b32_e32 v118, v118, v59, vcc_lo
	s_wait_dscnt 0x0
	s_delay_alu instid0(VALU_DEP_1)
	v_mul_f32_e32 v122, v118, v119
	s_cbranch_execz .LBB89_181
	s_branch .LBB89_182
.LBB89_180:
                                        ; implicit-def: $vgpr122
.LBB89_181:
	ds_load_b32 v122, v121
.LBB89_182:
	s_and_saveexec_b32 s5, s1
	s_cbranch_execz .LBB89_192
; %bb.183:
	v_dual_add_nc_u32 v118, -14, v0 :: v_dual_add_nc_u32 v119, -13, v0
	s_delay_alu instid0(VALU_DEP_1)
	v_cmp_lt_u32_e32 vcc_lo, 6, v118
	v_mov_b32_e32 v118, 13
	s_and_saveexec_b32 s1, vcc_lo
	s_cbranch_execz .LBB89_187
; %bb.184:
	v_and_b32_e32 v118, -8, v119
	s_mov_b32 s6, 0
	s_mov_b64 s[2:3], 20
	s_movk_i32 s7, 0xa4
	s_delay_alu instid0(VALU_DEP_1)
	v_sub_nc_u32_e32 v120, 0, v118
.LBB89_185:                             ; =>This Inner Loop Header: Depth=1
	s_add_co_i32 m0, s2, -7
	v_movrels_b32_e32 v123, v34
	v_mov_b32_e32 v118, s7
	s_add_co_i32 m0, s2, -6
	s_add_co_i32 s7, s7, 32
	v_movrels_b32_e32 v132, v34
	ds_load_2addr_b32 v[124:125], v118 offset1:1
	ds_load_2addr_b32 v[126:127], v118 offset0:2 offset1:3
	s_add_co_i32 m0, s2, -5
	s_wait_dscnt 0x1
	v_fmac_f32_e32 v122, v123, v124
	ds_load_2addr_b32 v[128:129], v118 offset0:4 offset1:5
	ds_load_2addr_b32 v[130:131], v118 offset0:6 offset1:7
	v_movrels_b32_e32 v118, v34
	s_add_co_i32 m0, s2, -4
	v_fmac_f32_e32 v122, v132, v125
	v_movrels_b32_e32 v123, v34
	s_add_co_i32 m0, s2, -3
	s_wait_dscnt 0x2
	s_delay_alu instid0(VALU_DEP_2) | instskip(SKIP_2) | instid1(VALU_DEP_2)
	v_fmac_f32_e32 v122, v118, v126
	v_movrels_b32_e32 v118, v34
	s_add_co_i32 m0, s2, -2
	v_fmac_f32_e32 v122, v123, v127
	v_movrels_b32_e32 v123, v34
	s_add_co_i32 m0, s2, -1
	s_wait_dscnt 0x1
	s_delay_alu instid0(VALU_DEP_2)
	v_fmac_f32_e32 v122, v118, v128
	v_movrels_b32_e32 v118, v34
	s_mov_b32 m0, s2
	s_add_nc_u64 s[2:3], s[2:3], 8
	v_movrels_b32_e32 v124, v34
	v_dual_fmac_f32 v122, v123, v129 :: v_dual_add_nc_u32 v123, s2, v120
	s_add_co_i32 s8, s2, -7
	s_wait_dscnt 0x0
	s_delay_alu instid0(VALU_DEP_1) | instskip(NEXT) | instid1(VALU_DEP_2)
	v_fmac_f32_e32 v122, v118, v130
	v_cmp_eq_u32_e32 vcc_lo, 20, v123
	s_delay_alu instid0(VALU_DEP_2) | instskip(SKIP_1) | instid1(SALU_CYCLE_1)
	v_dual_mov_b32 v118, s8 :: v_dual_fmac_f32 v122, v124, v131
	s_or_b32 s6, vcc_lo, s6
	s_and_not1_b32 exec_lo, exec_lo, s6
	s_cbranch_execnz .LBB89_185
; %bb.186:
	s_or_b32 exec_lo, exec_lo, s6
.LBB89_187:
	s_delay_alu instid0(SALU_CYCLE_1) | instskip(SKIP_3) | instid1(VALU_DEP_1)
	s_or_b32 exec_lo, exec_lo, s1
	v_and_b32_e32 v60, 7, v119
	s_mov_b32 s2, 0
	s_mov_b32 s1, exec_lo
	v_cmpx_ne_u32_e32 0, v60
	s_cbranch_execz .LBB89_191
; %bb.188:
	v_lshl_add_u32 v61, v118, 2, 0x70
	v_mov_b32_e32 v119, 0
.LBB89_189:                             ; =>This Inner Loop Header: Depth=1
	v_cmp_eq_u32_e32 vcc_lo, 1, v118
	ds_load_b32 v63, v61
	v_dual_add_nc_u32 v60, -1, v60 :: v_dual_add_nc_u32 v61, 4, v61
	v_cndmask_b32_e32 v62, v34, v35, vcc_lo
	v_cmp_eq_u32_e32 vcc_lo, 2, v118
	s_delay_alu instid0(VALU_DEP_2) | instskip(SKIP_1) | instid1(VALU_DEP_2)
	v_cndmask_b32_e32 v62, v62, v36, vcc_lo
	v_cmp_eq_u32_e32 vcc_lo, 3, v118
	v_cndmask_b32_e32 v62, v62, v37, vcc_lo
	v_cmp_eq_u32_e32 vcc_lo, 4, v118
	s_delay_alu instid0(VALU_DEP_2) | instskip(SKIP_1) | instid1(VALU_DEP_2)
	v_cndmask_b32_e32 v62, v62, v38, vcc_lo
	v_cmp_eq_u32_e32 vcc_lo, 5, v118
	;; [unrolled: 5-line block ×11, first 2 shown]
	v_cndmask_b32_e32 v62, v62, v57, vcc_lo
	v_cmp_eq_u32_e32 vcc_lo, 24, v118
	s_delay_alu instid0(VALU_DEP_2) | instskip(SKIP_2) | instid1(VALU_DEP_3)
	v_cndmask_b32_e32 v62, v62, v58, vcc_lo
	v_cmp_eq_u32_e32 vcc_lo, 25, v118
	v_add_nc_u64_e32 v[118:119], 1, v[118:119]
	v_cndmask_b32_e32 v62, v62, v59, vcc_lo
	v_cmp_eq_u32_e32 vcc_lo, 0, v60
	s_wait_dscnt 0x0
	s_delay_alu instid0(VALU_DEP_2) | instskip(SKIP_1) | instid1(SALU_CYCLE_1)
	v_fmac_f32_e32 v122, v62, v63
	s_or_b32 s2, vcc_lo, s2
	s_and_not1_b32 exec_lo, exec_lo, s2
	s_cbranch_execnz .LBB89_189
; %bb.190:
	s_or_b32 exec_lo, exec_lo, s2
.LBB89_191:
	s_delay_alu instid0(SALU_CYCLE_1)
	s_or_b32 exec_lo, exec_lo, s1
.LBB89_192:
	s_delay_alu instid0(SALU_CYCLE_1)
	s_or_b32 exec_lo, exec_lo, s5
	v_mov_b32_e32 v46, 0
	ds_load_b32 v46, v46 offset:48
	s_wait_dscnt 0x0
	v_mul_f32_e32 v46, v122, v46
.LBB89_193:
	s_or_b32 exec_lo, exec_lo, s4
	v_cmp_lt_u32_e64 s1, 11, v0
	ds_store_b32 v121, v45
	s_wait_dscnt 0x0
	s_barrier_signal -1
	s_barrier_wait -1
	s_and_saveexec_b32 s4, s1
	s_cbranch_execz .LBB89_209
; %bb.194:
	s_and_not1_b32 vcc_lo, exec_lo, s30
	s_cbranch_vccnz .LBB89_196
; %bb.195:
	v_cmp_eq_u32_e32 vcc_lo, 1, v0
	ds_load_b32 v119, v121
	v_cndmask_b32_e32 v118, v34, v35, vcc_lo
	v_cmp_eq_u32_e32 vcc_lo, 2, v0
	s_delay_alu instid0(VALU_DEP_2) | instskip(SKIP_1) | instid1(VALU_DEP_2)
	v_cndmask_b32_e32 v118, v118, v36, vcc_lo
	v_cmp_eq_u32_e32 vcc_lo, 3, v0
	v_cndmask_b32_e32 v118, v118, v37, vcc_lo
	v_cmp_eq_u32_e32 vcc_lo, 4, v0
	s_delay_alu instid0(VALU_DEP_2) | instskip(SKIP_1) | instid1(VALU_DEP_2)
	v_cndmask_b32_e32 v118, v118, v38, vcc_lo
	v_cmp_eq_u32_e32 vcc_lo, 5, v0
	;; [unrolled: 5-line block ×12, first 2 shown]
	v_cndmask_b32_e32 v118, v118, v59, vcc_lo
	s_wait_dscnt 0x0
	s_delay_alu instid0(VALU_DEP_1)
	v_mul_f32_e32 v122, v118, v119
	s_cbranch_execz .LBB89_197
	s_branch .LBB89_198
.LBB89_196:
                                        ; implicit-def: $vgpr122
.LBB89_197:
	ds_load_b32 v122, v121
.LBB89_198:
	s_and_saveexec_b32 s5, s0
	s_cbranch_execz .LBB89_208
; %bb.199:
	v_dual_add_nc_u32 v118, -13, v0 :: v_dual_add_nc_u32 v119, -12, v0
	s_delay_alu instid0(VALU_DEP_1)
	v_cmp_lt_u32_e32 vcc_lo, 6, v118
	v_mov_b32_e32 v118, 12
	s_and_saveexec_b32 s0, vcc_lo
	s_cbranch_execz .LBB89_203
; %bb.200:
	v_and_b32_e32 v118, -8, v119
	s_mov_b32 s6, 0
	s_mov_b64 s[2:3], 19
	s_movk_i32 s7, 0xa0
	s_delay_alu instid0(VALU_DEP_1)
	v_sub_nc_u32_e32 v120, 0, v118
.LBB89_201:                             ; =>This Inner Loop Header: Depth=1
	s_add_co_i32 m0, s2, -7
	v_movrels_b32_e32 v123, v34
	v_mov_b32_e32 v118, s7
	s_add_co_i32 m0, s2, -6
	s_add_co_i32 s7, s7, 32
	v_movrels_b32_e32 v132, v34
	s_add_co_i32 m0, s2, -5
	ds_load_b128 v[124:127], v118
	ds_load_b128 v[128:131], v118 offset:16
	v_movrels_b32_e32 v118, v34
	s_add_co_i32 m0, s2, -4
	s_wait_dscnt 0x1
	v_fmac_f32_e32 v122, v123, v124
	v_movrels_b32_e32 v123, v34
	s_add_co_i32 m0, s2, -3
	s_delay_alu instid0(VALU_DEP_2) | instskip(NEXT) | instid1(VALU_DEP_1)
	v_fmac_f32_e32 v122, v132, v125
	v_fmac_f32_e32 v122, v118, v126
	v_movrels_b32_e32 v118, v34
	s_add_co_i32 m0, s2, -2
	s_delay_alu instid0(VALU_DEP_2) | instskip(SKIP_3) | instid1(VALU_DEP_2)
	v_fmac_f32_e32 v122, v123, v127
	v_movrels_b32_e32 v123, v34
	s_add_co_i32 m0, s2, -1
	s_wait_dscnt 0x0
	v_fmac_f32_e32 v122, v118, v128
	v_movrels_b32_e32 v118, v34
	s_mov_b32 m0, s2
	s_add_nc_u64 s[2:3], s[2:3], 8
	v_movrels_b32_e32 v124, v34
	v_dual_fmac_f32 v122, v123, v129 :: v_dual_add_nc_u32 v123, s2, v120
	s_add_co_i32 s8, s2, -7
	s_delay_alu instid0(VALU_DEP_1) | instskip(NEXT) | instid1(VALU_DEP_2)
	v_fmac_f32_e32 v122, v118, v130
	v_cmp_eq_u32_e32 vcc_lo, 19, v123
	s_delay_alu instid0(VALU_DEP_2) | instskip(SKIP_1) | instid1(SALU_CYCLE_1)
	v_dual_mov_b32 v118, s8 :: v_dual_fmac_f32 v122, v124, v131
	s_or_b32 s6, vcc_lo, s6
	s_and_not1_b32 exec_lo, exec_lo, s6
	s_cbranch_execnz .LBB89_201
; %bb.202:
	s_or_b32 exec_lo, exec_lo, s6
.LBB89_203:
	s_delay_alu instid0(SALU_CYCLE_1) | instskip(SKIP_3) | instid1(VALU_DEP_1)
	s_or_b32 exec_lo, exec_lo, s0
	v_and_b32_e32 v60, 7, v119
	s_mov_b32 s2, 0
	s_mov_b32 s0, exec_lo
	v_cmpx_ne_u32_e32 0, v60
	s_cbranch_execz .LBB89_207
; %bb.204:
	v_lshl_add_u32 v61, v118, 2, 0x70
	v_mov_b32_e32 v119, 0
.LBB89_205:                             ; =>This Inner Loop Header: Depth=1
	v_cmp_eq_u32_e32 vcc_lo, 1, v118
	ds_load_b32 v63, v61
	v_dual_add_nc_u32 v60, -1, v60 :: v_dual_add_nc_u32 v61, 4, v61
	v_cndmask_b32_e32 v62, v34, v35, vcc_lo
	v_cmp_eq_u32_e32 vcc_lo, 2, v118
	s_delay_alu instid0(VALU_DEP_2) | instskip(SKIP_1) | instid1(VALU_DEP_2)
	v_cndmask_b32_e32 v62, v62, v36, vcc_lo
	v_cmp_eq_u32_e32 vcc_lo, 3, v118
	v_cndmask_b32_e32 v62, v62, v37, vcc_lo
	v_cmp_eq_u32_e32 vcc_lo, 4, v118
	s_delay_alu instid0(VALU_DEP_2) | instskip(SKIP_1) | instid1(VALU_DEP_2)
	v_cndmask_b32_e32 v62, v62, v38, vcc_lo
	v_cmp_eq_u32_e32 vcc_lo, 5, v118
	;; [unrolled: 5-line block ×11, first 2 shown]
	v_cndmask_b32_e32 v62, v62, v57, vcc_lo
	v_cmp_eq_u32_e32 vcc_lo, 24, v118
	s_delay_alu instid0(VALU_DEP_2) | instskip(SKIP_2) | instid1(VALU_DEP_3)
	v_cndmask_b32_e32 v62, v62, v58, vcc_lo
	v_cmp_eq_u32_e32 vcc_lo, 25, v118
	v_add_nc_u64_e32 v[118:119], 1, v[118:119]
	v_cndmask_b32_e32 v62, v62, v59, vcc_lo
	v_cmp_eq_u32_e32 vcc_lo, 0, v60
	s_wait_dscnt 0x0
	s_delay_alu instid0(VALU_DEP_2) | instskip(SKIP_1) | instid1(SALU_CYCLE_1)
	v_fmac_f32_e32 v122, v62, v63
	s_or_b32 s2, vcc_lo, s2
	s_and_not1_b32 exec_lo, exec_lo, s2
	s_cbranch_execnz .LBB89_205
; %bb.206:
	s_or_b32 exec_lo, exec_lo, s2
.LBB89_207:
	s_delay_alu instid0(SALU_CYCLE_1)
	s_or_b32 exec_lo, exec_lo, s0
.LBB89_208:
	s_delay_alu instid0(SALU_CYCLE_1)
	s_or_b32 exec_lo, exec_lo, s5
	v_mov_b32_e32 v45, 0
	ds_load_b32 v45, v45 offset:44
	s_wait_dscnt 0x0
	v_mul_f32_e32 v45, v122, v45
.LBB89_209:
	s_or_b32 exec_lo, exec_lo, s4
	v_cmp_lt_u32_e64 s0, 10, v0
	ds_store_b32 v121, v44
	s_wait_dscnt 0x0
	s_barrier_signal -1
	s_barrier_wait -1
	s_and_saveexec_b32 s4, s0
	s_cbranch_execz .LBB89_225
; %bb.210:
	s_and_not1_b32 vcc_lo, exec_lo, s30
	s_cbranch_vccnz .LBB89_212
; %bb.211:
	v_cmp_eq_u32_e32 vcc_lo, 1, v0
	ds_load_b32 v119, v121
	v_cndmask_b32_e32 v118, v34, v35, vcc_lo
	v_cmp_eq_u32_e32 vcc_lo, 2, v0
	s_delay_alu instid0(VALU_DEP_2) | instskip(SKIP_1) | instid1(VALU_DEP_2)
	v_cndmask_b32_e32 v118, v118, v36, vcc_lo
	v_cmp_eq_u32_e32 vcc_lo, 3, v0
	v_cndmask_b32_e32 v118, v118, v37, vcc_lo
	v_cmp_eq_u32_e32 vcc_lo, 4, v0
	s_delay_alu instid0(VALU_DEP_2) | instskip(SKIP_1) | instid1(VALU_DEP_2)
	v_cndmask_b32_e32 v118, v118, v38, vcc_lo
	v_cmp_eq_u32_e32 vcc_lo, 5, v0
	;; [unrolled: 5-line block ×12, first 2 shown]
	v_cndmask_b32_e32 v118, v118, v59, vcc_lo
	s_wait_dscnt 0x0
	s_delay_alu instid0(VALU_DEP_1)
	v_mul_f32_e32 v122, v118, v119
	s_cbranch_execz .LBB89_213
	s_branch .LBB89_214
.LBB89_212:
                                        ; implicit-def: $vgpr122
.LBB89_213:
	ds_load_b32 v122, v121
.LBB89_214:
	s_and_saveexec_b32 s5, s1
	s_cbranch_execz .LBB89_224
; %bb.215:
	v_dual_add_nc_u32 v118, -12, v0 :: v_dual_add_nc_u32 v119, -11, v0
	s_delay_alu instid0(VALU_DEP_1)
	v_cmp_lt_u32_e32 vcc_lo, 6, v118
	v_mov_b32_e32 v118, 11
	s_and_saveexec_b32 s1, vcc_lo
	s_cbranch_execz .LBB89_219
; %bb.216:
	v_and_b32_e32 v118, -8, v119
	s_mov_b32 s6, 0
	s_mov_b64 s[2:3], 18
	s_movk_i32 s7, 0x9c
	s_delay_alu instid0(VALU_DEP_1)
	v_sub_nc_u32_e32 v120, 0, v118
.LBB89_217:                             ; =>This Inner Loop Header: Depth=1
	s_add_co_i32 m0, s2, -7
	v_movrels_b32_e32 v123, v34
	v_mov_b32_e32 v118, s7
	s_add_co_i32 m0, s2, -6
	s_add_co_i32 s7, s7, 32
	v_movrels_b32_e32 v132, v34
	ds_load_2addr_b32 v[124:125], v118 offset1:1
	ds_load_2addr_b32 v[126:127], v118 offset0:2 offset1:3
	s_add_co_i32 m0, s2, -5
	s_wait_dscnt 0x1
	v_fmac_f32_e32 v122, v123, v124
	ds_load_2addr_b32 v[128:129], v118 offset0:4 offset1:5
	ds_load_2addr_b32 v[130:131], v118 offset0:6 offset1:7
	v_movrels_b32_e32 v118, v34
	s_add_co_i32 m0, s2, -4
	v_fmac_f32_e32 v122, v132, v125
	v_movrels_b32_e32 v123, v34
	s_add_co_i32 m0, s2, -3
	s_wait_dscnt 0x2
	s_delay_alu instid0(VALU_DEP_2) | instskip(SKIP_2) | instid1(VALU_DEP_2)
	v_fmac_f32_e32 v122, v118, v126
	v_movrels_b32_e32 v118, v34
	s_add_co_i32 m0, s2, -2
	v_fmac_f32_e32 v122, v123, v127
	v_movrels_b32_e32 v123, v34
	s_add_co_i32 m0, s2, -1
	s_wait_dscnt 0x1
	s_delay_alu instid0(VALU_DEP_2)
	v_fmac_f32_e32 v122, v118, v128
	v_movrels_b32_e32 v118, v34
	s_mov_b32 m0, s2
	s_add_nc_u64 s[2:3], s[2:3], 8
	v_movrels_b32_e32 v124, v34
	v_dual_fmac_f32 v122, v123, v129 :: v_dual_add_nc_u32 v123, s2, v120
	s_add_co_i32 s8, s2, -7
	s_wait_dscnt 0x0
	s_delay_alu instid0(VALU_DEP_1) | instskip(NEXT) | instid1(VALU_DEP_2)
	v_fmac_f32_e32 v122, v118, v130
	v_cmp_eq_u32_e32 vcc_lo, 18, v123
	s_delay_alu instid0(VALU_DEP_2) | instskip(SKIP_1) | instid1(SALU_CYCLE_1)
	v_dual_mov_b32 v118, s8 :: v_dual_fmac_f32 v122, v124, v131
	s_or_b32 s6, vcc_lo, s6
	s_and_not1_b32 exec_lo, exec_lo, s6
	s_cbranch_execnz .LBB89_217
; %bb.218:
	s_or_b32 exec_lo, exec_lo, s6
.LBB89_219:
	s_delay_alu instid0(SALU_CYCLE_1) | instskip(SKIP_3) | instid1(VALU_DEP_1)
	s_or_b32 exec_lo, exec_lo, s1
	v_and_b32_e32 v60, 7, v119
	s_mov_b32 s2, 0
	s_mov_b32 s1, exec_lo
	v_cmpx_ne_u32_e32 0, v60
	s_cbranch_execz .LBB89_223
; %bb.220:
	v_lshl_add_u32 v61, v118, 2, 0x70
	v_mov_b32_e32 v119, 0
.LBB89_221:                             ; =>This Inner Loop Header: Depth=1
	v_cmp_eq_u32_e32 vcc_lo, 1, v118
	ds_load_b32 v63, v61
	v_dual_add_nc_u32 v60, -1, v60 :: v_dual_add_nc_u32 v61, 4, v61
	v_cndmask_b32_e32 v62, v34, v35, vcc_lo
	v_cmp_eq_u32_e32 vcc_lo, 2, v118
	s_delay_alu instid0(VALU_DEP_2) | instskip(SKIP_1) | instid1(VALU_DEP_2)
	v_cndmask_b32_e32 v62, v62, v36, vcc_lo
	v_cmp_eq_u32_e32 vcc_lo, 3, v118
	v_cndmask_b32_e32 v62, v62, v37, vcc_lo
	v_cmp_eq_u32_e32 vcc_lo, 4, v118
	s_delay_alu instid0(VALU_DEP_2) | instskip(SKIP_1) | instid1(VALU_DEP_2)
	v_cndmask_b32_e32 v62, v62, v38, vcc_lo
	v_cmp_eq_u32_e32 vcc_lo, 5, v118
	v_cndmask_b32_e32 v62, v62, v39, vcc_lo
	v_cmp_eq_u32_e32 vcc_lo, 6, v118
	s_delay_alu instid0(VALU_DEP_2) | instskip(SKIP_1) | instid1(VALU_DEP_2)
	v_cndmask_b32_e32 v62, v62, v40, vcc_lo
	v_cmp_eq_u32_e32 vcc_lo, 7, v118
	v_cndmask_b32_e32 v62, v62, v41, vcc_lo
	v_cmp_eq_u32_e32 vcc_lo, 8, v118
	s_delay_alu instid0(VALU_DEP_2) | instskip(SKIP_1) | instid1(VALU_DEP_2)
	v_cndmask_b32_e32 v62, v62, v42, vcc_lo
	v_cmp_eq_u32_e32 vcc_lo, 9, v118
	v_cndmask_b32_e32 v62, v62, v43, vcc_lo
	v_cmp_eq_u32_e32 vcc_lo, 10, v118
	s_delay_alu instid0(VALU_DEP_2) | instskip(SKIP_1) | instid1(VALU_DEP_2)
	v_cndmask_b32_e32 v62, v62, v44, vcc_lo
	v_cmp_eq_u32_e32 vcc_lo, 11, v118
	v_cndmask_b32_e32 v62, v62, v45, vcc_lo
	v_cmp_eq_u32_e32 vcc_lo, 12, v118
	s_delay_alu instid0(VALU_DEP_2) | instskip(SKIP_1) | instid1(VALU_DEP_2)
	v_cndmask_b32_e32 v62, v62, v46, vcc_lo
	v_cmp_eq_u32_e32 vcc_lo, 13, v118
	v_cndmask_b32_e32 v62, v62, v47, vcc_lo
	v_cmp_eq_u32_e32 vcc_lo, 14, v118
	s_delay_alu instid0(VALU_DEP_2) | instskip(SKIP_1) | instid1(VALU_DEP_2)
	v_cndmask_b32_e32 v62, v62, v48, vcc_lo
	v_cmp_eq_u32_e32 vcc_lo, 15, v118
	v_cndmask_b32_e32 v62, v62, v49, vcc_lo
	v_cmp_eq_u32_e32 vcc_lo, 16, v118
	s_delay_alu instid0(VALU_DEP_2) | instskip(SKIP_1) | instid1(VALU_DEP_2)
	v_cndmask_b32_e32 v62, v62, v50, vcc_lo
	v_cmp_eq_u32_e32 vcc_lo, 17, v118
	v_cndmask_b32_e32 v62, v62, v51, vcc_lo
	v_cmp_eq_u32_e32 vcc_lo, 18, v118
	s_delay_alu instid0(VALU_DEP_2) | instskip(SKIP_1) | instid1(VALU_DEP_2)
	v_cndmask_b32_e32 v62, v62, v52, vcc_lo
	v_cmp_eq_u32_e32 vcc_lo, 19, v118
	v_cndmask_b32_e32 v62, v62, v53, vcc_lo
	v_cmp_eq_u32_e32 vcc_lo, 20, v118
	s_delay_alu instid0(VALU_DEP_2) | instskip(SKIP_1) | instid1(VALU_DEP_2)
	v_cndmask_b32_e32 v62, v62, v54, vcc_lo
	v_cmp_eq_u32_e32 vcc_lo, 21, v118
	v_cndmask_b32_e32 v62, v62, v55, vcc_lo
	v_cmp_eq_u32_e32 vcc_lo, 22, v118
	s_delay_alu instid0(VALU_DEP_2) | instskip(SKIP_1) | instid1(VALU_DEP_2)
	v_cndmask_b32_e32 v62, v62, v56, vcc_lo
	v_cmp_eq_u32_e32 vcc_lo, 23, v118
	v_cndmask_b32_e32 v62, v62, v57, vcc_lo
	v_cmp_eq_u32_e32 vcc_lo, 24, v118
	s_delay_alu instid0(VALU_DEP_2) | instskip(SKIP_2) | instid1(VALU_DEP_3)
	v_cndmask_b32_e32 v62, v62, v58, vcc_lo
	v_cmp_eq_u32_e32 vcc_lo, 25, v118
	v_add_nc_u64_e32 v[118:119], 1, v[118:119]
	v_cndmask_b32_e32 v62, v62, v59, vcc_lo
	v_cmp_eq_u32_e32 vcc_lo, 0, v60
	s_wait_dscnt 0x0
	s_delay_alu instid0(VALU_DEP_2) | instskip(SKIP_1) | instid1(SALU_CYCLE_1)
	v_fmac_f32_e32 v122, v62, v63
	s_or_b32 s2, vcc_lo, s2
	s_and_not1_b32 exec_lo, exec_lo, s2
	s_cbranch_execnz .LBB89_221
; %bb.222:
	s_or_b32 exec_lo, exec_lo, s2
.LBB89_223:
	s_delay_alu instid0(SALU_CYCLE_1)
	s_or_b32 exec_lo, exec_lo, s1
.LBB89_224:
	s_delay_alu instid0(SALU_CYCLE_1)
	s_or_b32 exec_lo, exec_lo, s5
	v_mov_b32_e32 v44, 0
	ds_load_b32 v44, v44 offset:40
	s_wait_dscnt 0x0
	v_mul_f32_e32 v44, v122, v44
.LBB89_225:
	s_or_b32 exec_lo, exec_lo, s4
	v_cmp_lt_u32_e64 s1, 9, v0
	ds_store_b32 v121, v43
	s_wait_dscnt 0x0
	s_barrier_signal -1
	s_barrier_wait -1
	s_and_saveexec_b32 s4, s1
	s_cbranch_execz .LBB89_241
; %bb.226:
	s_and_not1_b32 vcc_lo, exec_lo, s30
	s_cbranch_vccnz .LBB89_228
; %bb.227:
	v_cmp_eq_u32_e32 vcc_lo, 1, v0
	ds_load_b32 v119, v121
	v_cndmask_b32_e32 v118, v34, v35, vcc_lo
	v_cmp_eq_u32_e32 vcc_lo, 2, v0
	s_delay_alu instid0(VALU_DEP_2) | instskip(SKIP_1) | instid1(VALU_DEP_2)
	v_cndmask_b32_e32 v118, v118, v36, vcc_lo
	v_cmp_eq_u32_e32 vcc_lo, 3, v0
	v_cndmask_b32_e32 v118, v118, v37, vcc_lo
	v_cmp_eq_u32_e32 vcc_lo, 4, v0
	s_delay_alu instid0(VALU_DEP_2) | instskip(SKIP_1) | instid1(VALU_DEP_2)
	v_cndmask_b32_e32 v118, v118, v38, vcc_lo
	v_cmp_eq_u32_e32 vcc_lo, 5, v0
	;; [unrolled: 5-line block ×12, first 2 shown]
	v_cndmask_b32_e32 v118, v118, v59, vcc_lo
	s_wait_dscnt 0x0
	s_delay_alu instid0(VALU_DEP_1)
	v_mul_f32_e32 v122, v118, v119
	s_cbranch_execz .LBB89_229
	s_branch .LBB89_230
.LBB89_228:
                                        ; implicit-def: $vgpr122
.LBB89_229:
	ds_load_b32 v122, v121
.LBB89_230:
	s_and_saveexec_b32 s5, s0
	s_cbranch_execz .LBB89_240
; %bb.231:
	v_dual_add_nc_u32 v118, -11, v0 :: v_dual_add_nc_u32 v119, -10, v0
	s_delay_alu instid0(VALU_DEP_1)
	v_cmp_lt_u32_e32 vcc_lo, 6, v118
	v_mov_b32_e32 v118, 10
	s_and_saveexec_b32 s0, vcc_lo
	s_cbranch_execz .LBB89_235
; %bb.232:
	v_and_b32_e32 v118, -8, v119
	s_mov_b32 s6, 0
	s_mov_b64 s[2:3], 17
	s_movk_i32 s7, 0x98
	s_delay_alu instid0(VALU_DEP_1)
	v_sub_nc_u32_e32 v120, 0, v118
.LBB89_233:                             ; =>This Inner Loop Header: Depth=1
	s_add_co_i32 m0, s2, -7
	v_movrels_b32_e32 v123, v34
	v_mov_b32_e32 v118, s7
	s_add_co_i32 m0, s2, -6
	s_add_co_i32 s7, s7, 32
	v_movrels_b32_e32 v132, v34
	s_add_co_i32 m0, s2, -5
	ds_load_2addr_b64 v[124:127], v118 offset1:1
	ds_load_2addr_b64 v[128:131], v118 offset0:2 offset1:3
	v_movrels_b32_e32 v118, v34
	s_add_co_i32 m0, s2, -4
	s_wait_dscnt 0x1
	v_fmac_f32_e32 v122, v123, v124
	v_movrels_b32_e32 v123, v34
	s_add_co_i32 m0, s2, -3
	s_delay_alu instid0(VALU_DEP_2) | instskip(NEXT) | instid1(VALU_DEP_1)
	v_fmac_f32_e32 v122, v132, v125
	v_fmac_f32_e32 v122, v118, v126
	v_movrels_b32_e32 v118, v34
	s_add_co_i32 m0, s2, -2
	s_delay_alu instid0(VALU_DEP_2) | instskip(SKIP_3) | instid1(VALU_DEP_2)
	v_fmac_f32_e32 v122, v123, v127
	v_movrels_b32_e32 v123, v34
	s_add_co_i32 m0, s2, -1
	s_wait_dscnt 0x0
	v_fmac_f32_e32 v122, v118, v128
	v_movrels_b32_e32 v118, v34
	s_mov_b32 m0, s2
	s_add_nc_u64 s[2:3], s[2:3], 8
	v_movrels_b32_e32 v124, v34
	v_dual_fmac_f32 v122, v123, v129 :: v_dual_add_nc_u32 v123, s2, v120
	s_add_co_i32 s8, s2, -7
	s_delay_alu instid0(VALU_DEP_1) | instskip(NEXT) | instid1(VALU_DEP_2)
	v_fmac_f32_e32 v122, v118, v130
	v_cmp_eq_u32_e32 vcc_lo, 17, v123
	s_delay_alu instid0(VALU_DEP_2) | instskip(SKIP_1) | instid1(SALU_CYCLE_1)
	v_dual_mov_b32 v118, s8 :: v_dual_fmac_f32 v122, v124, v131
	s_or_b32 s6, vcc_lo, s6
	s_and_not1_b32 exec_lo, exec_lo, s6
	s_cbranch_execnz .LBB89_233
; %bb.234:
	s_or_b32 exec_lo, exec_lo, s6
.LBB89_235:
	s_delay_alu instid0(SALU_CYCLE_1) | instskip(SKIP_3) | instid1(VALU_DEP_1)
	s_or_b32 exec_lo, exec_lo, s0
	v_and_b32_e32 v60, 7, v119
	s_mov_b32 s2, 0
	s_mov_b32 s0, exec_lo
	v_cmpx_ne_u32_e32 0, v60
	s_cbranch_execz .LBB89_239
; %bb.236:
	v_lshl_add_u32 v61, v118, 2, 0x70
	v_mov_b32_e32 v119, 0
.LBB89_237:                             ; =>This Inner Loop Header: Depth=1
	v_cmp_eq_u32_e32 vcc_lo, 1, v118
	ds_load_b32 v63, v61
	v_dual_add_nc_u32 v60, -1, v60 :: v_dual_add_nc_u32 v61, 4, v61
	v_cndmask_b32_e32 v62, v34, v35, vcc_lo
	v_cmp_eq_u32_e32 vcc_lo, 2, v118
	s_delay_alu instid0(VALU_DEP_2) | instskip(SKIP_1) | instid1(VALU_DEP_2)
	v_cndmask_b32_e32 v62, v62, v36, vcc_lo
	v_cmp_eq_u32_e32 vcc_lo, 3, v118
	v_cndmask_b32_e32 v62, v62, v37, vcc_lo
	v_cmp_eq_u32_e32 vcc_lo, 4, v118
	s_delay_alu instid0(VALU_DEP_2) | instskip(SKIP_1) | instid1(VALU_DEP_2)
	v_cndmask_b32_e32 v62, v62, v38, vcc_lo
	v_cmp_eq_u32_e32 vcc_lo, 5, v118
	;; [unrolled: 5-line block ×11, first 2 shown]
	v_cndmask_b32_e32 v62, v62, v57, vcc_lo
	v_cmp_eq_u32_e32 vcc_lo, 24, v118
	s_delay_alu instid0(VALU_DEP_2) | instskip(SKIP_2) | instid1(VALU_DEP_3)
	v_cndmask_b32_e32 v62, v62, v58, vcc_lo
	v_cmp_eq_u32_e32 vcc_lo, 25, v118
	v_add_nc_u64_e32 v[118:119], 1, v[118:119]
	v_cndmask_b32_e32 v62, v62, v59, vcc_lo
	v_cmp_eq_u32_e32 vcc_lo, 0, v60
	s_wait_dscnt 0x0
	s_delay_alu instid0(VALU_DEP_2) | instskip(SKIP_1) | instid1(SALU_CYCLE_1)
	v_fmac_f32_e32 v122, v62, v63
	s_or_b32 s2, vcc_lo, s2
	s_and_not1_b32 exec_lo, exec_lo, s2
	s_cbranch_execnz .LBB89_237
; %bb.238:
	s_or_b32 exec_lo, exec_lo, s2
.LBB89_239:
	s_delay_alu instid0(SALU_CYCLE_1)
	s_or_b32 exec_lo, exec_lo, s0
.LBB89_240:
	s_delay_alu instid0(SALU_CYCLE_1)
	s_or_b32 exec_lo, exec_lo, s5
	v_mov_b32_e32 v43, 0
	ds_load_b32 v43, v43 offset:36
	s_wait_dscnt 0x0
	v_mul_f32_e32 v43, v122, v43
.LBB89_241:
	s_or_b32 exec_lo, exec_lo, s4
	v_cmp_lt_u32_e64 s0, 8, v0
	ds_store_b32 v121, v42
	s_wait_dscnt 0x0
	s_barrier_signal -1
	s_barrier_wait -1
	s_and_saveexec_b32 s4, s0
	s_cbranch_execz .LBB89_257
; %bb.242:
	s_and_not1_b32 vcc_lo, exec_lo, s30
	s_cbranch_vccnz .LBB89_244
; %bb.243:
	v_cmp_eq_u32_e32 vcc_lo, 1, v0
	ds_load_b32 v119, v121
	v_cndmask_b32_e32 v118, v34, v35, vcc_lo
	v_cmp_eq_u32_e32 vcc_lo, 2, v0
	s_delay_alu instid0(VALU_DEP_2) | instskip(SKIP_1) | instid1(VALU_DEP_2)
	v_cndmask_b32_e32 v118, v118, v36, vcc_lo
	v_cmp_eq_u32_e32 vcc_lo, 3, v0
	v_cndmask_b32_e32 v118, v118, v37, vcc_lo
	v_cmp_eq_u32_e32 vcc_lo, 4, v0
	s_delay_alu instid0(VALU_DEP_2) | instskip(SKIP_1) | instid1(VALU_DEP_2)
	v_cndmask_b32_e32 v118, v118, v38, vcc_lo
	v_cmp_eq_u32_e32 vcc_lo, 5, v0
	;; [unrolled: 5-line block ×12, first 2 shown]
	v_cndmask_b32_e32 v118, v118, v59, vcc_lo
	s_wait_dscnt 0x0
	s_delay_alu instid0(VALU_DEP_1)
	v_mul_f32_e32 v122, v118, v119
	s_cbranch_execz .LBB89_245
	s_branch .LBB89_246
.LBB89_244:
                                        ; implicit-def: $vgpr122
.LBB89_245:
	ds_load_b32 v122, v121
.LBB89_246:
	s_and_saveexec_b32 s5, s1
	s_cbranch_execz .LBB89_256
; %bb.247:
	v_dual_add_nc_u32 v118, -10, v0 :: v_dual_add_nc_u32 v119, -9, v0
	s_delay_alu instid0(VALU_DEP_1)
	v_cmp_lt_u32_e32 vcc_lo, 6, v118
	v_mov_b32_e32 v118, 9
	s_and_saveexec_b32 s1, vcc_lo
	s_cbranch_execz .LBB89_251
; %bb.248:
	v_and_b32_e32 v118, -8, v119
	s_mov_b32 s6, 0
	s_mov_b64 s[2:3], 16
	s_movk_i32 s7, 0x94
	s_delay_alu instid0(VALU_DEP_1)
	v_sub_nc_u32_e32 v120, 0, v118
.LBB89_249:                             ; =>This Inner Loop Header: Depth=1
	s_add_co_i32 m0, s2, -7
	v_movrels_b32_e32 v123, v34
	v_mov_b32_e32 v118, s7
	s_add_co_i32 m0, s2, -6
	s_add_co_i32 s7, s7, 32
	v_movrels_b32_e32 v132, v34
	ds_load_2addr_b32 v[124:125], v118 offset1:1
	ds_load_2addr_b32 v[126:127], v118 offset0:2 offset1:3
	s_add_co_i32 m0, s2, -5
	s_wait_dscnt 0x1
	v_fmac_f32_e32 v122, v123, v124
	ds_load_2addr_b32 v[128:129], v118 offset0:4 offset1:5
	ds_load_2addr_b32 v[130:131], v118 offset0:6 offset1:7
	v_movrels_b32_e32 v118, v34
	s_add_co_i32 m0, s2, -4
	v_fmac_f32_e32 v122, v132, v125
	v_movrels_b32_e32 v123, v34
	s_add_co_i32 m0, s2, -3
	s_wait_dscnt 0x2
	s_delay_alu instid0(VALU_DEP_2) | instskip(SKIP_2) | instid1(VALU_DEP_2)
	v_fmac_f32_e32 v122, v118, v126
	v_movrels_b32_e32 v118, v34
	s_add_co_i32 m0, s2, -2
	v_fmac_f32_e32 v122, v123, v127
	v_movrels_b32_e32 v123, v34
	s_add_co_i32 m0, s2, -1
	s_wait_dscnt 0x1
	s_delay_alu instid0(VALU_DEP_2)
	v_fmac_f32_e32 v122, v118, v128
	v_movrels_b32_e32 v118, v34
	s_mov_b32 m0, s2
	s_add_nc_u64 s[2:3], s[2:3], 8
	v_movrels_b32_e32 v124, v34
	v_dual_fmac_f32 v122, v123, v129 :: v_dual_add_nc_u32 v123, s2, v120
	s_add_co_i32 s8, s2, -7
	s_wait_dscnt 0x0
	s_delay_alu instid0(VALU_DEP_1) | instskip(NEXT) | instid1(VALU_DEP_2)
	v_fmac_f32_e32 v122, v118, v130
	v_cmp_eq_u32_e32 vcc_lo, 16, v123
	s_delay_alu instid0(VALU_DEP_2) | instskip(SKIP_1) | instid1(SALU_CYCLE_1)
	v_dual_mov_b32 v118, s8 :: v_dual_fmac_f32 v122, v124, v131
	s_or_b32 s6, vcc_lo, s6
	s_and_not1_b32 exec_lo, exec_lo, s6
	s_cbranch_execnz .LBB89_249
; %bb.250:
	s_or_b32 exec_lo, exec_lo, s6
.LBB89_251:
	s_delay_alu instid0(SALU_CYCLE_1) | instskip(SKIP_3) | instid1(VALU_DEP_1)
	s_or_b32 exec_lo, exec_lo, s1
	v_and_b32_e32 v60, 7, v119
	s_mov_b32 s2, 0
	s_mov_b32 s1, exec_lo
	v_cmpx_ne_u32_e32 0, v60
	s_cbranch_execz .LBB89_255
; %bb.252:
	v_lshl_add_u32 v61, v118, 2, 0x70
	v_mov_b32_e32 v119, 0
.LBB89_253:                             ; =>This Inner Loop Header: Depth=1
	v_cmp_eq_u32_e32 vcc_lo, 1, v118
	ds_load_b32 v63, v61
	v_dual_add_nc_u32 v60, -1, v60 :: v_dual_add_nc_u32 v61, 4, v61
	v_cndmask_b32_e32 v62, v34, v35, vcc_lo
	v_cmp_eq_u32_e32 vcc_lo, 2, v118
	s_delay_alu instid0(VALU_DEP_2) | instskip(SKIP_1) | instid1(VALU_DEP_2)
	v_cndmask_b32_e32 v62, v62, v36, vcc_lo
	v_cmp_eq_u32_e32 vcc_lo, 3, v118
	v_cndmask_b32_e32 v62, v62, v37, vcc_lo
	v_cmp_eq_u32_e32 vcc_lo, 4, v118
	s_delay_alu instid0(VALU_DEP_2) | instskip(SKIP_1) | instid1(VALU_DEP_2)
	v_cndmask_b32_e32 v62, v62, v38, vcc_lo
	v_cmp_eq_u32_e32 vcc_lo, 5, v118
	v_cndmask_b32_e32 v62, v62, v39, vcc_lo
	v_cmp_eq_u32_e32 vcc_lo, 6, v118
	s_delay_alu instid0(VALU_DEP_2) | instskip(SKIP_1) | instid1(VALU_DEP_2)
	v_cndmask_b32_e32 v62, v62, v40, vcc_lo
	v_cmp_eq_u32_e32 vcc_lo, 7, v118
	v_cndmask_b32_e32 v62, v62, v41, vcc_lo
	v_cmp_eq_u32_e32 vcc_lo, 8, v118
	s_delay_alu instid0(VALU_DEP_2) | instskip(SKIP_1) | instid1(VALU_DEP_2)
	v_cndmask_b32_e32 v62, v62, v42, vcc_lo
	v_cmp_eq_u32_e32 vcc_lo, 9, v118
	v_cndmask_b32_e32 v62, v62, v43, vcc_lo
	v_cmp_eq_u32_e32 vcc_lo, 10, v118
	s_delay_alu instid0(VALU_DEP_2) | instskip(SKIP_1) | instid1(VALU_DEP_2)
	v_cndmask_b32_e32 v62, v62, v44, vcc_lo
	v_cmp_eq_u32_e32 vcc_lo, 11, v118
	v_cndmask_b32_e32 v62, v62, v45, vcc_lo
	v_cmp_eq_u32_e32 vcc_lo, 12, v118
	s_delay_alu instid0(VALU_DEP_2) | instskip(SKIP_1) | instid1(VALU_DEP_2)
	v_cndmask_b32_e32 v62, v62, v46, vcc_lo
	v_cmp_eq_u32_e32 vcc_lo, 13, v118
	v_cndmask_b32_e32 v62, v62, v47, vcc_lo
	v_cmp_eq_u32_e32 vcc_lo, 14, v118
	s_delay_alu instid0(VALU_DEP_2) | instskip(SKIP_1) | instid1(VALU_DEP_2)
	v_cndmask_b32_e32 v62, v62, v48, vcc_lo
	v_cmp_eq_u32_e32 vcc_lo, 15, v118
	v_cndmask_b32_e32 v62, v62, v49, vcc_lo
	v_cmp_eq_u32_e32 vcc_lo, 16, v118
	s_delay_alu instid0(VALU_DEP_2) | instskip(SKIP_1) | instid1(VALU_DEP_2)
	v_cndmask_b32_e32 v62, v62, v50, vcc_lo
	v_cmp_eq_u32_e32 vcc_lo, 17, v118
	v_cndmask_b32_e32 v62, v62, v51, vcc_lo
	v_cmp_eq_u32_e32 vcc_lo, 18, v118
	s_delay_alu instid0(VALU_DEP_2) | instskip(SKIP_1) | instid1(VALU_DEP_2)
	v_cndmask_b32_e32 v62, v62, v52, vcc_lo
	v_cmp_eq_u32_e32 vcc_lo, 19, v118
	v_cndmask_b32_e32 v62, v62, v53, vcc_lo
	v_cmp_eq_u32_e32 vcc_lo, 20, v118
	s_delay_alu instid0(VALU_DEP_2) | instskip(SKIP_1) | instid1(VALU_DEP_2)
	v_cndmask_b32_e32 v62, v62, v54, vcc_lo
	v_cmp_eq_u32_e32 vcc_lo, 21, v118
	v_cndmask_b32_e32 v62, v62, v55, vcc_lo
	v_cmp_eq_u32_e32 vcc_lo, 22, v118
	s_delay_alu instid0(VALU_DEP_2) | instskip(SKIP_1) | instid1(VALU_DEP_2)
	v_cndmask_b32_e32 v62, v62, v56, vcc_lo
	v_cmp_eq_u32_e32 vcc_lo, 23, v118
	v_cndmask_b32_e32 v62, v62, v57, vcc_lo
	v_cmp_eq_u32_e32 vcc_lo, 24, v118
	s_delay_alu instid0(VALU_DEP_2) | instskip(SKIP_2) | instid1(VALU_DEP_3)
	v_cndmask_b32_e32 v62, v62, v58, vcc_lo
	v_cmp_eq_u32_e32 vcc_lo, 25, v118
	v_add_nc_u64_e32 v[118:119], 1, v[118:119]
	v_cndmask_b32_e32 v62, v62, v59, vcc_lo
	v_cmp_eq_u32_e32 vcc_lo, 0, v60
	s_wait_dscnt 0x0
	s_delay_alu instid0(VALU_DEP_2) | instskip(SKIP_1) | instid1(SALU_CYCLE_1)
	v_fmac_f32_e32 v122, v62, v63
	s_or_b32 s2, vcc_lo, s2
	s_and_not1_b32 exec_lo, exec_lo, s2
	s_cbranch_execnz .LBB89_253
; %bb.254:
	s_or_b32 exec_lo, exec_lo, s2
.LBB89_255:
	s_delay_alu instid0(SALU_CYCLE_1)
	s_or_b32 exec_lo, exec_lo, s1
.LBB89_256:
	s_delay_alu instid0(SALU_CYCLE_1)
	s_or_b32 exec_lo, exec_lo, s5
	v_mov_b32_e32 v42, 0
	ds_load_b32 v42, v42 offset:32
	s_wait_dscnt 0x0
	v_mul_f32_e32 v42, v122, v42
.LBB89_257:
	s_or_b32 exec_lo, exec_lo, s4
	v_cmp_lt_u32_e64 s1, 7, v0
	ds_store_b32 v121, v41
	s_wait_dscnt 0x0
	s_barrier_signal -1
	s_barrier_wait -1
	s_and_saveexec_b32 s4, s1
	s_cbranch_execz .LBB89_273
; %bb.258:
	s_and_not1_b32 vcc_lo, exec_lo, s30
	s_cbranch_vccnz .LBB89_260
; %bb.259:
	v_cmp_eq_u32_e32 vcc_lo, 1, v0
	ds_load_b32 v119, v121
	v_cndmask_b32_e32 v118, v34, v35, vcc_lo
	v_cmp_eq_u32_e32 vcc_lo, 2, v0
	s_delay_alu instid0(VALU_DEP_2) | instskip(SKIP_1) | instid1(VALU_DEP_2)
	v_cndmask_b32_e32 v118, v118, v36, vcc_lo
	v_cmp_eq_u32_e32 vcc_lo, 3, v0
	v_cndmask_b32_e32 v118, v118, v37, vcc_lo
	v_cmp_eq_u32_e32 vcc_lo, 4, v0
	s_delay_alu instid0(VALU_DEP_2) | instskip(SKIP_1) | instid1(VALU_DEP_2)
	v_cndmask_b32_e32 v118, v118, v38, vcc_lo
	v_cmp_eq_u32_e32 vcc_lo, 5, v0
	v_cndmask_b32_e32 v118, v118, v39, vcc_lo
	v_cmp_eq_u32_e32 vcc_lo, 6, v0
	s_delay_alu instid0(VALU_DEP_2) | instskip(SKIP_1) | instid1(VALU_DEP_2)
	v_cndmask_b32_e32 v118, v118, v40, vcc_lo
	v_cmp_eq_u32_e32 vcc_lo, 7, v0
	v_cndmask_b32_e32 v118, v118, v41, vcc_lo
	v_cmp_eq_u32_e32 vcc_lo, 8, v0
	s_delay_alu instid0(VALU_DEP_2) | instskip(SKIP_1) | instid1(VALU_DEP_2)
	v_cndmask_b32_e32 v118, v118, v42, vcc_lo
	v_cmp_eq_u32_e32 vcc_lo, 9, v0
	v_cndmask_b32_e32 v118, v118, v43, vcc_lo
	v_cmp_eq_u32_e32 vcc_lo, 10, v0
	s_delay_alu instid0(VALU_DEP_2) | instskip(SKIP_1) | instid1(VALU_DEP_2)
	v_cndmask_b32_e32 v118, v118, v44, vcc_lo
	v_cmp_eq_u32_e32 vcc_lo, 11, v0
	v_cndmask_b32_e32 v118, v118, v45, vcc_lo
	v_cmp_eq_u32_e32 vcc_lo, 12, v0
	s_delay_alu instid0(VALU_DEP_2) | instskip(SKIP_1) | instid1(VALU_DEP_2)
	v_cndmask_b32_e32 v118, v118, v46, vcc_lo
	v_cmp_eq_u32_e32 vcc_lo, 13, v0
	v_cndmask_b32_e32 v118, v118, v47, vcc_lo
	v_cmp_eq_u32_e32 vcc_lo, 14, v0
	s_delay_alu instid0(VALU_DEP_2) | instskip(SKIP_1) | instid1(VALU_DEP_2)
	v_cndmask_b32_e32 v118, v118, v48, vcc_lo
	v_cmp_eq_u32_e32 vcc_lo, 15, v0
	v_cndmask_b32_e32 v118, v118, v49, vcc_lo
	v_cmp_eq_u32_e32 vcc_lo, 16, v0
	s_delay_alu instid0(VALU_DEP_2) | instskip(SKIP_1) | instid1(VALU_DEP_2)
	v_cndmask_b32_e32 v118, v118, v50, vcc_lo
	v_cmp_eq_u32_e32 vcc_lo, 17, v0
	v_cndmask_b32_e32 v118, v118, v51, vcc_lo
	v_cmp_eq_u32_e32 vcc_lo, 18, v0
	s_delay_alu instid0(VALU_DEP_2) | instskip(SKIP_1) | instid1(VALU_DEP_2)
	v_cndmask_b32_e32 v118, v118, v52, vcc_lo
	v_cmp_eq_u32_e32 vcc_lo, 19, v0
	v_cndmask_b32_e32 v118, v118, v53, vcc_lo
	v_cmp_eq_u32_e32 vcc_lo, 20, v0
	s_delay_alu instid0(VALU_DEP_2) | instskip(SKIP_1) | instid1(VALU_DEP_2)
	v_cndmask_b32_e32 v118, v118, v54, vcc_lo
	v_cmp_eq_u32_e32 vcc_lo, 21, v0
	v_cndmask_b32_e32 v118, v118, v55, vcc_lo
	v_cmp_eq_u32_e32 vcc_lo, 22, v0
	s_delay_alu instid0(VALU_DEP_2) | instskip(SKIP_1) | instid1(VALU_DEP_2)
	v_cndmask_b32_e32 v118, v118, v56, vcc_lo
	v_cmp_eq_u32_e32 vcc_lo, 23, v0
	v_cndmask_b32_e32 v118, v118, v57, vcc_lo
	v_cmp_eq_u32_e32 vcc_lo, 24, v0
	s_delay_alu instid0(VALU_DEP_2) | instskip(SKIP_1) | instid1(VALU_DEP_2)
	v_cndmask_b32_e32 v118, v118, v58, vcc_lo
	v_cmp_eq_u32_e32 vcc_lo, 25, v0
	v_cndmask_b32_e32 v118, v118, v59, vcc_lo
	s_wait_dscnt 0x0
	s_delay_alu instid0(VALU_DEP_1)
	v_mul_f32_e32 v122, v118, v119
	s_cbranch_execz .LBB89_261
	s_branch .LBB89_262
.LBB89_260:
                                        ; implicit-def: $vgpr122
.LBB89_261:
	ds_load_b32 v122, v121
.LBB89_262:
	s_and_saveexec_b32 s5, s0
	s_cbranch_execz .LBB89_272
; %bb.263:
	v_add_nc_u32_e32 v118, -9, v0
	s_delay_alu instid0(VALU_DEP_1)
	v_cmp_lt_u32_e32 vcc_lo, 6, v118
	v_mov_b32_e32 v118, 8
	s_and_saveexec_b32 s0, vcc_lo
	s_cbranch_execz .LBB89_267
; %bb.264:
	v_and_b32_e32 v118, 24, v0
	s_mov_b32 s6, 0
	s_mov_b64 s[2:3], 15
	s_movk_i32 s7, 0x90
	s_delay_alu instid0(VALU_DEP_1)
	v_sub_nc_u32_e32 v120, 0, v118
.LBB89_265:                             ; =>This Inner Loop Header: Depth=1
	s_add_co_i32 m0, s2, -7
	v_movrels_b32_e32 v119, v34
	v_mov_b32_e32 v118, s7
	s_add_co_i32 m0, s2, -6
	s_add_co_i32 s7, s7, 32
	v_movrels_b32_e32 v123, v34
	s_add_co_i32 m0, s2, -5
	ds_load_b128 v[124:127], v118
	ds_load_b128 v[128:131], v118 offset:16
	v_movrels_b32_e32 v118, v34
	s_add_co_i32 m0, s2, -4
	s_wait_dscnt 0x1
	v_fmac_f32_e32 v122, v119, v124
	v_movrels_b32_e32 v119, v34
	s_add_co_i32 m0, s2, -3
	s_delay_alu instid0(VALU_DEP_2) | instskip(NEXT) | instid1(VALU_DEP_1)
	v_fmac_f32_e32 v122, v123, v125
	v_fmac_f32_e32 v122, v118, v126
	v_movrels_b32_e32 v118, v34
	s_add_co_i32 m0, s2, -2
	s_delay_alu instid0(VALU_DEP_2) | instskip(SKIP_3) | instid1(VALU_DEP_2)
	v_fmac_f32_e32 v122, v119, v127
	v_movrels_b32_e32 v119, v34
	s_add_co_i32 m0, s2, -1
	s_wait_dscnt 0x0
	v_fmac_f32_e32 v122, v118, v128
	v_movrels_b32_e32 v118, v34
	s_mov_b32 m0, s2
	s_add_nc_u64 s[2:3], s[2:3], 8
	v_movrels_b32_e32 v123, v34
	v_dual_fmac_f32 v122, v119, v129 :: v_dual_add_nc_u32 v119, s2, v120
	s_add_co_i32 s8, s2, -7
	s_delay_alu instid0(VALU_DEP_1) | instskip(NEXT) | instid1(VALU_DEP_2)
	v_fmac_f32_e32 v122, v118, v130
	v_cmp_eq_u32_e32 vcc_lo, 7, v119
	s_delay_alu instid0(VALU_DEP_2) | instskip(SKIP_1) | instid1(SALU_CYCLE_1)
	v_dual_mov_b32 v118, s8 :: v_dual_fmac_f32 v122, v123, v131
	s_or_b32 s6, vcc_lo, s6
	s_and_not1_b32 exec_lo, exec_lo, s6
	s_cbranch_execnz .LBB89_265
; %bb.266:
	s_or_b32 exec_lo, exec_lo, s6
.LBB89_267:
	s_delay_alu instid0(SALU_CYCLE_1) | instskip(SKIP_3) | instid1(VALU_DEP_1)
	s_or_b32 exec_lo, exec_lo, s0
	v_and_b32_e32 v60, 7, v0
	s_mov_b32 s2, 0
	s_mov_b32 s0, exec_lo
	v_cmpx_ne_u32_e32 0, v60
	s_cbranch_execz .LBB89_271
; %bb.268:
	v_lshl_add_u32 v61, v118, 2, 0x70
	v_mov_b32_e32 v119, 0
.LBB89_269:                             ; =>This Inner Loop Header: Depth=1
	v_cmp_eq_u32_e32 vcc_lo, 1, v118
	ds_load_b32 v63, v61
	v_dual_add_nc_u32 v60, -1, v60 :: v_dual_add_nc_u32 v61, 4, v61
	v_cndmask_b32_e32 v62, v34, v35, vcc_lo
	v_cmp_eq_u32_e32 vcc_lo, 2, v118
	s_delay_alu instid0(VALU_DEP_2) | instskip(SKIP_1) | instid1(VALU_DEP_2)
	v_cndmask_b32_e32 v62, v62, v36, vcc_lo
	v_cmp_eq_u32_e32 vcc_lo, 3, v118
	v_cndmask_b32_e32 v62, v62, v37, vcc_lo
	v_cmp_eq_u32_e32 vcc_lo, 4, v118
	s_delay_alu instid0(VALU_DEP_2) | instskip(SKIP_1) | instid1(VALU_DEP_2)
	v_cndmask_b32_e32 v62, v62, v38, vcc_lo
	v_cmp_eq_u32_e32 vcc_lo, 5, v118
	;; [unrolled: 5-line block ×11, first 2 shown]
	v_cndmask_b32_e32 v62, v62, v57, vcc_lo
	v_cmp_eq_u32_e32 vcc_lo, 24, v118
	s_delay_alu instid0(VALU_DEP_2) | instskip(SKIP_2) | instid1(VALU_DEP_3)
	v_cndmask_b32_e32 v62, v62, v58, vcc_lo
	v_cmp_eq_u32_e32 vcc_lo, 25, v118
	v_add_nc_u64_e32 v[118:119], 1, v[118:119]
	v_cndmask_b32_e32 v62, v62, v59, vcc_lo
	v_cmp_eq_u32_e32 vcc_lo, 0, v60
	s_wait_dscnt 0x0
	s_delay_alu instid0(VALU_DEP_2) | instskip(SKIP_1) | instid1(SALU_CYCLE_1)
	v_fmac_f32_e32 v122, v62, v63
	s_or_b32 s2, vcc_lo, s2
	s_and_not1_b32 exec_lo, exec_lo, s2
	s_cbranch_execnz .LBB89_269
; %bb.270:
	s_or_b32 exec_lo, exec_lo, s2
.LBB89_271:
	s_delay_alu instid0(SALU_CYCLE_1)
	s_or_b32 exec_lo, exec_lo, s0
.LBB89_272:
	s_delay_alu instid0(SALU_CYCLE_1)
	s_or_b32 exec_lo, exec_lo, s5
	v_mov_b32_e32 v41, 0
	ds_load_b32 v41, v41 offset:28
	s_wait_dscnt 0x0
	v_mul_f32_e32 v41, v122, v41
.LBB89_273:
	s_or_b32 exec_lo, exec_lo, s4
	v_cmp_lt_u32_e64 s0, 6, v0
	ds_store_b32 v121, v40
	s_wait_dscnt 0x0
	s_barrier_signal -1
	s_barrier_wait -1
	s_and_saveexec_b32 s4, s0
	s_cbranch_execz .LBB89_289
; %bb.274:
	s_and_not1_b32 vcc_lo, exec_lo, s30
	s_cbranch_vccnz .LBB89_276
; %bb.275:
	v_cmp_eq_u32_e32 vcc_lo, 1, v0
	ds_load_b32 v119, v121
	v_cndmask_b32_e32 v118, v34, v35, vcc_lo
	v_cmp_eq_u32_e32 vcc_lo, 2, v0
	s_delay_alu instid0(VALU_DEP_2) | instskip(SKIP_1) | instid1(VALU_DEP_2)
	v_cndmask_b32_e32 v118, v118, v36, vcc_lo
	v_cmp_eq_u32_e32 vcc_lo, 3, v0
	v_cndmask_b32_e32 v118, v118, v37, vcc_lo
	v_cmp_eq_u32_e32 vcc_lo, 4, v0
	s_delay_alu instid0(VALU_DEP_2) | instskip(SKIP_1) | instid1(VALU_DEP_2)
	v_cndmask_b32_e32 v118, v118, v38, vcc_lo
	v_cmp_eq_u32_e32 vcc_lo, 5, v0
	;; [unrolled: 5-line block ×12, first 2 shown]
	v_cndmask_b32_e32 v118, v118, v59, vcc_lo
	s_wait_dscnt 0x0
	s_delay_alu instid0(VALU_DEP_1)
	v_mul_f32_e32 v122, v118, v119
	s_cbranch_execz .LBB89_277
	s_branch .LBB89_278
.LBB89_276:
                                        ; implicit-def: $vgpr122
.LBB89_277:
	ds_load_b32 v122, v121
.LBB89_278:
	s_and_saveexec_b32 s5, s1
	s_cbranch_execz .LBB89_288
; %bb.279:
	v_dual_add_nc_u32 v118, -8, v0 :: v_dual_add_nc_u32 v119, -7, v0
	s_delay_alu instid0(VALU_DEP_1)
	v_cmp_lt_u32_e32 vcc_lo, 6, v118
	v_mov_b32_e32 v118, 7
	s_and_saveexec_b32 s1, vcc_lo
	s_cbranch_execz .LBB89_283
; %bb.280:
	v_and_b32_e32 v118, -8, v119
	s_mov_b32 s6, 0
	s_mov_b64 s[2:3], 14
	s_movk_i32 s7, 0x8c
	s_delay_alu instid0(VALU_DEP_1)
	v_sub_nc_u32_e32 v120, 0, v118
.LBB89_281:                             ; =>This Inner Loop Header: Depth=1
	s_add_co_i32 m0, s2, -7
	v_movrels_b32_e32 v123, v34
	v_mov_b32_e32 v118, s7
	s_add_co_i32 m0, s2, -6
	s_add_co_i32 s7, s7, 32
	v_movrels_b32_e32 v132, v34
	ds_load_2addr_b32 v[124:125], v118 offset1:1
	ds_load_2addr_b32 v[126:127], v118 offset0:2 offset1:3
	s_add_co_i32 m0, s2, -5
	s_wait_dscnt 0x1
	v_fmac_f32_e32 v122, v123, v124
	ds_load_2addr_b32 v[128:129], v118 offset0:4 offset1:5
	ds_load_2addr_b32 v[130:131], v118 offset0:6 offset1:7
	v_movrels_b32_e32 v118, v34
	s_add_co_i32 m0, s2, -4
	v_fmac_f32_e32 v122, v132, v125
	v_movrels_b32_e32 v123, v34
	s_add_co_i32 m0, s2, -3
	s_wait_dscnt 0x2
	s_delay_alu instid0(VALU_DEP_2) | instskip(SKIP_2) | instid1(VALU_DEP_2)
	v_fmac_f32_e32 v122, v118, v126
	v_movrels_b32_e32 v118, v34
	s_add_co_i32 m0, s2, -2
	v_fmac_f32_e32 v122, v123, v127
	v_movrels_b32_e32 v123, v34
	s_add_co_i32 m0, s2, -1
	s_wait_dscnt 0x1
	s_delay_alu instid0(VALU_DEP_2)
	v_fmac_f32_e32 v122, v118, v128
	v_movrels_b32_e32 v118, v34
	s_mov_b32 m0, s2
	s_add_nc_u64 s[2:3], s[2:3], 8
	v_movrels_b32_e32 v124, v34
	v_dual_fmac_f32 v122, v123, v129 :: v_dual_add_nc_u32 v123, s2, v120
	s_add_co_i32 s8, s2, -7
	s_wait_dscnt 0x0
	s_delay_alu instid0(VALU_DEP_1) | instskip(NEXT) | instid1(VALU_DEP_2)
	v_fmac_f32_e32 v122, v118, v130
	v_cmp_eq_u32_e32 vcc_lo, 14, v123
	s_delay_alu instid0(VALU_DEP_2) | instskip(SKIP_1) | instid1(SALU_CYCLE_1)
	v_dual_mov_b32 v118, s8 :: v_dual_fmac_f32 v122, v124, v131
	s_or_b32 s6, vcc_lo, s6
	s_and_not1_b32 exec_lo, exec_lo, s6
	s_cbranch_execnz .LBB89_281
; %bb.282:
	s_or_b32 exec_lo, exec_lo, s6
.LBB89_283:
	s_delay_alu instid0(SALU_CYCLE_1) | instskip(SKIP_3) | instid1(VALU_DEP_1)
	s_or_b32 exec_lo, exec_lo, s1
	v_and_b32_e32 v60, 7, v119
	s_mov_b32 s2, 0
	s_mov_b32 s1, exec_lo
	v_cmpx_ne_u32_e32 0, v60
	s_cbranch_execz .LBB89_287
; %bb.284:
	v_lshl_add_u32 v61, v118, 2, 0x70
	v_mov_b32_e32 v119, 0
.LBB89_285:                             ; =>This Inner Loop Header: Depth=1
	v_cmp_eq_u32_e32 vcc_lo, 1, v118
	ds_load_b32 v63, v61
	v_dual_add_nc_u32 v60, -1, v60 :: v_dual_add_nc_u32 v61, 4, v61
	v_cndmask_b32_e32 v62, v34, v35, vcc_lo
	v_cmp_eq_u32_e32 vcc_lo, 2, v118
	s_delay_alu instid0(VALU_DEP_2) | instskip(SKIP_1) | instid1(VALU_DEP_2)
	v_cndmask_b32_e32 v62, v62, v36, vcc_lo
	v_cmp_eq_u32_e32 vcc_lo, 3, v118
	v_cndmask_b32_e32 v62, v62, v37, vcc_lo
	v_cmp_eq_u32_e32 vcc_lo, 4, v118
	s_delay_alu instid0(VALU_DEP_2) | instskip(SKIP_1) | instid1(VALU_DEP_2)
	v_cndmask_b32_e32 v62, v62, v38, vcc_lo
	v_cmp_eq_u32_e32 vcc_lo, 5, v118
	;; [unrolled: 5-line block ×11, first 2 shown]
	v_cndmask_b32_e32 v62, v62, v57, vcc_lo
	v_cmp_eq_u32_e32 vcc_lo, 24, v118
	s_delay_alu instid0(VALU_DEP_2) | instskip(SKIP_2) | instid1(VALU_DEP_3)
	v_cndmask_b32_e32 v62, v62, v58, vcc_lo
	v_cmp_eq_u32_e32 vcc_lo, 25, v118
	v_add_nc_u64_e32 v[118:119], 1, v[118:119]
	v_cndmask_b32_e32 v62, v62, v59, vcc_lo
	v_cmp_eq_u32_e32 vcc_lo, 0, v60
	s_wait_dscnt 0x0
	s_delay_alu instid0(VALU_DEP_2) | instskip(SKIP_1) | instid1(SALU_CYCLE_1)
	v_fmac_f32_e32 v122, v62, v63
	s_or_b32 s2, vcc_lo, s2
	s_and_not1_b32 exec_lo, exec_lo, s2
	s_cbranch_execnz .LBB89_285
; %bb.286:
	s_or_b32 exec_lo, exec_lo, s2
.LBB89_287:
	s_delay_alu instid0(SALU_CYCLE_1)
	s_or_b32 exec_lo, exec_lo, s1
.LBB89_288:
	s_delay_alu instid0(SALU_CYCLE_1)
	s_or_b32 exec_lo, exec_lo, s5
	v_mov_b32_e32 v40, 0
	ds_load_b32 v40, v40 offset:24
	s_wait_dscnt 0x0
	v_mul_f32_e32 v40, v122, v40
.LBB89_289:
	s_or_b32 exec_lo, exec_lo, s4
	v_cmp_lt_u32_e64 s1, 5, v0
	ds_store_b32 v121, v39
	s_wait_dscnt 0x0
	s_barrier_signal -1
	s_barrier_wait -1
	s_and_saveexec_b32 s4, s1
	s_cbranch_execz .LBB89_305
; %bb.290:
	s_and_not1_b32 vcc_lo, exec_lo, s30
	s_cbranch_vccnz .LBB89_292
; %bb.291:
	v_cmp_eq_u32_e32 vcc_lo, 1, v0
	ds_load_b32 v119, v121
	v_cndmask_b32_e32 v118, v34, v35, vcc_lo
	v_cmp_eq_u32_e32 vcc_lo, 2, v0
	s_delay_alu instid0(VALU_DEP_2) | instskip(SKIP_1) | instid1(VALU_DEP_2)
	v_cndmask_b32_e32 v118, v118, v36, vcc_lo
	v_cmp_eq_u32_e32 vcc_lo, 3, v0
	v_cndmask_b32_e32 v118, v118, v37, vcc_lo
	v_cmp_eq_u32_e32 vcc_lo, 4, v0
	s_delay_alu instid0(VALU_DEP_2) | instskip(SKIP_1) | instid1(VALU_DEP_2)
	v_cndmask_b32_e32 v118, v118, v38, vcc_lo
	v_cmp_eq_u32_e32 vcc_lo, 5, v0
	;; [unrolled: 5-line block ×12, first 2 shown]
	v_cndmask_b32_e32 v118, v118, v59, vcc_lo
	s_wait_dscnt 0x0
	s_delay_alu instid0(VALU_DEP_1)
	v_mul_f32_e32 v122, v118, v119
	s_cbranch_execz .LBB89_293
	s_branch .LBB89_294
.LBB89_292:
                                        ; implicit-def: $vgpr122
.LBB89_293:
	ds_load_b32 v122, v121
.LBB89_294:
	s_and_saveexec_b32 s5, s0
	s_cbranch_execz .LBB89_304
; %bb.295:
	v_dual_add_nc_u32 v120, -7, v0 :: v_dual_add_nc_u32 v119, -6, v0
	v_mov_b32_e32 v118, 6
	s_mov_b32 s0, exec_lo
	s_delay_alu instid0(VALU_DEP_2)
	v_cmpx_lt_u32_e32 6, v120
	s_cbranch_execz .LBB89_299
; %bb.296:
	v_and_b32_e32 v118, -8, v119
	s_mov_b32 s6, 0
	s_mov_b64 s[2:3], 13
	s_movk_i32 s7, 0x88
	s_delay_alu instid0(VALU_DEP_1)
	v_sub_nc_u32_e32 v120, 0, v118
.LBB89_297:                             ; =>This Inner Loop Header: Depth=1
	s_add_co_i32 m0, s2, -7
	v_movrels_b32_e32 v123, v34
	v_mov_b32_e32 v118, s7
	s_add_co_i32 m0, s2, -6
	s_add_co_i32 s7, s7, 32
	v_movrels_b32_e32 v132, v34
	s_add_co_i32 m0, s2, -5
	ds_load_2addr_b64 v[124:127], v118 offset1:1
	ds_load_2addr_b64 v[128:131], v118 offset0:2 offset1:3
	v_movrels_b32_e32 v118, v34
	s_add_co_i32 m0, s2, -4
	s_wait_dscnt 0x1
	v_fmac_f32_e32 v122, v123, v124
	v_movrels_b32_e32 v123, v34
	s_add_co_i32 m0, s2, -3
	s_delay_alu instid0(VALU_DEP_2) | instskip(NEXT) | instid1(VALU_DEP_1)
	v_fmac_f32_e32 v122, v132, v125
	v_fmac_f32_e32 v122, v118, v126
	v_movrels_b32_e32 v118, v34
	s_add_co_i32 m0, s2, -2
	s_delay_alu instid0(VALU_DEP_2) | instskip(SKIP_3) | instid1(VALU_DEP_2)
	v_fmac_f32_e32 v122, v123, v127
	v_movrels_b32_e32 v123, v34
	s_add_co_i32 m0, s2, -1
	s_wait_dscnt 0x0
	v_fmac_f32_e32 v122, v118, v128
	v_movrels_b32_e32 v118, v34
	s_mov_b32 m0, s2
	s_add_nc_u64 s[2:3], s[2:3], 8
	v_movrels_b32_e32 v124, v34
	v_dual_fmac_f32 v122, v123, v129 :: v_dual_add_nc_u32 v123, s2, v120
	s_add_co_i32 s8, s2, -7
	s_delay_alu instid0(VALU_DEP_1) | instskip(NEXT) | instid1(VALU_DEP_2)
	v_fmac_f32_e32 v122, v118, v130
	v_cmp_eq_u32_e32 vcc_lo, 13, v123
	s_delay_alu instid0(VALU_DEP_2) | instskip(SKIP_1) | instid1(SALU_CYCLE_1)
	v_dual_mov_b32 v118, s8 :: v_dual_fmac_f32 v122, v124, v131
	s_or_b32 s6, vcc_lo, s6
	s_and_not1_b32 exec_lo, exec_lo, s6
	s_cbranch_execnz .LBB89_297
; %bb.298:
	s_or_b32 exec_lo, exec_lo, s6
.LBB89_299:
	s_delay_alu instid0(SALU_CYCLE_1) | instskip(SKIP_3) | instid1(VALU_DEP_1)
	s_or_b32 exec_lo, exec_lo, s0
	v_and_b32_e32 v60, 7, v119
	s_mov_b32 s2, 0
	s_mov_b32 s0, exec_lo
	v_cmpx_ne_u32_e32 0, v60
	s_cbranch_execz .LBB89_303
; %bb.300:
	v_lshl_add_u32 v61, v118, 2, 0x70
	v_mov_b32_e32 v119, 0
.LBB89_301:                             ; =>This Inner Loop Header: Depth=1
	v_cmp_eq_u32_e32 vcc_lo, 1, v118
	ds_load_b32 v63, v61
	v_dual_add_nc_u32 v60, -1, v60 :: v_dual_add_nc_u32 v61, 4, v61
	v_cndmask_b32_e32 v62, v34, v35, vcc_lo
	v_cmp_eq_u32_e32 vcc_lo, 2, v118
	s_delay_alu instid0(VALU_DEP_2) | instskip(SKIP_1) | instid1(VALU_DEP_2)
	v_cndmask_b32_e32 v62, v62, v36, vcc_lo
	v_cmp_eq_u32_e32 vcc_lo, 3, v118
	v_cndmask_b32_e32 v62, v62, v37, vcc_lo
	v_cmp_eq_u32_e32 vcc_lo, 4, v118
	s_delay_alu instid0(VALU_DEP_2) | instskip(SKIP_1) | instid1(VALU_DEP_2)
	v_cndmask_b32_e32 v62, v62, v38, vcc_lo
	v_cmp_eq_u32_e32 vcc_lo, 5, v118
	;; [unrolled: 5-line block ×11, first 2 shown]
	v_cndmask_b32_e32 v62, v62, v57, vcc_lo
	v_cmp_eq_u32_e32 vcc_lo, 24, v118
	s_delay_alu instid0(VALU_DEP_2) | instskip(SKIP_2) | instid1(VALU_DEP_3)
	v_cndmask_b32_e32 v62, v62, v58, vcc_lo
	v_cmp_eq_u32_e32 vcc_lo, 25, v118
	v_add_nc_u64_e32 v[118:119], 1, v[118:119]
	v_cndmask_b32_e32 v62, v62, v59, vcc_lo
	v_cmp_eq_u32_e32 vcc_lo, 0, v60
	s_wait_dscnt 0x0
	s_delay_alu instid0(VALU_DEP_2) | instskip(SKIP_1) | instid1(SALU_CYCLE_1)
	v_fmac_f32_e32 v122, v62, v63
	s_or_b32 s2, vcc_lo, s2
	s_and_not1_b32 exec_lo, exec_lo, s2
	s_cbranch_execnz .LBB89_301
; %bb.302:
	s_or_b32 exec_lo, exec_lo, s2
.LBB89_303:
	s_delay_alu instid0(SALU_CYCLE_1)
	s_or_b32 exec_lo, exec_lo, s0
.LBB89_304:
	s_delay_alu instid0(SALU_CYCLE_1)
	s_or_b32 exec_lo, exec_lo, s5
	v_mov_b32_e32 v39, 0
	ds_load_b32 v39, v39 offset:20
	s_wait_dscnt 0x0
	v_mul_f32_e32 v39, v122, v39
.LBB89_305:
	s_or_b32 exec_lo, exec_lo, s4
	v_cmp_lt_u32_e64 s0, 4, v0
	ds_store_b32 v121, v38
	s_wait_dscnt 0x0
	s_barrier_signal -1
	s_barrier_wait -1
	s_and_saveexec_b32 s4, s0
	s_cbranch_execz .LBB89_321
; %bb.306:
	s_and_not1_b32 vcc_lo, exec_lo, s30
	s_cbranch_vccnz .LBB89_308
; %bb.307:
	v_cmp_eq_u32_e32 vcc_lo, 1, v0
	ds_load_b32 v119, v121
	v_cndmask_b32_e32 v118, v34, v35, vcc_lo
	v_cmp_eq_u32_e32 vcc_lo, 2, v0
	s_delay_alu instid0(VALU_DEP_2) | instskip(SKIP_1) | instid1(VALU_DEP_2)
	v_cndmask_b32_e32 v118, v118, v36, vcc_lo
	v_cmp_eq_u32_e32 vcc_lo, 3, v0
	v_cndmask_b32_e32 v118, v118, v37, vcc_lo
	v_cmp_eq_u32_e32 vcc_lo, 4, v0
	s_delay_alu instid0(VALU_DEP_2) | instskip(SKIP_1) | instid1(VALU_DEP_2)
	v_cndmask_b32_e32 v118, v118, v38, vcc_lo
	v_cmp_eq_u32_e32 vcc_lo, 5, v0
	;; [unrolled: 5-line block ×12, first 2 shown]
	v_cndmask_b32_e32 v118, v118, v59, vcc_lo
	s_wait_dscnt 0x0
	s_delay_alu instid0(VALU_DEP_1)
	v_mul_f32_e32 v122, v118, v119
	s_cbranch_execz .LBB89_309
	s_branch .LBB89_310
.LBB89_308:
                                        ; implicit-def: $vgpr122
.LBB89_309:
	ds_load_b32 v122, v121
.LBB89_310:
	s_and_saveexec_b32 s5, s1
	s_cbranch_execz .LBB89_320
; %bb.311:
	v_dual_add_nc_u32 v118, -6, v0 :: v_dual_add_nc_u32 v119, -5, v0
	s_delay_alu instid0(VALU_DEP_1)
	v_cmp_lt_u32_e32 vcc_lo, 6, v118
	v_mov_b32_e32 v118, 5
	s_and_saveexec_b32 s1, vcc_lo
	s_cbranch_execz .LBB89_315
; %bb.312:
	v_and_b32_e32 v118, -8, v119
	s_mov_b32 s6, 0
	s_mov_b64 s[2:3], 12
	s_movk_i32 s7, 0x84
	s_delay_alu instid0(VALU_DEP_1)
	v_sub_nc_u32_e32 v120, 0, v118
.LBB89_313:                             ; =>This Inner Loop Header: Depth=1
	s_add_co_i32 m0, s2, -7
	v_movrels_b32_e32 v123, v34
	v_mov_b32_e32 v118, s7
	s_add_co_i32 m0, s2, -6
	s_add_co_i32 s7, s7, 32
	v_movrels_b32_e32 v132, v34
	ds_load_2addr_b32 v[124:125], v118 offset1:1
	ds_load_2addr_b32 v[126:127], v118 offset0:2 offset1:3
	s_add_co_i32 m0, s2, -5
	s_wait_dscnt 0x1
	v_fmac_f32_e32 v122, v123, v124
	ds_load_2addr_b32 v[128:129], v118 offset0:4 offset1:5
	ds_load_2addr_b32 v[130:131], v118 offset0:6 offset1:7
	v_movrels_b32_e32 v118, v34
	s_add_co_i32 m0, s2, -4
	v_fmac_f32_e32 v122, v132, v125
	v_movrels_b32_e32 v123, v34
	s_add_co_i32 m0, s2, -3
	s_wait_dscnt 0x2
	s_delay_alu instid0(VALU_DEP_2) | instskip(SKIP_2) | instid1(VALU_DEP_2)
	v_fmac_f32_e32 v122, v118, v126
	v_movrels_b32_e32 v118, v34
	s_add_co_i32 m0, s2, -2
	v_fmac_f32_e32 v122, v123, v127
	v_movrels_b32_e32 v123, v34
	s_add_co_i32 m0, s2, -1
	s_wait_dscnt 0x1
	s_delay_alu instid0(VALU_DEP_2)
	v_fmac_f32_e32 v122, v118, v128
	v_movrels_b32_e32 v118, v34
	s_mov_b32 m0, s2
	s_add_nc_u64 s[2:3], s[2:3], 8
	v_movrels_b32_e32 v124, v34
	v_dual_fmac_f32 v122, v123, v129 :: v_dual_add_nc_u32 v123, s2, v120
	s_add_co_i32 s8, s2, -7
	s_wait_dscnt 0x0
	s_delay_alu instid0(VALU_DEP_1) | instskip(NEXT) | instid1(VALU_DEP_2)
	v_fmac_f32_e32 v122, v118, v130
	v_cmp_eq_u32_e32 vcc_lo, 12, v123
	s_delay_alu instid0(VALU_DEP_2) | instskip(SKIP_1) | instid1(SALU_CYCLE_1)
	v_dual_mov_b32 v118, s8 :: v_dual_fmac_f32 v122, v124, v131
	s_or_b32 s6, vcc_lo, s6
	s_and_not1_b32 exec_lo, exec_lo, s6
	s_cbranch_execnz .LBB89_313
; %bb.314:
	s_or_b32 exec_lo, exec_lo, s6
.LBB89_315:
	s_delay_alu instid0(SALU_CYCLE_1) | instskip(SKIP_3) | instid1(VALU_DEP_1)
	s_or_b32 exec_lo, exec_lo, s1
	v_and_b32_e32 v60, 7, v119
	s_mov_b32 s2, 0
	s_mov_b32 s1, exec_lo
	v_cmpx_ne_u32_e32 0, v60
	s_cbranch_execz .LBB89_319
; %bb.316:
	v_lshl_add_u32 v61, v118, 2, 0x70
	v_mov_b32_e32 v119, 0
.LBB89_317:                             ; =>This Inner Loop Header: Depth=1
	v_cmp_eq_u32_e32 vcc_lo, 1, v118
	ds_load_b32 v63, v61
	v_dual_add_nc_u32 v60, -1, v60 :: v_dual_add_nc_u32 v61, 4, v61
	v_cndmask_b32_e32 v62, v34, v35, vcc_lo
	v_cmp_eq_u32_e32 vcc_lo, 2, v118
	s_delay_alu instid0(VALU_DEP_2) | instskip(SKIP_1) | instid1(VALU_DEP_2)
	v_cndmask_b32_e32 v62, v62, v36, vcc_lo
	v_cmp_eq_u32_e32 vcc_lo, 3, v118
	v_cndmask_b32_e32 v62, v62, v37, vcc_lo
	v_cmp_eq_u32_e32 vcc_lo, 4, v118
	s_delay_alu instid0(VALU_DEP_2) | instskip(SKIP_1) | instid1(VALU_DEP_2)
	v_cndmask_b32_e32 v62, v62, v38, vcc_lo
	v_cmp_eq_u32_e32 vcc_lo, 5, v118
	;; [unrolled: 5-line block ×11, first 2 shown]
	v_cndmask_b32_e32 v62, v62, v57, vcc_lo
	v_cmp_eq_u32_e32 vcc_lo, 24, v118
	s_delay_alu instid0(VALU_DEP_2) | instskip(SKIP_2) | instid1(VALU_DEP_3)
	v_cndmask_b32_e32 v62, v62, v58, vcc_lo
	v_cmp_eq_u32_e32 vcc_lo, 25, v118
	v_add_nc_u64_e32 v[118:119], 1, v[118:119]
	v_cndmask_b32_e32 v62, v62, v59, vcc_lo
	v_cmp_eq_u32_e32 vcc_lo, 0, v60
	s_wait_dscnt 0x0
	s_delay_alu instid0(VALU_DEP_2) | instskip(SKIP_1) | instid1(SALU_CYCLE_1)
	v_fmac_f32_e32 v122, v62, v63
	s_or_b32 s2, vcc_lo, s2
	s_and_not1_b32 exec_lo, exec_lo, s2
	s_cbranch_execnz .LBB89_317
; %bb.318:
	s_or_b32 exec_lo, exec_lo, s2
.LBB89_319:
	s_delay_alu instid0(SALU_CYCLE_1)
	s_or_b32 exec_lo, exec_lo, s1
.LBB89_320:
	s_delay_alu instid0(SALU_CYCLE_1)
	s_or_b32 exec_lo, exec_lo, s5
	v_mov_b32_e32 v38, 0
	ds_load_b32 v38, v38 offset:16
	s_wait_dscnt 0x0
	v_mul_f32_e32 v38, v122, v38
.LBB89_321:
	s_or_b32 exec_lo, exec_lo, s4
	v_cmp_lt_u32_e64 s1, 3, v0
	ds_store_b32 v121, v37
	s_wait_dscnt 0x0
	s_barrier_signal -1
	s_barrier_wait -1
	s_and_saveexec_b32 s4, s1
	s_cbranch_execz .LBB89_337
; %bb.322:
	s_and_not1_b32 vcc_lo, exec_lo, s30
	s_cbranch_vccnz .LBB89_324
; %bb.323:
	v_cmp_eq_u32_e32 vcc_lo, 1, v0
	ds_load_b32 v119, v121
	v_cndmask_b32_e32 v118, v34, v35, vcc_lo
	v_cmp_eq_u32_e32 vcc_lo, 2, v0
	s_delay_alu instid0(VALU_DEP_2) | instskip(SKIP_1) | instid1(VALU_DEP_2)
	v_cndmask_b32_e32 v118, v118, v36, vcc_lo
	v_cmp_eq_u32_e32 vcc_lo, 3, v0
	v_cndmask_b32_e32 v118, v118, v37, vcc_lo
	v_cmp_eq_u32_e32 vcc_lo, 4, v0
	s_delay_alu instid0(VALU_DEP_2) | instskip(SKIP_1) | instid1(VALU_DEP_2)
	v_cndmask_b32_e32 v118, v118, v38, vcc_lo
	v_cmp_eq_u32_e32 vcc_lo, 5, v0
	;; [unrolled: 5-line block ×12, first 2 shown]
	v_cndmask_b32_e32 v118, v118, v59, vcc_lo
	s_wait_dscnt 0x0
	s_delay_alu instid0(VALU_DEP_1)
	v_mul_f32_e32 v122, v118, v119
	s_cbranch_execz .LBB89_325
	s_branch .LBB89_326
.LBB89_324:
                                        ; implicit-def: $vgpr122
.LBB89_325:
	ds_load_b32 v122, v121
.LBB89_326:
	s_and_saveexec_b32 s5, s0
	s_cbranch_execz .LBB89_336
; %bb.327:
	v_dual_add_nc_u32 v118, -5, v0 :: v_dual_add_nc_u32 v119, -4, v0
	s_delay_alu instid0(VALU_DEP_1)
	v_cmp_lt_u32_e32 vcc_lo, 6, v118
	v_mov_b32_e32 v118, 4
	s_and_saveexec_b32 s0, vcc_lo
	s_cbranch_execz .LBB89_331
; %bb.328:
	v_and_b32_e32 v118, -8, v119
	s_mov_b32 s6, 0
	s_mov_b64 s[2:3], 5
	s_movk_i32 s7, 0x80
	s_delay_alu instid0(VALU_DEP_1)
	v_sub_nc_u32_e32 v120, 0, v118
.LBB89_329:                             ; =>This Inner Loop Header: Depth=1
	s_add_co_i32 m0, s2, -1
	v_movrels_b32_e32 v123, v34
	v_mov_b32_e32 v118, s7
	s_mov_b32 m0, s2
	s_add_co_i32 s7, s7, 32
	v_movrels_b32_e32 v132, v34
	s_add_co_i32 m0, s2, 1
	ds_load_b128 v[124:127], v118
	ds_load_b128 v[128:131], v118 offset:16
	v_movrels_b32_e32 v118, v34
	s_add_co_i32 m0, s2, 2
	s_wait_dscnt 0x1
	v_fmac_f32_e32 v122, v123, v124
	v_movrels_b32_e32 v123, v34
	s_add_co_i32 m0, s2, 3
	s_delay_alu instid0(VALU_DEP_2) | instskip(NEXT) | instid1(VALU_DEP_1)
	v_fmac_f32_e32 v122, v132, v125
	v_fmac_f32_e32 v122, v118, v126
	v_movrels_b32_e32 v118, v34
	s_add_co_i32 m0, s2, 4
	s_delay_alu instid0(VALU_DEP_2) | instskip(SKIP_3) | instid1(VALU_DEP_2)
	v_fmac_f32_e32 v122, v123, v127
	v_movrels_b32_e32 v123, v34
	s_add_co_i32 m0, s2, 5
	s_wait_dscnt 0x0
	v_fmac_f32_e32 v122, v118, v128
	v_movrels_b32_e32 v118, v34
	s_add_co_i32 m0, s2, 6
	s_add_nc_u64 s[2:3], s[2:3], 8
	v_movrels_b32_e32 v124, v34
	v_dual_fmac_f32 v122, v123, v129 :: v_dual_add_nc_u32 v123, s2, v120
	s_add_co_i32 s8, s2, -1
	s_delay_alu instid0(VALU_DEP_1) | instskip(NEXT) | instid1(VALU_DEP_2)
	v_fmac_f32_e32 v122, v118, v130
	v_cmp_eq_u32_e32 vcc_lo, 5, v123
	s_delay_alu instid0(VALU_DEP_2) | instskip(SKIP_1) | instid1(SALU_CYCLE_1)
	v_dual_mov_b32 v118, s8 :: v_dual_fmac_f32 v122, v124, v131
	s_or_b32 s6, vcc_lo, s6
	s_and_not1_b32 exec_lo, exec_lo, s6
	s_cbranch_execnz .LBB89_329
; %bb.330:
	s_or_b32 exec_lo, exec_lo, s6
.LBB89_331:
	s_delay_alu instid0(SALU_CYCLE_1) | instskip(SKIP_3) | instid1(VALU_DEP_1)
	s_or_b32 exec_lo, exec_lo, s0
	v_and_b32_e32 v60, 7, v119
	s_mov_b32 s2, 0
	s_mov_b32 s0, exec_lo
	v_cmpx_ne_u32_e32 0, v60
	s_cbranch_execz .LBB89_335
; %bb.332:
	v_lshl_add_u32 v61, v118, 2, 0x70
	v_mov_b32_e32 v119, 0
.LBB89_333:                             ; =>This Inner Loop Header: Depth=1
	v_cmp_eq_u32_e32 vcc_lo, 1, v118
	ds_load_b32 v63, v61
	v_dual_add_nc_u32 v60, -1, v60 :: v_dual_add_nc_u32 v61, 4, v61
	v_cndmask_b32_e32 v62, v34, v35, vcc_lo
	v_cmp_eq_u32_e32 vcc_lo, 2, v118
	s_delay_alu instid0(VALU_DEP_2) | instskip(SKIP_1) | instid1(VALU_DEP_2)
	v_cndmask_b32_e32 v62, v62, v36, vcc_lo
	v_cmp_eq_u32_e32 vcc_lo, 3, v118
	v_cndmask_b32_e32 v62, v62, v37, vcc_lo
	v_cmp_eq_u32_e32 vcc_lo, 4, v118
	s_delay_alu instid0(VALU_DEP_2) | instskip(SKIP_1) | instid1(VALU_DEP_2)
	v_cndmask_b32_e32 v62, v62, v38, vcc_lo
	v_cmp_eq_u32_e32 vcc_lo, 5, v118
	;; [unrolled: 5-line block ×11, first 2 shown]
	v_cndmask_b32_e32 v62, v62, v57, vcc_lo
	v_cmp_eq_u32_e32 vcc_lo, 24, v118
	s_delay_alu instid0(VALU_DEP_2) | instskip(SKIP_2) | instid1(VALU_DEP_3)
	v_cndmask_b32_e32 v62, v62, v58, vcc_lo
	v_cmp_eq_u32_e32 vcc_lo, 25, v118
	v_add_nc_u64_e32 v[118:119], 1, v[118:119]
	v_cndmask_b32_e32 v62, v62, v59, vcc_lo
	v_cmp_eq_u32_e32 vcc_lo, 0, v60
	s_wait_dscnt 0x0
	s_delay_alu instid0(VALU_DEP_2) | instskip(SKIP_1) | instid1(SALU_CYCLE_1)
	v_fmac_f32_e32 v122, v62, v63
	s_or_b32 s2, vcc_lo, s2
	s_and_not1_b32 exec_lo, exec_lo, s2
	s_cbranch_execnz .LBB89_333
; %bb.334:
	s_or_b32 exec_lo, exec_lo, s2
.LBB89_335:
	s_delay_alu instid0(SALU_CYCLE_1)
	s_or_b32 exec_lo, exec_lo, s0
.LBB89_336:
	s_delay_alu instid0(SALU_CYCLE_1)
	s_or_b32 exec_lo, exec_lo, s5
	v_mov_b32_e32 v37, 0
	ds_load_b32 v37, v37 offset:12
	s_wait_dscnt 0x0
	v_mul_f32_e32 v37, v122, v37
.LBB89_337:
	s_or_b32 exec_lo, exec_lo, s4
	v_cmp_lt_u32_e64 s0, 2, v0
	ds_store_b32 v121, v36
	s_wait_dscnt 0x0
	s_barrier_signal -1
	s_barrier_wait -1
	s_and_saveexec_b32 s4, s0
	s_cbranch_execz .LBB89_353
; %bb.338:
	s_and_not1_b32 vcc_lo, exec_lo, s30
	s_cbranch_vccnz .LBB89_340
; %bb.339:
	v_cmp_eq_u32_e32 vcc_lo, 1, v0
	ds_load_b32 v119, v121
	v_cndmask_b32_e32 v118, v34, v35, vcc_lo
	v_cmp_eq_u32_e32 vcc_lo, 2, v0
	s_delay_alu instid0(VALU_DEP_2) | instskip(SKIP_1) | instid1(VALU_DEP_2)
	v_cndmask_b32_e32 v118, v118, v36, vcc_lo
	v_cmp_eq_u32_e32 vcc_lo, 3, v0
	v_cndmask_b32_e32 v118, v118, v37, vcc_lo
	v_cmp_eq_u32_e32 vcc_lo, 4, v0
	s_delay_alu instid0(VALU_DEP_2) | instskip(SKIP_1) | instid1(VALU_DEP_2)
	v_cndmask_b32_e32 v118, v118, v38, vcc_lo
	v_cmp_eq_u32_e32 vcc_lo, 5, v0
	;; [unrolled: 5-line block ×12, first 2 shown]
	v_cndmask_b32_e32 v118, v118, v59, vcc_lo
	s_wait_dscnt 0x0
	s_delay_alu instid0(VALU_DEP_1)
	v_mul_f32_e32 v122, v118, v119
	s_cbranch_execz .LBB89_341
	s_branch .LBB89_342
.LBB89_340:
                                        ; implicit-def: $vgpr122
.LBB89_341:
	ds_load_b32 v122, v121
.LBB89_342:
	s_and_saveexec_b32 s5, s1
	s_cbranch_execz .LBB89_352
; %bb.343:
	v_dual_add_nc_u32 v118, -4, v0 :: v_dual_add_nc_u32 v119, -3, v0
	s_delay_alu instid0(VALU_DEP_1)
	v_cmp_lt_u32_e32 vcc_lo, 6, v118
	v_mov_b32_e32 v118, 3
	s_and_saveexec_b32 s1, vcc_lo
	s_cbranch_execz .LBB89_347
; %bb.344:
	v_and_b32_e32 v118, -8, v119
	s_mov_b32 s6, 0
	s_mov_b64 s[2:3], 10
	s_movk_i32 s7, 0x7c
	s_delay_alu instid0(VALU_DEP_1)
	v_sub_nc_u32_e32 v120, 0, v118
.LBB89_345:                             ; =>This Inner Loop Header: Depth=1
	s_add_co_i32 m0, s2, -7
	v_movrels_b32_e32 v123, v34
	v_mov_b32_e32 v118, s7
	s_add_co_i32 m0, s2, -6
	s_add_co_i32 s7, s7, 32
	v_movrels_b32_e32 v132, v34
	ds_load_2addr_b32 v[124:125], v118 offset1:1
	ds_load_2addr_b32 v[126:127], v118 offset0:2 offset1:3
	s_add_co_i32 m0, s2, -5
	s_wait_dscnt 0x1
	v_fmac_f32_e32 v122, v123, v124
	ds_load_2addr_b32 v[128:129], v118 offset0:4 offset1:5
	ds_load_2addr_b32 v[130:131], v118 offset0:6 offset1:7
	v_movrels_b32_e32 v118, v34
	s_add_co_i32 m0, s2, -4
	v_fmac_f32_e32 v122, v132, v125
	v_movrels_b32_e32 v123, v34
	s_add_co_i32 m0, s2, -3
	s_wait_dscnt 0x2
	s_delay_alu instid0(VALU_DEP_2) | instskip(SKIP_2) | instid1(VALU_DEP_2)
	v_fmac_f32_e32 v122, v118, v126
	v_movrels_b32_e32 v118, v34
	s_add_co_i32 m0, s2, -2
	v_fmac_f32_e32 v122, v123, v127
	v_movrels_b32_e32 v123, v34
	s_add_co_i32 m0, s2, -1
	s_wait_dscnt 0x1
	s_delay_alu instid0(VALU_DEP_2)
	v_fmac_f32_e32 v122, v118, v128
	v_movrels_b32_e32 v118, v34
	s_mov_b32 m0, s2
	s_add_nc_u64 s[2:3], s[2:3], 8
	v_movrels_b32_e32 v124, v34
	v_dual_fmac_f32 v122, v123, v129 :: v_dual_add_nc_u32 v123, s2, v120
	s_add_co_i32 s8, s2, -7
	s_wait_dscnt 0x0
	s_delay_alu instid0(VALU_DEP_1) | instskip(NEXT) | instid1(VALU_DEP_2)
	v_fmac_f32_e32 v122, v118, v130
	v_cmp_eq_u32_e32 vcc_lo, 10, v123
	s_delay_alu instid0(VALU_DEP_2) | instskip(SKIP_1) | instid1(SALU_CYCLE_1)
	v_dual_mov_b32 v118, s8 :: v_dual_fmac_f32 v122, v124, v131
	s_or_b32 s6, vcc_lo, s6
	s_and_not1_b32 exec_lo, exec_lo, s6
	s_cbranch_execnz .LBB89_345
; %bb.346:
	s_or_b32 exec_lo, exec_lo, s6
.LBB89_347:
	s_delay_alu instid0(SALU_CYCLE_1) | instskip(SKIP_3) | instid1(VALU_DEP_1)
	s_or_b32 exec_lo, exec_lo, s1
	v_and_b32_e32 v60, 7, v119
	s_mov_b32 s2, 0
	s_mov_b32 s1, exec_lo
	v_cmpx_ne_u32_e32 0, v60
	s_cbranch_execz .LBB89_351
; %bb.348:
	v_lshl_add_u32 v61, v118, 2, 0x70
	v_mov_b32_e32 v119, 0
.LBB89_349:                             ; =>This Inner Loop Header: Depth=1
	v_cmp_eq_u32_e32 vcc_lo, 1, v118
	ds_load_b32 v63, v61
	v_dual_add_nc_u32 v60, -1, v60 :: v_dual_add_nc_u32 v61, 4, v61
	v_cndmask_b32_e32 v62, v34, v35, vcc_lo
	v_cmp_eq_u32_e32 vcc_lo, 2, v118
	s_delay_alu instid0(VALU_DEP_2) | instskip(SKIP_1) | instid1(VALU_DEP_2)
	v_cndmask_b32_e32 v62, v62, v36, vcc_lo
	v_cmp_eq_u32_e32 vcc_lo, 3, v118
	v_cndmask_b32_e32 v62, v62, v37, vcc_lo
	v_cmp_eq_u32_e32 vcc_lo, 4, v118
	s_delay_alu instid0(VALU_DEP_2) | instskip(SKIP_1) | instid1(VALU_DEP_2)
	v_cndmask_b32_e32 v62, v62, v38, vcc_lo
	v_cmp_eq_u32_e32 vcc_lo, 5, v118
	;; [unrolled: 5-line block ×11, first 2 shown]
	v_cndmask_b32_e32 v62, v62, v57, vcc_lo
	v_cmp_eq_u32_e32 vcc_lo, 24, v118
	s_delay_alu instid0(VALU_DEP_2) | instskip(SKIP_2) | instid1(VALU_DEP_3)
	v_cndmask_b32_e32 v62, v62, v58, vcc_lo
	v_cmp_eq_u32_e32 vcc_lo, 25, v118
	v_add_nc_u64_e32 v[118:119], 1, v[118:119]
	v_cndmask_b32_e32 v62, v62, v59, vcc_lo
	v_cmp_eq_u32_e32 vcc_lo, 0, v60
	s_wait_dscnt 0x0
	s_delay_alu instid0(VALU_DEP_2) | instskip(SKIP_1) | instid1(SALU_CYCLE_1)
	v_fmac_f32_e32 v122, v62, v63
	s_or_b32 s2, vcc_lo, s2
	s_and_not1_b32 exec_lo, exec_lo, s2
	s_cbranch_execnz .LBB89_349
; %bb.350:
	s_or_b32 exec_lo, exec_lo, s2
.LBB89_351:
	s_delay_alu instid0(SALU_CYCLE_1)
	s_or_b32 exec_lo, exec_lo, s1
.LBB89_352:
	s_delay_alu instid0(SALU_CYCLE_1)
	s_or_b32 exec_lo, exec_lo, s5
	v_mov_b32_e32 v36, 0
	ds_load_b32 v36, v36 offset:8
	s_wait_dscnt 0x0
	v_mul_f32_e32 v36, v122, v36
.LBB89_353:
	s_or_b32 exec_lo, exec_lo, s4
	v_cmp_lt_u32_e64 s1, 1, v0
	ds_store_b32 v121, v35
	s_wait_dscnt 0x0
	s_barrier_signal -1
	s_barrier_wait -1
	s_and_saveexec_b32 s4, s1
	s_cbranch_execz .LBB89_369
; %bb.354:
	s_and_not1_b32 vcc_lo, exec_lo, s30
	s_cbranch_vccnz .LBB89_356
; %bb.355:
	v_cmp_eq_u32_e32 vcc_lo, 1, v0
	ds_load_b32 v119, v121
	v_cndmask_b32_e32 v118, v34, v35, vcc_lo
	v_cmp_eq_u32_e32 vcc_lo, 2, v0
	s_delay_alu instid0(VALU_DEP_2) | instskip(SKIP_1) | instid1(VALU_DEP_2)
	v_cndmask_b32_e32 v118, v118, v36, vcc_lo
	v_cmp_eq_u32_e32 vcc_lo, 3, v0
	v_cndmask_b32_e32 v118, v118, v37, vcc_lo
	v_cmp_eq_u32_e32 vcc_lo, 4, v0
	s_delay_alu instid0(VALU_DEP_2) | instskip(SKIP_1) | instid1(VALU_DEP_2)
	v_cndmask_b32_e32 v118, v118, v38, vcc_lo
	v_cmp_eq_u32_e32 vcc_lo, 5, v0
	;; [unrolled: 5-line block ×12, first 2 shown]
	v_cndmask_b32_e32 v118, v118, v59, vcc_lo
	s_wait_dscnt 0x0
	s_delay_alu instid0(VALU_DEP_1)
	v_mul_f32_e32 v122, v118, v119
	s_cbranch_execz .LBB89_357
	s_branch .LBB89_358
.LBB89_356:
                                        ; implicit-def: $vgpr122
.LBB89_357:
	ds_load_b32 v122, v121
.LBB89_358:
	s_and_saveexec_b32 s5, s0
	s_cbranch_execz .LBB89_368
; %bb.359:
	v_dual_add_nc_u32 v118, -3, v0 :: v_dual_add_nc_u32 v119, -2, v0
	s_delay_alu instid0(VALU_DEP_1)
	v_cmp_lt_u32_e32 vcc_lo, 6, v118
	v_mov_b32_e32 v118, 2
	s_and_saveexec_b32 s0, vcc_lo
	s_cbranch_execz .LBB89_363
; %bb.360:
	v_and_b32_e32 v118, -8, v119
	s_mov_b32 s6, 0
	s_mov_b64 s[2:3], 9
	s_movk_i32 s7, 0x78
	s_delay_alu instid0(VALU_DEP_1)
	v_sub_nc_u32_e32 v120, 0, v118
.LBB89_361:                             ; =>This Inner Loop Header: Depth=1
	s_add_co_i32 m0, s2, -7
	v_movrels_b32_e32 v123, v34
	v_mov_b32_e32 v118, s7
	s_add_co_i32 m0, s2, -6
	s_add_co_i32 s7, s7, 32
	v_movrels_b32_e32 v132, v34
	s_add_co_i32 m0, s2, -5
	ds_load_2addr_b64 v[124:127], v118 offset1:1
	ds_load_2addr_b64 v[128:131], v118 offset0:2 offset1:3
	v_movrels_b32_e32 v118, v34
	s_add_co_i32 m0, s2, -4
	s_wait_dscnt 0x1
	v_fmac_f32_e32 v122, v123, v124
	v_movrels_b32_e32 v123, v34
	s_add_co_i32 m0, s2, -3
	s_delay_alu instid0(VALU_DEP_2) | instskip(NEXT) | instid1(VALU_DEP_1)
	v_fmac_f32_e32 v122, v132, v125
	v_fmac_f32_e32 v122, v118, v126
	v_movrels_b32_e32 v118, v34
	s_add_co_i32 m0, s2, -2
	s_delay_alu instid0(VALU_DEP_2) | instskip(SKIP_3) | instid1(VALU_DEP_2)
	v_fmac_f32_e32 v122, v123, v127
	v_movrels_b32_e32 v123, v34
	s_add_co_i32 m0, s2, -1
	s_wait_dscnt 0x0
	v_fmac_f32_e32 v122, v118, v128
	v_movrels_b32_e32 v118, v34
	s_mov_b32 m0, s2
	s_add_nc_u64 s[2:3], s[2:3], 8
	v_movrels_b32_e32 v124, v34
	v_dual_fmac_f32 v122, v123, v129 :: v_dual_add_nc_u32 v123, s2, v120
	s_add_co_i32 s8, s2, -7
	s_delay_alu instid0(VALU_DEP_1) | instskip(NEXT) | instid1(VALU_DEP_2)
	v_fmac_f32_e32 v122, v118, v130
	v_cmp_eq_u32_e32 vcc_lo, 9, v123
	s_delay_alu instid0(VALU_DEP_2) | instskip(SKIP_1) | instid1(SALU_CYCLE_1)
	v_dual_mov_b32 v118, s8 :: v_dual_fmac_f32 v122, v124, v131
	s_or_b32 s6, vcc_lo, s6
	s_and_not1_b32 exec_lo, exec_lo, s6
	s_cbranch_execnz .LBB89_361
; %bb.362:
	s_or_b32 exec_lo, exec_lo, s6
.LBB89_363:
	s_delay_alu instid0(SALU_CYCLE_1) | instskip(SKIP_3) | instid1(VALU_DEP_1)
	s_or_b32 exec_lo, exec_lo, s0
	v_and_b32_e32 v60, 7, v119
	s_mov_b32 s2, 0
	s_mov_b32 s0, exec_lo
	v_cmpx_ne_u32_e32 0, v60
	s_cbranch_execz .LBB89_367
; %bb.364:
	v_lshl_add_u32 v61, v118, 2, 0x70
	v_mov_b32_e32 v119, 0
.LBB89_365:                             ; =>This Inner Loop Header: Depth=1
	v_cmp_eq_u32_e32 vcc_lo, 1, v118
	ds_load_b32 v63, v61
	v_dual_add_nc_u32 v60, -1, v60 :: v_dual_add_nc_u32 v61, 4, v61
	v_cndmask_b32_e32 v62, v34, v35, vcc_lo
	v_cmp_eq_u32_e32 vcc_lo, 2, v118
	s_delay_alu instid0(VALU_DEP_2) | instskip(SKIP_1) | instid1(VALU_DEP_2)
	v_cndmask_b32_e32 v62, v62, v36, vcc_lo
	v_cmp_eq_u32_e32 vcc_lo, 3, v118
	v_cndmask_b32_e32 v62, v62, v37, vcc_lo
	v_cmp_eq_u32_e32 vcc_lo, 4, v118
	s_delay_alu instid0(VALU_DEP_2) | instskip(SKIP_1) | instid1(VALU_DEP_2)
	v_cndmask_b32_e32 v62, v62, v38, vcc_lo
	v_cmp_eq_u32_e32 vcc_lo, 5, v118
	;; [unrolled: 5-line block ×11, first 2 shown]
	v_cndmask_b32_e32 v62, v62, v57, vcc_lo
	v_cmp_eq_u32_e32 vcc_lo, 24, v118
	s_delay_alu instid0(VALU_DEP_2) | instskip(SKIP_2) | instid1(VALU_DEP_3)
	v_cndmask_b32_e32 v62, v62, v58, vcc_lo
	v_cmp_eq_u32_e32 vcc_lo, 25, v118
	v_add_nc_u64_e32 v[118:119], 1, v[118:119]
	v_cndmask_b32_e32 v62, v62, v59, vcc_lo
	v_cmp_eq_u32_e32 vcc_lo, 0, v60
	s_wait_dscnt 0x0
	s_delay_alu instid0(VALU_DEP_2) | instskip(SKIP_1) | instid1(SALU_CYCLE_1)
	v_fmac_f32_e32 v122, v62, v63
	s_or_b32 s2, vcc_lo, s2
	s_and_not1_b32 exec_lo, exec_lo, s2
	s_cbranch_execnz .LBB89_365
; %bb.366:
	s_or_b32 exec_lo, exec_lo, s2
.LBB89_367:
	s_delay_alu instid0(SALU_CYCLE_1)
	s_or_b32 exec_lo, exec_lo, s0
.LBB89_368:
	s_delay_alu instid0(SALU_CYCLE_1)
	s_or_b32 exec_lo, exec_lo, s5
	v_mov_b32_e32 v35, 0
	ds_load_b32 v35, v35 offset:4
	s_wait_dscnt 0x0
	v_mul_f32_e32 v35, v122, v35
.LBB89_369:
	s_or_b32 exec_lo, exec_lo, s4
	s_mov_b32 s2, 0
	s_mov_b32 s3, exec_lo
	ds_store_b32 v121, v34
	s_wait_dscnt 0x0
	s_barrier_signal -1
	s_barrier_wait -1
	v_cmpx_ne_u32_e32 0, v0
	s_cbranch_execz .LBB89_385
; %bb.370:
	s_and_not1_b32 vcc_lo, exec_lo, s30
	s_cbranch_vccnz .LBB89_372
; %bb.371:
	v_cmp_eq_u32_e32 vcc_lo, 1, v0
	ds_load_b32 v119, v121
	v_cndmask_b32_e32 v118, v34, v35, vcc_lo
	v_cmp_eq_u32_e32 vcc_lo, 2, v0
	s_delay_alu instid0(VALU_DEP_2) | instskip(SKIP_1) | instid1(VALU_DEP_2)
	v_cndmask_b32_e32 v118, v118, v36, vcc_lo
	v_cmp_eq_u32_e32 vcc_lo, 3, v0
	v_cndmask_b32_e32 v118, v118, v37, vcc_lo
	v_cmp_eq_u32_e32 vcc_lo, 4, v0
	s_delay_alu instid0(VALU_DEP_2) | instskip(SKIP_1) | instid1(VALU_DEP_2)
	v_cndmask_b32_e32 v118, v118, v38, vcc_lo
	v_cmp_eq_u32_e32 vcc_lo, 5, v0
	v_cndmask_b32_e32 v118, v118, v39, vcc_lo
	v_cmp_eq_u32_e32 vcc_lo, 6, v0
	s_delay_alu instid0(VALU_DEP_2) | instskip(SKIP_1) | instid1(VALU_DEP_2)
	v_cndmask_b32_e32 v118, v118, v40, vcc_lo
	v_cmp_eq_u32_e32 vcc_lo, 7, v0
	v_cndmask_b32_e32 v118, v118, v41, vcc_lo
	v_cmp_eq_u32_e32 vcc_lo, 8, v0
	s_delay_alu instid0(VALU_DEP_2) | instskip(SKIP_1) | instid1(VALU_DEP_2)
	v_cndmask_b32_e32 v118, v118, v42, vcc_lo
	v_cmp_eq_u32_e32 vcc_lo, 9, v0
	v_cndmask_b32_e32 v118, v118, v43, vcc_lo
	v_cmp_eq_u32_e32 vcc_lo, 10, v0
	s_delay_alu instid0(VALU_DEP_2) | instskip(SKIP_1) | instid1(VALU_DEP_2)
	v_cndmask_b32_e32 v118, v118, v44, vcc_lo
	v_cmp_eq_u32_e32 vcc_lo, 11, v0
	v_cndmask_b32_e32 v118, v118, v45, vcc_lo
	v_cmp_eq_u32_e32 vcc_lo, 12, v0
	s_delay_alu instid0(VALU_DEP_2) | instskip(SKIP_1) | instid1(VALU_DEP_2)
	v_cndmask_b32_e32 v118, v118, v46, vcc_lo
	v_cmp_eq_u32_e32 vcc_lo, 13, v0
	v_cndmask_b32_e32 v118, v118, v47, vcc_lo
	v_cmp_eq_u32_e32 vcc_lo, 14, v0
	s_delay_alu instid0(VALU_DEP_2) | instskip(SKIP_1) | instid1(VALU_DEP_2)
	v_cndmask_b32_e32 v118, v118, v48, vcc_lo
	v_cmp_eq_u32_e32 vcc_lo, 15, v0
	v_cndmask_b32_e32 v118, v118, v49, vcc_lo
	v_cmp_eq_u32_e32 vcc_lo, 16, v0
	s_delay_alu instid0(VALU_DEP_2) | instskip(SKIP_1) | instid1(VALU_DEP_2)
	v_cndmask_b32_e32 v118, v118, v50, vcc_lo
	v_cmp_eq_u32_e32 vcc_lo, 17, v0
	v_cndmask_b32_e32 v118, v118, v51, vcc_lo
	v_cmp_eq_u32_e32 vcc_lo, 18, v0
	s_delay_alu instid0(VALU_DEP_2) | instskip(SKIP_1) | instid1(VALU_DEP_2)
	v_cndmask_b32_e32 v118, v118, v52, vcc_lo
	v_cmp_eq_u32_e32 vcc_lo, 19, v0
	v_cndmask_b32_e32 v118, v118, v53, vcc_lo
	v_cmp_eq_u32_e32 vcc_lo, 20, v0
	s_delay_alu instid0(VALU_DEP_2) | instskip(SKIP_1) | instid1(VALU_DEP_2)
	v_cndmask_b32_e32 v118, v118, v54, vcc_lo
	v_cmp_eq_u32_e32 vcc_lo, 21, v0
	v_cndmask_b32_e32 v118, v118, v55, vcc_lo
	v_cmp_eq_u32_e32 vcc_lo, 22, v0
	s_delay_alu instid0(VALU_DEP_2) | instskip(SKIP_1) | instid1(VALU_DEP_2)
	v_cndmask_b32_e32 v118, v118, v56, vcc_lo
	v_cmp_eq_u32_e32 vcc_lo, 23, v0
	v_cndmask_b32_e32 v118, v118, v57, vcc_lo
	v_cmp_eq_u32_e32 vcc_lo, 24, v0
	s_delay_alu instid0(VALU_DEP_2) | instskip(SKIP_1) | instid1(VALU_DEP_2)
	v_cndmask_b32_e32 v118, v118, v58, vcc_lo
	v_cmp_eq_u32_e32 vcc_lo, 25, v0
	v_cndmask_b32_e32 v118, v118, v59, vcc_lo
	s_wait_dscnt 0x0
	s_delay_alu instid0(VALU_DEP_1)
	v_mul_f32_e32 v122, v118, v119
	s_cbranch_execz .LBB89_373
	s_branch .LBB89_374
.LBB89_372:
                                        ; implicit-def: $vgpr122
.LBB89_373:
	ds_load_b32 v122, v121
.LBB89_374:
	s_and_saveexec_b32 s4, s1
	s_cbranch_execz .LBB89_384
; %bb.375:
	v_dual_add_nc_u32 v118, -2, v0 :: v_dual_add_nc_u32 v119, -1, v0
	s_delay_alu instid0(VALU_DEP_1)
	v_cmp_lt_u32_e32 vcc_lo, 6, v118
	v_mov_b32_e32 v118, 1
	s_and_saveexec_b32 s5, vcc_lo
	s_cbranch_execz .LBB89_379
; %bb.376:
	v_and_b32_e32 v118, -8, v119
	s_mov_b32 s6, 0
	s_mov_b64 s[0:1], 8
	s_movk_i32 s7, 0x74
	s_delay_alu instid0(VALU_DEP_1)
	v_sub_nc_u32_e32 v120, 0, v118
.LBB89_377:                             ; =>This Inner Loop Header: Depth=1
	s_add_co_i32 m0, s0, -7
	v_movrels_b32_e32 v123, v34
	v_mov_b32_e32 v118, s7
	s_add_co_i32 m0, s0, -6
	s_add_co_i32 s7, s7, 32
	v_movrels_b32_e32 v132, v34
	ds_load_2addr_b32 v[124:125], v118 offset1:1
	ds_load_2addr_b32 v[126:127], v118 offset0:2 offset1:3
	s_add_co_i32 m0, s0, -5
	s_wait_dscnt 0x1
	v_fmac_f32_e32 v122, v123, v124
	ds_load_2addr_b32 v[128:129], v118 offset0:4 offset1:5
	ds_load_2addr_b32 v[130:131], v118 offset0:6 offset1:7
	v_movrels_b32_e32 v118, v34
	s_add_co_i32 m0, s0, -4
	v_fmac_f32_e32 v122, v132, v125
	v_movrels_b32_e32 v123, v34
	s_add_co_i32 m0, s0, -3
	s_wait_dscnt 0x2
	s_delay_alu instid0(VALU_DEP_2) | instskip(SKIP_2) | instid1(VALU_DEP_2)
	v_fmac_f32_e32 v122, v118, v126
	v_movrels_b32_e32 v118, v34
	s_add_co_i32 m0, s0, -2
	v_fmac_f32_e32 v122, v123, v127
	v_movrels_b32_e32 v123, v34
	s_add_co_i32 m0, s0, -1
	s_wait_dscnt 0x1
	s_delay_alu instid0(VALU_DEP_2)
	v_fmac_f32_e32 v122, v118, v128
	v_movrels_b32_e32 v118, v34
	s_mov_b32 m0, s0
	s_add_nc_u64 s[0:1], s[0:1], 8
	v_movrels_b32_e32 v124, v34
	v_dual_fmac_f32 v122, v123, v129 :: v_dual_add_nc_u32 v123, s0, v120
	s_add_co_i32 s8, s0, -7
	s_wait_dscnt 0x0
	s_delay_alu instid0(VALU_DEP_1) | instskip(NEXT) | instid1(VALU_DEP_2)
	v_fmac_f32_e32 v122, v118, v130
	v_cmp_eq_u32_e32 vcc_lo, 8, v123
	s_delay_alu instid0(VALU_DEP_2) | instskip(SKIP_1) | instid1(SALU_CYCLE_1)
	v_dual_mov_b32 v118, s8 :: v_dual_fmac_f32 v122, v124, v131
	s_or_b32 s6, vcc_lo, s6
	s_and_not1_b32 exec_lo, exec_lo, s6
	s_cbranch_execnz .LBB89_377
; %bb.378:
	s_or_b32 exec_lo, exec_lo, s6
.LBB89_379:
	s_delay_alu instid0(SALU_CYCLE_1) | instskip(SKIP_3) | instid1(VALU_DEP_1)
	s_or_b32 exec_lo, exec_lo, s5
	v_and_b32_e32 v60, 7, v119
	s_mov_b32 s1, 0
	s_mov_b32 s0, exec_lo
	v_cmpx_ne_u32_e32 0, v60
	s_cbranch_execz .LBB89_383
; %bb.380:
	v_lshl_add_u32 v61, v118, 2, 0x70
	v_mov_b32_e32 v119, 0
.LBB89_381:                             ; =>This Inner Loop Header: Depth=1
	v_cmp_eq_u32_e32 vcc_lo, 1, v118
	ds_load_b32 v63, v61
	v_dual_add_nc_u32 v60, -1, v60 :: v_dual_add_nc_u32 v61, 4, v61
	v_cndmask_b32_e32 v62, v34, v35, vcc_lo
	v_cmp_eq_u32_e32 vcc_lo, 2, v118
	s_delay_alu instid0(VALU_DEP_2) | instskip(SKIP_1) | instid1(VALU_DEP_2)
	v_cndmask_b32_e32 v62, v62, v36, vcc_lo
	v_cmp_eq_u32_e32 vcc_lo, 3, v118
	v_cndmask_b32_e32 v62, v62, v37, vcc_lo
	v_cmp_eq_u32_e32 vcc_lo, 4, v118
	s_delay_alu instid0(VALU_DEP_2) | instskip(SKIP_1) | instid1(VALU_DEP_2)
	v_cndmask_b32_e32 v62, v62, v38, vcc_lo
	v_cmp_eq_u32_e32 vcc_lo, 5, v118
	;; [unrolled: 5-line block ×11, first 2 shown]
	v_cndmask_b32_e32 v62, v62, v57, vcc_lo
	v_cmp_eq_u32_e32 vcc_lo, 24, v118
	s_delay_alu instid0(VALU_DEP_2) | instskip(SKIP_2) | instid1(VALU_DEP_3)
	v_cndmask_b32_e32 v62, v62, v58, vcc_lo
	v_cmp_eq_u32_e32 vcc_lo, 25, v118
	v_add_nc_u64_e32 v[118:119], 1, v[118:119]
	v_cndmask_b32_e32 v62, v62, v59, vcc_lo
	v_cmp_eq_u32_e32 vcc_lo, 0, v60
	s_wait_dscnt 0x0
	s_delay_alu instid0(VALU_DEP_2) | instskip(SKIP_1) | instid1(SALU_CYCLE_1)
	v_fmac_f32_e32 v122, v62, v63
	s_or_b32 s1, vcc_lo, s1
	s_and_not1_b32 exec_lo, exec_lo, s1
	s_cbranch_execnz .LBB89_381
; %bb.382:
	s_or_b32 exec_lo, exec_lo, s1
.LBB89_383:
	s_delay_alu instid0(SALU_CYCLE_1)
	s_or_b32 exec_lo, exec_lo, s0
.LBB89_384:
	s_delay_alu instid0(SALU_CYCLE_1)
	s_or_b32 exec_lo, exec_lo, s4
	v_mov_b32_e32 v34, 0
	ds_load_b32 v34, v34
	s_wait_dscnt 0x0
	v_mul_f32_e32 v34, v122, v34
.LBB89_385:
	s_or_b32 exec_lo, exec_lo, s3
	s_delay_alu instid0(SALU_CYCLE_1)
	s_and_b32 vcc_lo, exec_lo, s2
	s_cbranch_vccz .LBB89_639
.LBB89_386:
	v_cmp_eq_u32_e64 s0, 0, v0
	s_wait_loadcnt_dscnt 0x191a
	ds_store_b32 v121, v3
	s_wait_loadcnt_dscnt 0x0
	s_barrier_signal -1
	s_barrier_wait -1
	s_and_saveexec_b32 s1, s0
	s_cbranch_execz .LBB89_392
; %bb.387:
	s_and_b32 vcc_lo, exec_lo, s30
	s_cbranch_vccz .LBB89_389
; %bb.388:
	v_cmp_eq_u32_e32 vcc_lo, 1, v0
	ds_load_b32 v28, v121
	v_cndmask_b32_e32 v3, v2, v3, vcc_lo
	v_cmp_eq_u32_e32 vcc_lo, 2, v0
	s_delay_alu instid0(VALU_DEP_2) | instskip(SKIP_1) | instid1(VALU_DEP_2)
	v_cndmask_b32_e32 v3, v3, v4, vcc_lo
	v_cmp_eq_u32_e32 vcc_lo, 3, v0
	v_cndmask_b32_e32 v3, v3, v5, vcc_lo
	v_cmp_eq_u32_e32 vcc_lo, 4, v0
	s_delay_alu instid0(VALU_DEP_2) | instskip(SKIP_1) | instid1(VALU_DEP_2)
	v_cndmask_b32_e32 v3, v3, v6, vcc_lo
	v_cmp_eq_u32_e32 vcc_lo, 5, v0
	;; [unrolled: 5-line block ×12, first 2 shown]
	v_cndmask_b32_e32 v3, v3, v27, vcc_lo
	s_wait_dscnt 0x0
	s_delay_alu instid0(VALU_DEP_1)
	v_mul_f32_e32 v3, v3, v28
	s_cbranch_execz .LBB89_390
	s_branch .LBB89_391
.LBB89_389:
                                        ; implicit-def: $vgpr3
.LBB89_390:
	ds_load_b32 v3, v121
.LBB89_391:
	v_mov_b32_e32 v28, 0
	ds_load_b32 v28, v28 offset:4
	s_wait_dscnt 0x0
	v_mul_f32_e32 v3, v3, v28
.LBB89_392:
	s_or_b32 exec_lo, exec_lo, s1
	v_cndmask_b32_e64 v34, 0, 1, s30
	s_mov_b32 s1, exec_lo
	ds_store_b32 v121, v4
	s_wait_dscnt 0x0
	s_barrier_signal -1
	s_barrier_wait -1
	v_cmpx_gt_u32_e32 2, v0
	s_cbranch_execz .LBB89_398
; %bb.393:
	s_and_not1_b32 vcc_lo, exec_lo, s30
	s_cbranch_vccnz .LBB89_395
; %bb.394:
	v_cmp_eq_u32_e32 vcc_lo, 1, v0
	v_cndmask_b32_e32 v28, v2, v3, vcc_lo
	v_cmp_eq_u32_e32 vcc_lo, 2, v0
	s_delay_alu instid0(VALU_DEP_2) | instskip(SKIP_4) | instid1(VALU_DEP_2)
	v_cndmask_b32_e32 v4, v28, v4, vcc_lo
	v_cmp_eq_u32_e32 vcc_lo, 3, v0
	ds_load_b32 v28, v121
	v_cndmask_b32_e32 v4, v4, v5, vcc_lo
	v_cmp_eq_u32_e32 vcc_lo, 4, v0
	v_cndmask_b32_e32 v4, v4, v6, vcc_lo
	v_cmp_eq_u32_e32 vcc_lo, 5, v0
	s_delay_alu instid0(VALU_DEP_2) | instskip(SKIP_1) | instid1(VALU_DEP_2)
	v_cndmask_b32_e32 v4, v4, v7, vcc_lo
	v_cmp_eq_u32_e32 vcc_lo, 6, v0
	v_cndmask_b32_e32 v4, v4, v8, vcc_lo
	v_cmp_eq_u32_e32 vcc_lo, 7, v0
	s_delay_alu instid0(VALU_DEP_2) | instskip(SKIP_1) | instid1(VALU_DEP_2)
	;; [unrolled: 5-line block ×10, first 2 shown]
	v_cndmask_b32_e32 v4, v4, v25, vcc_lo
	v_cmp_eq_u32_e32 vcc_lo, 24, v0
	v_cndmask_b32_e32 v4, v4, v26, vcc_lo
	v_cmp_eq_u32_e32 vcc_lo, 25, v0
	s_delay_alu instid0(VALU_DEP_2) | instskip(SKIP_1) | instid1(VALU_DEP_1)
	v_cndmask_b32_e32 v4, v4, v27, vcc_lo
	s_wait_dscnt 0x0
	v_mul_f32_e32 v4, v4, v28
	s_cbranch_execz .LBB89_396
	s_branch .LBB89_397
.LBB89_395:
                                        ; implicit-def: $vgpr4
.LBB89_396:
	ds_load_b32 v4, v121
.LBB89_397:
	v_mov_b32_e32 v28, 0
	ds_load_2addr_b32 v[28:29], v28 offset0:2 offset1:29
	s_wait_dscnt 0x0
	v_fma_f32 v29, v3, v29, v4
	s_delay_alu instid0(VALU_DEP_1) | instskip(NEXT) | instid1(VALU_DEP_1)
	v_cndmask_b32_e64 v4, v4, v29, s0
	v_mul_f32_e32 v4, v4, v28
.LBB89_398:
	s_or_b32 exec_lo, exec_lo, s1
	v_add_nc_u32_e32 v35, 1, v0
	v_cmp_gt_u32_e64 s1, 3, v0
	ds_store_b32 v121, v5
	s_wait_dscnt 0x0
	s_barrier_signal -1
	s_barrier_wait -1
	s_and_saveexec_b32 s2, s1
	s_cbranch_execz .LBB89_406
; %bb.399:
	v_cmp_ne_u32_e32 vcc_lo, 1, v34
	s_cbranch_vccnz .LBB89_401
; %bb.400:
	v_cmp_eq_u32_e32 vcc_lo, 1, v0
	ds_load_b32 v29, v121
	v_cndmask_b32_e32 v28, v2, v3, vcc_lo
	v_cmp_eq_u32_e32 vcc_lo, 2, v0
	s_delay_alu instid0(VALU_DEP_2) | instskip(SKIP_1) | instid1(VALU_DEP_2)
	v_cndmask_b32_e32 v28, v28, v4, vcc_lo
	v_cmp_eq_u32_e32 vcc_lo, 3, v0
	v_cndmask_b32_e32 v28, v28, v5, vcc_lo
	v_cmp_eq_u32_e32 vcc_lo, 4, v0
	s_delay_alu instid0(VALU_DEP_2) | instskip(SKIP_1) | instid1(VALU_DEP_2)
	v_cndmask_b32_e32 v28, v28, v6, vcc_lo
	v_cmp_eq_u32_e32 vcc_lo, 5, v0
	;; [unrolled: 5-line block ×12, first 2 shown]
	v_cndmask_b32_e32 v28, v28, v27, vcc_lo
	s_wait_dscnt 0x0
	s_delay_alu instid0(VALU_DEP_1)
	v_mul_f32_e32 v28, v28, v29
	s_cbranch_execz .LBB89_402
	s_branch .LBB89_403
.LBB89_401:
                                        ; implicit-def: $vgpr28
.LBB89_402:
	ds_load_b32 v28, v121
.LBB89_403:
	s_mov_b32 s3, exec_lo
	v_cmpx_ne_u32_e32 2, v0
	s_cbranch_execz .LBB89_405
; %bb.404:
	v_cmp_eq_u32_e32 vcc_lo, 1, v35
	v_dual_mov_b32 v30, 0 :: v_dual_cndmask_b32 v29, v2, v3
	v_cmp_eq_u32_e32 vcc_lo, 2, v35
	ds_load_b32 v30, v30 offset:120
	v_cndmask_b32_e32 v29, v29, v4, vcc_lo
	v_cmp_eq_u32_e32 vcc_lo, 3, v35
	s_delay_alu instid0(VALU_DEP_2) | instskip(SKIP_4) | instid1(VALU_DEP_2)
	v_cndmask_b32_e32 v5, v29, v5, vcc_lo
	v_cmp_eq_u32_e32 vcc_lo, 4, v35
	ds_load_b32 v29, v121 offset:4
	v_cndmask_b32_e32 v5, v5, v6, vcc_lo
	v_cmp_eq_u32_e32 vcc_lo, 5, v35
	v_cndmask_b32_e32 v5, v5, v7, vcc_lo
	v_cmp_eq_u32_e32 vcc_lo, 6, v35
	s_delay_alu instid0(VALU_DEP_2) | instskip(SKIP_1) | instid1(VALU_DEP_2)
	v_cndmask_b32_e32 v5, v5, v8, vcc_lo
	v_cmp_eq_u32_e32 vcc_lo, 7, v35
	v_cndmask_b32_e32 v5, v5, v9, vcc_lo
	v_cmp_eq_u32_e32 vcc_lo, 8, v35
	s_delay_alu instid0(VALU_DEP_2) | instskip(SKIP_1) | instid1(VALU_DEP_2)
	;; [unrolled: 5-line block ×10, first 2 shown]
	v_cndmask_b32_e32 v5, v5, v26, vcc_lo
	v_cmp_eq_u32_e32 vcc_lo, 25, v35
	v_cndmask_b32_e32 v5, v5, v27, vcc_lo
	s_wait_dscnt 0x0
	s_delay_alu instid0(VALU_DEP_1) | instskip(NEXT) | instid1(VALU_DEP_1)
	v_fmac_f32_e32 v28, v5, v29
	v_fma_f32 v5, v4, v30, v28
	s_delay_alu instid0(VALU_DEP_1)
	v_cndmask_b32_e64 v28, v28, v5, s0
.LBB89_405:
	s_or_b32 exec_lo, exec_lo, s3
	v_mov_b32_e32 v5, 0
	ds_load_b32 v5, v5 offset:12
	s_wait_dscnt 0x0
	v_mul_f32_e32 v5, v28, v5
.LBB89_406:
	s_or_b32 exec_lo, exec_lo, s2
	s_delay_alu instid0(SALU_CYCLE_1)
	s_mov_b32 s2, exec_lo
	ds_store_b32 v121, v6
	s_wait_dscnt 0x0
	s_barrier_signal -1
	s_barrier_wait -1
	v_cmpx_gt_u32_e32 4, v0
	s_cbranch_execz .LBB89_416
; %bb.407:
	v_cmp_ne_u32_e32 vcc_lo, 1, v34
	s_cbranch_vccnz .LBB89_409
; %bb.408:
	v_cmp_eq_u32_e32 vcc_lo, 1, v0
	ds_load_b32 v29, v121
	v_cndmask_b32_e32 v28, v2, v3, vcc_lo
	v_cmp_eq_u32_e32 vcc_lo, 2, v0
	s_delay_alu instid0(VALU_DEP_2) | instskip(SKIP_1) | instid1(VALU_DEP_2)
	v_cndmask_b32_e32 v28, v28, v4, vcc_lo
	v_cmp_eq_u32_e32 vcc_lo, 3, v0
	v_cndmask_b32_e32 v28, v28, v5, vcc_lo
	v_cmp_eq_u32_e32 vcc_lo, 4, v0
	s_delay_alu instid0(VALU_DEP_2) | instskip(SKIP_1) | instid1(VALU_DEP_2)
	v_cndmask_b32_e32 v28, v28, v6, vcc_lo
	v_cmp_eq_u32_e32 vcc_lo, 5, v0
	;; [unrolled: 5-line block ×12, first 2 shown]
	v_cndmask_b32_e32 v28, v28, v27, vcc_lo
	s_wait_dscnt 0x0
	s_delay_alu instid0(VALU_DEP_1)
	v_mul_f32_e32 v30, v28, v29
	s_cbranch_execz .LBB89_410
	s_branch .LBB89_411
.LBB89_409:
                                        ; implicit-def: $vgpr30
.LBB89_410:
	ds_load_b32 v30, v121
.LBB89_411:
	s_mov_b32 s3, exec_lo
	v_cmpx_ne_u32_e32 3, v0
	s_cbranch_execz .LBB89_415
; %bb.412:
	v_mov_b64_e32 v[28:29], v[0:1]
	v_lshl_add_u32 v31, v0, 2, 0x74
	s_mov_b32 s4, 0
.LBB89_413:                             ; =>This Inner Loop Header: Depth=1
	s_delay_alu instid0(VALU_DEP_2)
	v_add_nc_u64_e32 v[28:29], 1, v[28:29]
	ds_load_b32 v33, v31
	v_add_nc_u32_e32 v31, 4, v31
	v_cmp_eq_u32_e32 vcc_lo, 1, v28
	v_cndmask_b32_e32 v32, v2, v3, vcc_lo
	v_cmp_eq_u32_e32 vcc_lo, 2, v28
	s_delay_alu instid0(VALU_DEP_2) | instskip(SKIP_1) | instid1(VALU_DEP_2)
	v_cndmask_b32_e32 v32, v32, v4, vcc_lo
	v_cmp_eq_u32_e32 vcc_lo, 3, v28
	v_cndmask_b32_e32 v32, v32, v5, vcc_lo
	v_cmp_eq_u32_e32 vcc_lo, 4, v28
	s_delay_alu instid0(VALU_DEP_2) | instskip(SKIP_1) | instid1(VALU_DEP_2)
	v_cndmask_b32_e32 v32, v32, v6, vcc_lo
	;; [unrolled: 5-line block ×12, first 2 shown]
	v_cmp_eq_u32_e32 vcc_lo, 25, v28
	v_cndmask_b32_e32 v32, v32, v27, vcc_lo
	v_cmp_lt_u32_e32 vcc_lo, 2, v28
	s_wait_dscnt 0x0
	s_delay_alu instid0(VALU_DEP_2) | instskip(SKIP_1) | instid1(SALU_CYCLE_1)
	v_fmac_f32_e32 v30, v32, v33
	s_or_b32 s4, vcc_lo, s4
	s_and_not1_b32 exec_lo, exec_lo, s4
	s_cbranch_execnz .LBB89_413
; %bb.414:
	s_or_b32 exec_lo, exec_lo, s4
.LBB89_415:
	s_delay_alu instid0(SALU_CYCLE_1)
	s_or_b32 exec_lo, exec_lo, s3
	v_mov_b32_e32 v6, 0
	ds_load_b32 v6, v6 offset:16
	s_wait_dscnt 0x0
	v_mul_f32_e32 v6, v30, v6
.LBB89_416:
	s_or_b32 exec_lo, exec_lo, s2
	v_cmp_gt_u32_e64 s2, 5, v0
	ds_store_b32 v121, v7
	s_wait_dscnt 0x0
	s_barrier_signal -1
	s_barrier_wait -1
	s_and_saveexec_b32 s3, s2
	s_cbranch_execz .LBB89_426
; %bb.417:
	v_cmp_ne_u32_e32 vcc_lo, 1, v34
	s_cbranch_vccnz .LBB89_419
; %bb.418:
	v_cmp_eq_u32_e32 vcc_lo, 1, v0
	ds_load_b32 v29, v121
	v_cndmask_b32_e32 v28, v2, v3, vcc_lo
	v_cmp_eq_u32_e32 vcc_lo, 2, v0
	s_delay_alu instid0(VALU_DEP_2) | instskip(SKIP_1) | instid1(VALU_DEP_2)
	v_cndmask_b32_e32 v28, v28, v4, vcc_lo
	v_cmp_eq_u32_e32 vcc_lo, 3, v0
	v_cndmask_b32_e32 v28, v28, v5, vcc_lo
	v_cmp_eq_u32_e32 vcc_lo, 4, v0
	s_delay_alu instid0(VALU_DEP_2) | instskip(SKIP_1) | instid1(VALU_DEP_2)
	v_cndmask_b32_e32 v28, v28, v6, vcc_lo
	v_cmp_eq_u32_e32 vcc_lo, 5, v0
	;; [unrolled: 5-line block ×12, first 2 shown]
	v_cndmask_b32_e32 v28, v28, v27, vcc_lo
	s_wait_dscnt 0x0
	s_delay_alu instid0(VALU_DEP_1)
	v_mul_f32_e32 v30, v28, v29
	s_cbranch_execz .LBB89_420
	s_branch .LBB89_421
.LBB89_419:
                                        ; implicit-def: $vgpr30
.LBB89_420:
	ds_load_b32 v30, v121
.LBB89_421:
	s_mov_b32 s4, exec_lo
	v_cmpx_ne_u32_e32 4, v0
	s_cbranch_execz .LBB89_425
; %bb.422:
	v_mov_b64_e32 v[28:29], v[0:1]
	v_lshl_add_u32 v31, v0, 2, 0x74
	s_mov_b32 s5, 0
.LBB89_423:                             ; =>This Inner Loop Header: Depth=1
	s_delay_alu instid0(VALU_DEP_2)
	v_add_nc_u64_e32 v[28:29], 1, v[28:29]
	ds_load_b32 v33, v31
	v_add_nc_u32_e32 v31, 4, v31
	v_cmp_eq_u32_e32 vcc_lo, 1, v28
	v_cndmask_b32_e32 v32, v2, v3, vcc_lo
	v_cmp_eq_u32_e32 vcc_lo, 2, v28
	s_delay_alu instid0(VALU_DEP_2) | instskip(SKIP_1) | instid1(VALU_DEP_2)
	v_cndmask_b32_e32 v32, v32, v4, vcc_lo
	v_cmp_eq_u32_e32 vcc_lo, 3, v28
	v_cndmask_b32_e32 v32, v32, v5, vcc_lo
	v_cmp_eq_u32_e32 vcc_lo, 4, v28
	s_delay_alu instid0(VALU_DEP_2) | instskip(SKIP_1) | instid1(VALU_DEP_2)
	v_cndmask_b32_e32 v32, v32, v6, vcc_lo
	;; [unrolled: 5-line block ×12, first 2 shown]
	v_cmp_eq_u32_e32 vcc_lo, 25, v28
	v_cndmask_b32_e32 v32, v32, v27, vcc_lo
	v_cmp_lt_u32_e32 vcc_lo, 3, v28
	s_wait_dscnt 0x0
	s_delay_alu instid0(VALU_DEP_2) | instskip(SKIP_1) | instid1(SALU_CYCLE_1)
	v_fmac_f32_e32 v30, v32, v33
	s_or_b32 s5, vcc_lo, s5
	s_and_not1_b32 exec_lo, exec_lo, s5
	s_cbranch_execnz .LBB89_423
; %bb.424:
	s_or_b32 exec_lo, exec_lo, s5
.LBB89_425:
	s_delay_alu instid0(SALU_CYCLE_1)
	s_or_b32 exec_lo, exec_lo, s4
	v_mov_b32_e32 v7, 0
	ds_load_b32 v7, v7 offset:20
	s_wait_dscnt 0x0
	v_mul_f32_e32 v7, v30, v7
.LBB89_426:
	s_or_b32 exec_lo, exec_lo, s3
	s_delay_alu instid0(SALU_CYCLE_1)
	s_mov_b32 s3, exec_lo
	ds_store_b32 v121, v8
	s_wait_dscnt 0x0
	s_barrier_signal -1
	s_barrier_wait -1
	v_cmpx_gt_u32_e32 6, v0
	s_cbranch_execz .LBB89_436
; %bb.427:
	v_cmp_ne_u32_e32 vcc_lo, 1, v34
	s_cbranch_vccnz .LBB89_429
; %bb.428:
	v_cmp_eq_u32_e32 vcc_lo, 1, v0
	ds_load_b32 v29, v121
	v_cndmask_b32_e32 v28, v2, v3, vcc_lo
	v_cmp_eq_u32_e32 vcc_lo, 2, v0
	s_delay_alu instid0(VALU_DEP_2) | instskip(SKIP_1) | instid1(VALU_DEP_2)
	v_cndmask_b32_e32 v28, v28, v4, vcc_lo
	v_cmp_eq_u32_e32 vcc_lo, 3, v0
	v_cndmask_b32_e32 v28, v28, v5, vcc_lo
	v_cmp_eq_u32_e32 vcc_lo, 4, v0
	s_delay_alu instid0(VALU_DEP_2) | instskip(SKIP_1) | instid1(VALU_DEP_2)
	v_cndmask_b32_e32 v28, v28, v6, vcc_lo
	v_cmp_eq_u32_e32 vcc_lo, 5, v0
	;; [unrolled: 5-line block ×12, first 2 shown]
	v_cndmask_b32_e32 v28, v28, v27, vcc_lo
	s_wait_dscnt 0x0
	s_delay_alu instid0(VALU_DEP_1)
	v_mul_f32_e32 v30, v28, v29
	s_cbranch_execz .LBB89_430
	s_branch .LBB89_431
.LBB89_429:
                                        ; implicit-def: $vgpr30
.LBB89_430:
	ds_load_b32 v30, v121
.LBB89_431:
	s_mov_b32 s4, exec_lo
	v_cmpx_ne_u32_e32 5, v0
	s_cbranch_execz .LBB89_435
; %bb.432:
	v_mov_b64_e32 v[28:29], v[0:1]
	v_lshl_add_u32 v31, v0, 2, 0x74
	s_mov_b32 s5, 0
.LBB89_433:                             ; =>This Inner Loop Header: Depth=1
	s_delay_alu instid0(VALU_DEP_2)
	v_add_nc_u64_e32 v[28:29], 1, v[28:29]
	ds_load_b32 v33, v31
	v_add_nc_u32_e32 v31, 4, v31
	v_cmp_eq_u32_e32 vcc_lo, 1, v28
	v_cndmask_b32_e32 v32, v2, v3, vcc_lo
	v_cmp_eq_u32_e32 vcc_lo, 2, v28
	s_delay_alu instid0(VALU_DEP_2) | instskip(SKIP_1) | instid1(VALU_DEP_2)
	v_cndmask_b32_e32 v32, v32, v4, vcc_lo
	v_cmp_eq_u32_e32 vcc_lo, 3, v28
	v_cndmask_b32_e32 v32, v32, v5, vcc_lo
	v_cmp_eq_u32_e32 vcc_lo, 4, v28
	s_delay_alu instid0(VALU_DEP_2) | instskip(SKIP_1) | instid1(VALU_DEP_2)
	v_cndmask_b32_e32 v32, v32, v6, vcc_lo
	;; [unrolled: 5-line block ×12, first 2 shown]
	v_cmp_eq_u32_e32 vcc_lo, 25, v28
	v_cndmask_b32_e32 v32, v32, v27, vcc_lo
	v_cmp_lt_u32_e32 vcc_lo, 4, v28
	s_wait_dscnt 0x0
	s_delay_alu instid0(VALU_DEP_2) | instskip(SKIP_1) | instid1(SALU_CYCLE_1)
	v_fmac_f32_e32 v30, v32, v33
	s_or_b32 s5, vcc_lo, s5
	s_and_not1_b32 exec_lo, exec_lo, s5
	s_cbranch_execnz .LBB89_433
; %bb.434:
	s_or_b32 exec_lo, exec_lo, s5
.LBB89_435:
	s_delay_alu instid0(SALU_CYCLE_1)
	s_or_b32 exec_lo, exec_lo, s4
	v_mov_b32_e32 v8, 0
	ds_load_b32 v8, v8 offset:24
	s_wait_dscnt 0x0
	v_mul_f32_e32 v8, v30, v8
.LBB89_436:
	s_or_b32 exec_lo, exec_lo, s3
	v_cmp_gt_u32_e64 s3, 7, v0
	ds_store_b32 v121, v9
	s_wait_dscnt 0x0
	s_barrier_signal -1
	s_barrier_wait -1
	s_and_saveexec_b32 s4, s3
	s_cbranch_execz .LBB89_446
; %bb.437:
	v_cmp_ne_u32_e32 vcc_lo, 1, v34
	s_cbranch_vccnz .LBB89_439
; %bb.438:
	v_cmp_eq_u32_e32 vcc_lo, 1, v0
	ds_load_b32 v29, v121
	v_cndmask_b32_e32 v28, v2, v3, vcc_lo
	v_cmp_eq_u32_e32 vcc_lo, 2, v0
	s_delay_alu instid0(VALU_DEP_2) | instskip(SKIP_1) | instid1(VALU_DEP_2)
	v_cndmask_b32_e32 v28, v28, v4, vcc_lo
	v_cmp_eq_u32_e32 vcc_lo, 3, v0
	v_cndmask_b32_e32 v28, v28, v5, vcc_lo
	v_cmp_eq_u32_e32 vcc_lo, 4, v0
	s_delay_alu instid0(VALU_DEP_2) | instskip(SKIP_1) | instid1(VALU_DEP_2)
	v_cndmask_b32_e32 v28, v28, v6, vcc_lo
	v_cmp_eq_u32_e32 vcc_lo, 5, v0
	v_cndmask_b32_e32 v28, v28, v7, vcc_lo
	v_cmp_eq_u32_e32 vcc_lo, 6, v0
	s_delay_alu instid0(VALU_DEP_2) | instskip(SKIP_1) | instid1(VALU_DEP_2)
	v_cndmask_b32_e32 v28, v28, v8, vcc_lo
	v_cmp_eq_u32_e32 vcc_lo, 7, v0
	v_cndmask_b32_e32 v28, v28, v9, vcc_lo
	v_cmp_eq_u32_e32 vcc_lo, 8, v0
	s_delay_alu instid0(VALU_DEP_2) | instskip(SKIP_1) | instid1(VALU_DEP_2)
	v_cndmask_b32_e32 v28, v28, v10, vcc_lo
	v_cmp_eq_u32_e32 vcc_lo, 9, v0
	v_cndmask_b32_e32 v28, v28, v11, vcc_lo
	v_cmp_eq_u32_e32 vcc_lo, 10, v0
	s_delay_alu instid0(VALU_DEP_2) | instskip(SKIP_1) | instid1(VALU_DEP_2)
	v_cndmask_b32_e32 v28, v28, v12, vcc_lo
	v_cmp_eq_u32_e32 vcc_lo, 11, v0
	v_cndmask_b32_e32 v28, v28, v13, vcc_lo
	v_cmp_eq_u32_e32 vcc_lo, 12, v0
	s_delay_alu instid0(VALU_DEP_2) | instskip(SKIP_1) | instid1(VALU_DEP_2)
	v_cndmask_b32_e32 v28, v28, v14, vcc_lo
	v_cmp_eq_u32_e32 vcc_lo, 13, v0
	v_cndmask_b32_e32 v28, v28, v15, vcc_lo
	v_cmp_eq_u32_e32 vcc_lo, 14, v0
	s_delay_alu instid0(VALU_DEP_2) | instskip(SKIP_1) | instid1(VALU_DEP_2)
	v_cndmask_b32_e32 v28, v28, v16, vcc_lo
	v_cmp_eq_u32_e32 vcc_lo, 15, v0
	v_cndmask_b32_e32 v28, v28, v17, vcc_lo
	v_cmp_eq_u32_e32 vcc_lo, 16, v0
	s_delay_alu instid0(VALU_DEP_2) | instskip(SKIP_1) | instid1(VALU_DEP_2)
	v_cndmask_b32_e32 v28, v28, v18, vcc_lo
	v_cmp_eq_u32_e32 vcc_lo, 17, v0
	v_cndmask_b32_e32 v28, v28, v19, vcc_lo
	v_cmp_eq_u32_e32 vcc_lo, 18, v0
	s_delay_alu instid0(VALU_DEP_2) | instskip(SKIP_1) | instid1(VALU_DEP_2)
	v_cndmask_b32_e32 v28, v28, v20, vcc_lo
	v_cmp_eq_u32_e32 vcc_lo, 19, v0
	v_cndmask_b32_e32 v28, v28, v21, vcc_lo
	v_cmp_eq_u32_e32 vcc_lo, 20, v0
	s_delay_alu instid0(VALU_DEP_2) | instskip(SKIP_1) | instid1(VALU_DEP_2)
	v_cndmask_b32_e32 v28, v28, v22, vcc_lo
	v_cmp_eq_u32_e32 vcc_lo, 21, v0
	v_cndmask_b32_e32 v28, v28, v23, vcc_lo
	v_cmp_eq_u32_e32 vcc_lo, 22, v0
	s_delay_alu instid0(VALU_DEP_2) | instskip(SKIP_1) | instid1(VALU_DEP_2)
	v_cndmask_b32_e32 v28, v28, v24, vcc_lo
	v_cmp_eq_u32_e32 vcc_lo, 23, v0
	v_cndmask_b32_e32 v28, v28, v25, vcc_lo
	v_cmp_eq_u32_e32 vcc_lo, 24, v0
	s_delay_alu instid0(VALU_DEP_2) | instskip(SKIP_1) | instid1(VALU_DEP_2)
	v_cndmask_b32_e32 v28, v28, v26, vcc_lo
	v_cmp_eq_u32_e32 vcc_lo, 25, v0
	v_cndmask_b32_e32 v28, v28, v27, vcc_lo
	s_wait_dscnt 0x0
	s_delay_alu instid0(VALU_DEP_1)
	v_mul_f32_e32 v30, v28, v29
	s_cbranch_execz .LBB89_440
	s_branch .LBB89_441
.LBB89_439:
                                        ; implicit-def: $vgpr30
.LBB89_440:
	ds_load_b32 v30, v121
.LBB89_441:
	s_mov_b32 s5, exec_lo
	v_cmpx_ne_u32_e32 6, v0
	s_cbranch_execz .LBB89_445
; %bb.442:
	v_mov_b64_e32 v[28:29], v[0:1]
	v_lshl_add_u32 v31, v0, 2, 0x74
	s_mov_b32 s6, 0
.LBB89_443:                             ; =>This Inner Loop Header: Depth=1
	s_delay_alu instid0(VALU_DEP_2)
	v_add_nc_u64_e32 v[28:29], 1, v[28:29]
	ds_load_b32 v33, v31
	v_add_nc_u32_e32 v31, 4, v31
	v_cmp_eq_u32_e32 vcc_lo, 1, v28
	v_cndmask_b32_e32 v32, v2, v3, vcc_lo
	v_cmp_eq_u32_e32 vcc_lo, 2, v28
	s_delay_alu instid0(VALU_DEP_2) | instskip(SKIP_1) | instid1(VALU_DEP_2)
	v_cndmask_b32_e32 v32, v32, v4, vcc_lo
	v_cmp_eq_u32_e32 vcc_lo, 3, v28
	v_cndmask_b32_e32 v32, v32, v5, vcc_lo
	v_cmp_eq_u32_e32 vcc_lo, 4, v28
	s_delay_alu instid0(VALU_DEP_2) | instskip(SKIP_1) | instid1(VALU_DEP_2)
	v_cndmask_b32_e32 v32, v32, v6, vcc_lo
	;; [unrolled: 5-line block ×12, first 2 shown]
	v_cmp_eq_u32_e32 vcc_lo, 25, v28
	v_cndmask_b32_e32 v32, v32, v27, vcc_lo
	v_cmp_lt_u32_e32 vcc_lo, 5, v28
	s_wait_dscnt 0x0
	s_delay_alu instid0(VALU_DEP_2) | instskip(SKIP_1) | instid1(SALU_CYCLE_1)
	v_fmac_f32_e32 v30, v32, v33
	s_or_b32 s6, vcc_lo, s6
	s_and_not1_b32 exec_lo, exec_lo, s6
	s_cbranch_execnz .LBB89_443
; %bb.444:
	s_or_b32 exec_lo, exec_lo, s6
.LBB89_445:
	s_delay_alu instid0(SALU_CYCLE_1)
	s_or_b32 exec_lo, exec_lo, s5
	v_mov_b32_e32 v9, 0
	ds_load_b32 v9, v9 offset:28
	s_wait_dscnt 0x0
	v_mul_f32_e32 v9, v30, v9
.LBB89_446:
	s_or_b32 exec_lo, exec_lo, s4
	s_delay_alu instid0(SALU_CYCLE_1)
	s_mov_b32 s4, exec_lo
	ds_store_b32 v121, v10
	s_wait_dscnt 0x0
	s_barrier_signal -1
	s_barrier_wait -1
	v_cmpx_gt_u32_e32 8, v0
	s_cbranch_execz .LBB89_456
; %bb.447:
	v_cmp_ne_u32_e32 vcc_lo, 1, v34
	s_cbranch_vccnz .LBB89_449
; %bb.448:
	v_cmp_eq_u32_e32 vcc_lo, 1, v0
	ds_load_b32 v29, v121
	v_cndmask_b32_e32 v28, v2, v3, vcc_lo
	v_cmp_eq_u32_e32 vcc_lo, 2, v0
	s_delay_alu instid0(VALU_DEP_2) | instskip(SKIP_1) | instid1(VALU_DEP_2)
	v_cndmask_b32_e32 v28, v28, v4, vcc_lo
	v_cmp_eq_u32_e32 vcc_lo, 3, v0
	v_cndmask_b32_e32 v28, v28, v5, vcc_lo
	v_cmp_eq_u32_e32 vcc_lo, 4, v0
	s_delay_alu instid0(VALU_DEP_2) | instskip(SKIP_1) | instid1(VALU_DEP_2)
	v_cndmask_b32_e32 v28, v28, v6, vcc_lo
	v_cmp_eq_u32_e32 vcc_lo, 5, v0
	;; [unrolled: 5-line block ×12, first 2 shown]
	v_cndmask_b32_e32 v28, v28, v27, vcc_lo
	s_wait_dscnt 0x0
	s_delay_alu instid0(VALU_DEP_1)
	v_mul_f32_e32 v30, v28, v29
	s_cbranch_execz .LBB89_450
	s_branch .LBB89_451
.LBB89_449:
                                        ; implicit-def: $vgpr30
.LBB89_450:
	ds_load_b32 v30, v121
.LBB89_451:
	s_mov_b32 s5, exec_lo
	v_cmpx_ne_u32_e32 7, v0
	s_cbranch_execz .LBB89_455
; %bb.452:
	v_mov_b64_e32 v[28:29], v[0:1]
	v_lshl_add_u32 v31, v0, 2, 0x74
	s_mov_b32 s6, 0
.LBB89_453:                             ; =>This Inner Loop Header: Depth=1
	s_delay_alu instid0(VALU_DEP_2)
	v_add_nc_u64_e32 v[28:29], 1, v[28:29]
	ds_load_b32 v33, v31
	v_add_nc_u32_e32 v31, 4, v31
	v_cmp_eq_u32_e32 vcc_lo, 1, v28
	v_cndmask_b32_e32 v32, v2, v3, vcc_lo
	v_cmp_eq_u32_e32 vcc_lo, 2, v28
	s_delay_alu instid0(VALU_DEP_2) | instskip(SKIP_1) | instid1(VALU_DEP_2)
	v_cndmask_b32_e32 v32, v32, v4, vcc_lo
	v_cmp_eq_u32_e32 vcc_lo, 3, v28
	v_cndmask_b32_e32 v32, v32, v5, vcc_lo
	v_cmp_eq_u32_e32 vcc_lo, 4, v28
	s_delay_alu instid0(VALU_DEP_2) | instskip(SKIP_1) | instid1(VALU_DEP_2)
	v_cndmask_b32_e32 v32, v32, v6, vcc_lo
	;; [unrolled: 5-line block ×12, first 2 shown]
	v_cmp_eq_u32_e32 vcc_lo, 25, v28
	v_cndmask_b32_e32 v32, v32, v27, vcc_lo
	v_cmp_lt_u32_e32 vcc_lo, 6, v28
	s_wait_dscnt 0x0
	s_delay_alu instid0(VALU_DEP_2) | instskip(SKIP_1) | instid1(SALU_CYCLE_1)
	v_fmac_f32_e32 v30, v32, v33
	s_or_b32 s6, vcc_lo, s6
	s_and_not1_b32 exec_lo, exec_lo, s6
	s_cbranch_execnz .LBB89_453
; %bb.454:
	s_or_b32 exec_lo, exec_lo, s6
.LBB89_455:
	s_delay_alu instid0(SALU_CYCLE_1)
	s_or_b32 exec_lo, exec_lo, s5
	v_mov_b32_e32 v10, 0
	ds_load_b32 v10, v10 offset:32
	s_wait_dscnt 0x0
	v_mul_f32_e32 v10, v30, v10
.LBB89_456:
	s_or_b32 exec_lo, exec_lo, s4
	s_delay_alu instid0(SALU_CYCLE_1)
	s_mov_b32 s4, exec_lo
	ds_store_b32 v121, v11
	s_wait_dscnt 0x0
	s_barrier_signal -1
	s_barrier_wait -1
	v_cmpx_gt_u32_e32 9, v0
	s_cbranch_execz .LBB89_478
; %bb.457:
	v_cmp_ne_u32_e32 vcc_lo, 1, v34
	s_cbranch_vccnz .LBB89_459
; %bb.458:
	v_cmp_eq_u32_e32 vcc_lo, 1, v0
	ds_load_b32 v29, v121
	v_cndmask_b32_e32 v28, v2, v3, vcc_lo
	v_cmp_eq_u32_e32 vcc_lo, 2, v0
	s_delay_alu instid0(VALU_DEP_2) | instskip(SKIP_1) | instid1(VALU_DEP_2)
	v_cndmask_b32_e32 v28, v28, v4, vcc_lo
	v_cmp_eq_u32_e32 vcc_lo, 3, v0
	v_cndmask_b32_e32 v28, v28, v5, vcc_lo
	v_cmp_eq_u32_e32 vcc_lo, 4, v0
	s_delay_alu instid0(VALU_DEP_2) | instskip(SKIP_1) | instid1(VALU_DEP_2)
	v_cndmask_b32_e32 v28, v28, v6, vcc_lo
	v_cmp_eq_u32_e32 vcc_lo, 5, v0
	;; [unrolled: 5-line block ×12, first 2 shown]
	v_cndmask_b32_e32 v28, v28, v27, vcc_lo
	s_wait_dscnt 0x0
	s_delay_alu instid0(VALU_DEP_1)
	v_mul_f32_e32 v28, v28, v29
	s_cbranch_execz .LBB89_460
	s_branch .LBB89_461
.LBB89_459:
                                        ; implicit-def: $vgpr28
.LBB89_460:
	ds_load_b32 v28, v121
.LBB89_461:
	s_mov_b32 s5, exec_lo
	v_cmpx_ne_u32_e32 8, v0
	s_cbranch_execz .LBB89_477
; %bb.462:
	v_cmp_eq_u32_e32 vcc_lo, 1, v35
	ds_load_b32 v30, v121 offset:4
	v_cndmask_b32_e32 v29, v2, v3, vcc_lo
	v_cmp_eq_u32_e32 vcc_lo, 2, v35
	s_delay_alu instid0(VALU_DEP_2) | instskip(SKIP_1) | instid1(VALU_DEP_2)
	v_cndmask_b32_e32 v29, v29, v4, vcc_lo
	v_cmp_eq_u32_e32 vcc_lo, 3, v35
	v_cndmask_b32_e32 v29, v29, v5, vcc_lo
	v_cmp_eq_u32_e32 vcc_lo, 4, v35
	s_delay_alu instid0(VALU_DEP_2) | instskip(SKIP_1) | instid1(VALU_DEP_2)
	v_cndmask_b32_e32 v29, v29, v6, vcc_lo
	v_cmp_eq_u32_e32 vcc_lo, 5, v35
	;; [unrolled: 5-line block ×12, first 2 shown]
	v_cndmask_b32_e32 v29, v29, v27, vcc_lo
	s_wait_dscnt 0x0
	s_delay_alu instid0(VALU_DEP_1)
	v_fmac_f32_e32 v28, v29, v30
	s_and_saveexec_b32 s6, s3
	s_cbranch_execz .LBB89_476
; %bb.463:
	v_add_nc_u32_e32 v29, 2, v0
	ds_load_b32 v31, v121 offset:8
	s_mov_b32 s3, exec_lo
	v_cmp_eq_u32_e32 vcc_lo, 1, v29
	v_cndmask_b32_e32 v30, v2, v3, vcc_lo
	v_cmp_eq_u32_e32 vcc_lo, 2, v29
	s_delay_alu instid0(VALU_DEP_2) | instskip(SKIP_1) | instid1(VALU_DEP_2)
	v_cndmask_b32_e32 v30, v30, v4, vcc_lo
	v_cmp_eq_u32_e32 vcc_lo, 3, v29
	v_cndmask_b32_e32 v30, v30, v5, vcc_lo
	v_cmp_eq_u32_e32 vcc_lo, 4, v29
	s_delay_alu instid0(VALU_DEP_2) | instskip(SKIP_1) | instid1(VALU_DEP_2)
	v_cndmask_b32_e32 v30, v30, v6, vcc_lo
	;; [unrolled: 5-line block ×12, first 2 shown]
	v_cmp_eq_u32_e32 vcc_lo, 25, v29
	v_cndmask_b32_e32 v29, v30, v27, vcc_lo
	s_wait_dscnt 0x0
	s_delay_alu instid0(VALU_DEP_1)
	v_fmac_f32_e32 v28, v29, v31
	v_cmpx_ne_u32_e32 6, v0
	s_cbranch_execz .LBB89_475
; %bb.464:
	v_add_nc_u32_e32 v29, 3, v0
	ds_load_b32 v31, v121 offset:12
	v_cmp_eq_u32_e32 vcc_lo, 1, v29
	v_cndmask_b32_e32 v30, v2, v3, vcc_lo
	v_cmp_eq_u32_e32 vcc_lo, 2, v29
	s_delay_alu instid0(VALU_DEP_2) | instskip(SKIP_1) | instid1(VALU_DEP_2)
	v_cndmask_b32_e32 v30, v30, v4, vcc_lo
	v_cmp_eq_u32_e32 vcc_lo, 3, v29
	v_cndmask_b32_e32 v30, v30, v5, vcc_lo
	v_cmp_eq_u32_e32 vcc_lo, 4, v29
	s_delay_alu instid0(VALU_DEP_2) | instskip(SKIP_1) | instid1(VALU_DEP_2)
	v_cndmask_b32_e32 v30, v30, v6, vcc_lo
	;; [unrolled: 5-line block ×12, first 2 shown]
	v_cmp_eq_u32_e32 vcc_lo, 25, v29
	v_cndmask_b32_e32 v29, v30, v27, vcc_lo
	s_wait_dscnt 0x0
	s_delay_alu instid0(VALU_DEP_1)
	v_fmac_f32_e32 v28, v29, v31
	s_and_saveexec_b32 s7, s2
	s_cbranch_execz .LBB89_474
; %bb.465:
	v_add_nc_u32_e32 v29, 4, v0
	ds_load_b32 v31, v121 offset:16
	s_mov_b32 s2, exec_lo
	v_cmp_eq_u32_e32 vcc_lo, 1, v29
	v_cndmask_b32_e32 v30, v2, v3, vcc_lo
	v_cmp_eq_u32_e32 vcc_lo, 2, v29
	s_delay_alu instid0(VALU_DEP_2) | instskip(SKIP_1) | instid1(VALU_DEP_2)
	v_cndmask_b32_e32 v30, v30, v4, vcc_lo
	v_cmp_eq_u32_e32 vcc_lo, 3, v29
	v_cndmask_b32_e32 v30, v30, v5, vcc_lo
	v_cmp_eq_u32_e32 vcc_lo, 4, v29
	s_delay_alu instid0(VALU_DEP_2) | instskip(SKIP_1) | instid1(VALU_DEP_2)
	v_cndmask_b32_e32 v30, v30, v6, vcc_lo
	;; [unrolled: 5-line block ×12, first 2 shown]
	v_cmp_eq_u32_e32 vcc_lo, 25, v29
	v_cndmask_b32_e32 v29, v30, v27, vcc_lo
	s_wait_dscnt 0x0
	s_delay_alu instid0(VALU_DEP_1)
	v_fmac_f32_e32 v28, v29, v31
	v_cmpx_ne_u32_e32 4, v0
	s_cbranch_execz .LBB89_473
; %bb.466:
	v_add_nc_u32_e32 v29, 5, v0
	ds_load_b32 v31, v121 offset:20
	v_cmp_eq_u32_e32 vcc_lo, 1, v29
	v_cndmask_b32_e32 v30, v2, v3, vcc_lo
	v_cmp_eq_u32_e32 vcc_lo, 2, v29
	s_delay_alu instid0(VALU_DEP_2) | instskip(SKIP_1) | instid1(VALU_DEP_2)
	v_cndmask_b32_e32 v30, v30, v4, vcc_lo
	v_cmp_eq_u32_e32 vcc_lo, 3, v29
	v_cndmask_b32_e32 v30, v30, v5, vcc_lo
	v_cmp_eq_u32_e32 vcc_lo, 4, v29
	s_delay_alu instid0(VALU_DEP_2) | instskip(SKIP_1) | instid1(VALU_DEP_2)
	v_cndmask_b32_e32 v30, v30, v6, vcc_lo
	;; [unrolled: 5-line block ×12, first 2 shown]
	v_cmp_eq_u32_e32 vcc_lo, 25, v29
	v_cndmask_b32_e32 v29, v30, v27, vcc_lo
	s_wait_dscnt 0x0
	s_delay_alu instid0(VALU_DEP_1)
	v_fmac_f32_e32 v28, v29, v31
	s_and_saveexec_b32 s8, s1
	s_cbranch_execz .LBB89_472
; %bb.467:
	v_add_nc_u32_e32 v29, 6, v0
	ds_load_b32 v31, v121 offset:24
	s_mov_b32 s1, exec_lo
	v_cmp_eq_u32_e32 vcc_lo, 1, v29
	v_cndmask_b32_e32 v30, v2, v3, vcc_lo
	v_cmp_eq_u32_e32 vcc_lo, 2, v29
	s_delay_alu instid0(VALU_DEP_2) | instskip(SKIP_1) | instid1(VALU_DEP_2)
	v_cndmask_b32_e32 v30, v30, v4, vcc_lo
	v_cmp_eq_u32_e32 vcc_lo, 3, v29
	v_cndmask_b32_e32 v30, v30, v5, vcc_lo
	v_cmp_eq_u32_e32 vcc_lo, 4, v29
	s_delay_alu instid0(VALU_DEP_2) | instskip(SKIP_1) | instid1(VALU_DEP_2)
	v_cndmask_b32_e32 v30, v30, v6, vcc_lo
	;; [unrolled: 5-line block ×12, first 2 shown]
	v_cmp_eq_u32_e32 vcc_lo, 25, v29
	v_cndmask_b32_e32 v29, v30, v27, vcc_lo
	s_wait_dscnt 0x0
	s_delay_alu instid0(VALU_DEP_1)
	v_fmac_f32_e32 v28, v29, v31
	v_cmpx_ne_u32_e32 2, v0
	s_cbranch_execz .LBB89_471
; %bb.468:
	v_add_nc_u32_e32 v29, 7, v0
	s_delay_alu instid0(VALU_DEP_1) | instskip(SKIP_2) | instid1(VALU_DEP_2)
	v_cmp_eq_u32_e32 vcc_lo, 1, v29
	v_cndmask_b32_e32 v30, v2, v3, vcc_lo
	v_cmp_eq_u32_e32 vcc_lo, 2, v29
	v_cndmask_b32_e32 v30, v30, v4, vcc_lo
	v_cmp_eq_u32_e32 vcc_lo, 3, v29
	s_delay_alu instid0(VALU_DEP_2) | instskip(SKIP_1) | instid1(VALU_DEP_2)
	v_cndmask_b32_e32 v30, v30, v5, vcc_lo
	v_cmp_eq_u32_e32 vcc_lo, 4, v29
	v_cndmask_b32_e32 v30, v30, v6, vcc_lo
	v_cmp_eq_u32_e32 vcc_lo, 5, v29
	s_delay_alu instid0(VALU_DEP_2) | instskip(SKIP_1) | instid1(VALU_DEP_2)
	;; [unrolled: 5-line block ×3, first 2 shown]
	v_cndmask_b32_e32 v30, v30, v9, vcc_lo
	v_cmp_eq_u32_e32 vcc_lo, 8, v29
	v_cndmask_b32_e32 v30, v30, v10, vcc_lo
	v_cmp_eq_u32_e32 vcc_lo, 9, v29
	s_delay_alu instid0(VALU_DEP_2) | instskip(SKIP_4) | instid1(VALU_DEP_2)
	v_cndmask_b32_e32 v11, v30, v11, vcc_lo
	v_cmp_eq_u32_e32 vcc_lo, 10, v29
	ds_load_b32 v30, v121 offset:28
	v_cndmask_b32_e32 v11, v11, v12, vcc_lo
	v_cmp_eq_u32_e32 vcc_lo, 11, v29
	v_cndmask_b32_e32 v11, v11, v13, vcc_lo
	v_cmp_eq_u32_e32 vcc_lo, 12, v29
	s_delay_alu instid0(VALU_DEP_2) | instskip(SKIP_1) | instid1(VALU_DEP_2)
	v_cndmask_b32_e32 v11, v11, v14, vcc_lo
	v_cmp_eq_u32_e32 vcc_lo, 13, v29
	v_cndmask_b32_e32 v11, v11, v15, vcc_lo
	v_cmp_eq_u32_e32 vcc_lo, 14, v29
	s_delay_alu instid0(VALU_DEP_2) | instskip(SKIP_1) | instid1(VALU_DEP_2)
	;; [unrolled: 5-line block ×7, first 2 shown]
	v_cndmask_b32_e32 v11, v11, v26, vcc_lo
	v_cmp_eq_u32_e32 vcc_lo, 25, v29
	v_cndmask_b32_e32 v11, v11, v27, vcc_lo
	s_wait_dscnt 0x0
	s_delay_alu instid0(VALU_DEP_1)
	v_fmac_f32_e32 v28, v11, v30
	s_and_saveexec_b32 s9, s0
	s_cbranch_execz .LBB89_470
; %bb.469:
	ds_load_b32 v11, v121 offset:32
	s_wait_dscnt 0x0
	v_fmac_f32_e32 v28, v10, v11
.LBB89_470:
	s_or_b32 exec_lo, exec_lo, s9
.LBB89_471:
	s_delay_alu instid0(SALU_CYCLE_1)
	s_or_b32 exec_lo, exec_lo, s1
.LBB89_472:
	s_delay_alu instid0(SALU_CYCLE_1)
	s_or_b32 exec_lo, exec_lo, s8
.LBB89_473:
	s_delay_alu instid0(SALU_CYCLE_1)
	s_or_b32 exec_lo, exec_lo, s2
.LBB89_474:
	s_delay_alu instid0(SALU_CYCLE_1)
	s_or_b32 exec_lo, exec_lo, s7
.LBB89_475:
	s_delay_alu instid0(SALU_CYCLE_1)
	s_or_b32 exec_lo, exec_lo, s3
.LBB89_476:
	s_delay_alu instid0(SALU_CYCLE_1)
	s_or_b32 exec_lo, exec_lo, s6
.LBB89_477:
	s_delay_alu instid0(SALU_CYCLE_1)
	s_or_b32 exec_lo, exec_lo, s5
	v_mov_b32_e32 v11, 0
	ds_load_b32 v11, v11 offset:36
	s_wait_dscnt 0x0
	v_mul_f32_e32 v11, v28, v11
.LBB89_478:
	s_or_b32 exec_lo, exec_lo, s4
	s_delay_alu instid0(SALU_CYCLE_1)
	s_mov_b32 s0, exec_lo
	ds_store_b32 v121, v12
	s_wait_dscnt 0x0
	s_barrier_signal -1
	s_barrier_wait -1
	v_cmpx_gt_u32_e32 10, v0
	s_cbranch_execz .LBB89_488
; %bb.479:
	v_cmp_ne_u32_e32 vcc_lo, 1, v34
	s_cbranch_vccnz .LBB89_481
; %bb.480:
	v_cmp_eq_u32_e32 vcc_lo, 1, v0
	ds_load_b32 v29, v121
	v_cndmask_b32_e32 v28, v2, v3, vcc_lo
	v_cmp_eq_u32_e32 vcc_lo, 2, v0
	s_delay_alu instid0(VALU_DEP_2) | instskip(SKIP_1) | instid1(VALU_DEP_2)
	v_cndmask_b32_e32 v28, v28, v4, vcc_lo
	v_cmp_eq_u32_e32 vcc_lo, 3, v0
	v_cndmask_b32_e32 v28, v28, v5, vcc_lo
	v_cmp_eq_u32_e32 vcc_lo, 4, v0
	s_delay_alu instid0(VALU_DEP_2) | instskip(SKIP_1) | instid1(VALU_DEP_2)
	v_cndmask_b32_e32 v28, v28, v6, vcc_lo
	v_cmp_eq_u32_e32 vcc_lo, 5, v0
	;; [unrolled: 5-line block ×12, first 2 shown]
	v_cndmask_b32_e32 v28, v28, v27, vcc_lo
	s_wait_dscnt 0x0
	s_delay_alu instid0(VALU_DEP_1)
	v_mul_f32_e32 v30, v28, v29
	s_cbranch_execz .LBB89_482
	s_branch .LBB89_483
.LBB89_481:
                                        ; implicit-def: $vgpr30
.LBB89_482:
	ds_load_b32 v30, v121
.LBB89_483:
	s_mov_b32 s1, exec_lo
	v_cmpx_ne_u32_e32 9, v0
	s_cbranch_execz .LBB89_487
; %bb.484:
	v_mov_b64_e32 v[28:29], v[0:1]
	v_lshl_add_u32 v31, v0, 2, 0x74
	s_mov_b32 s2, 0
.LBB89_485:                             ; =>This Inner Loop Header: Depth=1
	s_delay_alu instid0(VALU_DEP_2)
	v_add_nc_u64_e32 v[28:29], 1, v[28:29]
	ds_load_b32 v33, v31
	v_add_nc_u32_e32 v31, 4, v31
	v_cmp_eq_u32_e32 vcc_lo, 1, v28
	v_cndmask_b32_e32 v32, v2, v3, vcc_lo
	v_cmp_eq_u32_e32 vcc_lo, 2, v28
	s_delay_alu instid0(VALU_DEP_2) | instskip(SKIP_1) | instid1(VALU_DEP_2)
	v_cndmask_b32_e32 v32, v32, v4, vcc_lo
	v_cmp_eq_u32_e32 vcc_lo, 3, v28
	v_cndmask_b32_e32 v32, v32, v5, vcc_lo
	v_cmp_eq_u32_e32 vcc_lo, 4, v28
	s_delay_alu instid0(VALU_DEP_2) | instskip(SKIP_1) | instid1(VALU_DEP_2)
	v_cndmask_b32_e32 v32, v32, v6, vcc_lo
	;; [unrolled: 5-line block ×12, first 2 shown]
	v_cmp_eq_u32_e32 vcc_lo, 25, v28
	v_cndmask_b32_e32 v32, v32, v27, vcc_lo
	v_cmp_lt_u32_e32 vcc_lo, 8, v28
	s_wait_dscnt 0x0
	s_delay_alu instid0(VALU_DEP_2) | instskip(SKIP_1) | instid1(SALU_CYCLE_1)
	v_fmac_f32_e32 v30, v32, v33
	s_or_b32 s2, vcc_lo, s2
	s_and_not1_b32 exec_lo, exec_lo, s2
	s_cbranch_execnz .LBB89_485
; %bb.486:
	s_or_b32 exec_lo, exec_lo, s2
.LBB89_487:
	s_delay_alu instid0(SALU_CYCLE_1)
	s_or_b32 exec_lo, exec_lo, s1
	v_mov_b32_e32 v12, 0
	ds_load_b32 v12, v12 offset:40
	s_wait_dscnt 0x0
	v_mul_f32_e32 v12, v30, v12
.LBB89_488:
	s_or_b32 exec_lo, exec_lo, s0
	s_delay_alu instid0(SALU_CYCLE_1)
	s_mov_b32 s0, exec_lo
	ds_store_b32 v121, v13
	s_wait_dscnt 0x0
	s_barrier_signal -1
	s_barrier_wait -1
	v_cmpx_gt_u32_e32 11, v0
	s_cbranch_execz .LBB89_498
; %bb.489:
	v_cmp_ne_u32_e32 vcc_lo, 1, v34
	s_cbranch_vccnz .LBB89_491
; %bb.490:
	v_cmp_eq_u32_e32 vcc_lo, 1, v0
	ds_load_b32 v29, v121
	v_cndmask_b32_e32 v28, v2, v3, vcc_lo
	v_cmp_eq_u32_e32 vcc_lo, 2, v0
	s_delay_alu instid0(VALU_DEP_2) | instskip(SKIP_1) | instid1(VALU_DEP_2)
	v_cndmask_b32_e32 v28, v28, v4, vcc_lo
	v_cmp_eq_u32_e32 vcc_lo, 3, v0
	v_cndmask_b32_e32 v28, v28, v5, vcc_lo
	v_cmp_eq_u32_e32 vcc_lo, 4, v0
	s_delay_alu instid0(VALU_DEP_2) | instskip(SKIP_1) | instid1(VALU_DEP_2)
	v_cndmask_b32_e32 v28, v28, v6, vcc_lo
	v_cmp_eq_u32_e32 vcc_lo, 5, v0
	;; [unrolled: 5-line block ×12, first 2 shown]
	v_cndmask_b32_e32 v28, v28, v27, vcc_lo
	s_wait_dscnt 0x0
	s_delay_alu instid0(VALU_DEP_1)
	v_mul_f32_e32 v30, v28, v29
	s_cbranch_execz .LBB89_492
	s_branch .LBB89_493
.LBB89_491:
                                        ; implicit-def: $vgpr30
.LBB89_492:
	ds_load_b32 v30, v121
.LBB89_493:
	s_mov_b32 s1, exec_lo
	v_cmpx_ne_u32_e32 10, v0
	s_cbranch_execz .LBB89_497
; %bb.494:
	v_mov_b64_e32 v[28:29], v[0:1]
	v_lshl_add_u32 v31, v0, 2, 0x74
	s_mov_b32 s2, 0
.LBB89_495:                             ; =>This Inner Loop Header: Depth=1
	s_delay_alu instid0(VALU_DEP_2)
	v_add_nc_u64_e32 v[28:29], 1, v[28:29]
	ds_load_b32 v33, v31
	v_add_nc_u32_e32 v31, 4, v31
	v_cmp_eq_u32_e32 vcc_lo, 1, v28
	v_cndmask_b32_e32 v32, v2, v3, vcc_lo
	v_cmp_eq_u32_e32 vcc_lo, 2, v28
	s_delay_alu instid0(VALU_DEP_2) | instskip(SKIP_1) | instid1(VALU_DEP_2)
	v_cndmask_b32_e32 v32, v32, v4, vcc_lo
	v_cmp_eq_u32_e32 vcc_lo, 3, v28
	v_cndmask_b32_e32 v32, v32, v5, vcc_lo
	v_cmp_eq_u32_e32 vcc_lo, 4, v28
	s_delay_alu instid0(VALU_DEP_2) | instskip(SKIP_1) | instid1(VALU_DEP_2)
	v_cndmask_b32_e32 v32, v32, v6, vcc_lo
	;; [unrolled: 5-line block ×12, first 2 shown]
	v_cmp_eq_u32_e32 vcc_lo, 25, v28
	v_cndmask_b32_e32 v32, v32, v27, vcc_lo
	v_cmp_lt_u32_e32 vcc_lo, 9, v28
	s_wait_dscnt 0x0
	s_delay_alu instid0(VALU_DEP_2) | instskip(SKIP_1) | instid1(SALU_CYCLE_1)
	v_fmac_f32_e32 v30, v32, v33
	s_or_b32 s2, vcc_lo, s2
	s_and_not1_b32 exec_lo, exec_lo, s2
	s_cbranch_execnz .LBB89_495
; %bb.496:
	s_or_b32 exec_lo, exec_lo, s2
.LBB89_497:
	s_delay_alu instid0(SALU_CYCLE_1)
	s_or_b32 exec_lo, exec_lo, s1
	v_mov_b32_e32 v13, 0
	ds_load_b32 v13, v13 offset:44
	s_wait_dscnt 0x0
	v_mul_f32_e32 v13, v30, v13
.LBB89_498:
	s_or_b32 exec_lo, exec_lo, s0
	s_delay_alu instid0(SALU_CYCLE_1)
	s_mov_b32 s0, exec_lo
	ds_store_b32 v121, v14
	s_wait_dscnt 0x0
	s_barrier_signal -1
	s_barrier_wait -1
	v_cmpx_gt_u32_e32 12, v0
	s_cbranch_execz .LBB89_508
; %bb.499:
	v_cmp_ne_u32_e32 vcc_lo, 1, v34
	s_cbranch_vccnz .LBB89_501
; %bb.500:
	v_cmp_eq_u32_e32 vcc_lo, 1, v0
	ds_load_b32 v29, v121
	v_cndmask_b32_e32 v28, v2, v3, vcc_lo
	v_cmp_eq_u32_e32 vcc_lo, 2, v0
	s_delay_alu instid0(VALU_DEP_2) | instskip(SKIP_1) | instid1(VALU_DEP_2)
	v_cndmask_b32_e32 v28, v28, v4, vcc_lo
	v_cmp_eq_u32_e32 vcc_lo, 3, v0
	v_cndmask_b32_e32 v28, v28, v5, vcc_lo
	v_cmp_eq_u32_e32 vcc_lo, 4, v0
	s_delay_alu instid0(VALU_DEP_2) | instskip(SKIP_1) | instid1(VALU_DEP_2)
	v_cndmask_b32_e32 v28, v28, v6, vcc_lo
	v_cmp_eq_u32_e32 vcc_lo, 5, v0
	;; [unrolled: 5-line block ×12, first 2 shown]
	v_cndmask_b32_e32 v28, v28, v27, vcc_lo
	s_wait_dscnt 0x0
	s_delay_alu instid0(VALU_DEP_1)
	v_mul_f32_e32 v30, v28, v29
	s_cbranch_execz .LBB89_502
	s_branch .LBB89_503
.LBB89_501:
                                        ; implicit-def: $vgpr30
.LBB89_502:
	ds_load_b32 v30, v121
.LBB89_503:
	s_mov_b32 s1, exec_lo
	v_cmpx_ne_u32_e32 11, v0
	s_cbranch_execz .LBB89_507
; %bb.504:
	v_mov_b64_e32 v[28:29], v[0:1]
	v_lshl_add_u32 v31, v0, 2, 0x74
	s_mov_b32 s2, 0
.LBB89_505:                             ; =>This Inner Loop Header: Depth=1
	s_delay_alu instid0(VALU_DEP_2)
	v_add_nc_u64_e32 v[28:29], 1, v[28:29]
	ds_load_b32 v33, v31
	v_add_nc_u32_e32 v31, 4, v31
	v_cmp_eq_u32_e32 vcc_lo, 1, v28
	v_cndmask_b32_e32 v32, v2, v3, vcc_lo
	v_cmp_eq_u32_e32 vcc_lo, 2, v28
	s_delay_alu instid0(VALU_DEP_2) | instskip(SKIP_1) | instid1(VALU_DEP_2)
	v_cndmask_b32_e32 v32, v32, v4, vcc_lo
	v_cmp_eq_u32_e32 vcc_lo, 3, v28
	v_cndmask_b32_e32 v32, v32, v5, vcc_lo
	v_cmp_eq_u32_e32 vcc_lo, 4, v28
	s_delay_alu instid0(VALU_DEP_2) | instskip(SKIP_1) | instid1(VALU_DEP_2)
	v_cndmask_b32_e32 v32, v32, v6, vcc_lo
	;; [unrolled: 5-line block ×12, first 2 shown]
	v_cmp_eq_u32_e32 vcc_lo, 25, v28
	v_cndmask_b32_e32 v32, v32, v27, vcc_lo
	v_cmp_lt_u32_e32 vcc_lo, 10, v28
	s_wait_dscnt 0x0
	s_delay_alu instid0(VALU_DEP_2) | instskip(SKIP_1) | instid1(SALU_CYCLE_1)
	v_fmac_f32_e32 v30, v32, v33
	s_or_b32 s2, vcc_lo, s2
	s_and_not1_b32 exec_lo, exec_lo, s2
	s_cbranch_execnz .LBB89_505
; %bb.506:
	s_or_b32 exec_lo, exec_lo, s2
.LBB89_507:
	s_delay_alu instid0(SALU_CYCLE_1)
	s_or_b32 exec_lo, exec_lo, s1
	v_mov_b32_e32 v14, 0
	ds_load_b32 v14, v14 offset:48
	s_wait_dscnt 0x0
	v_mul_f32_e32 v14, v30, v14
.LBB89_508:
	s_or_b32 exec_lo, exec_lo, s0
	s_delay_alu instid0(SALU_CYCLE_1)
	s_mov_b32 s0, exec_lo
	ds_store_b32 v121, v15
	s_wait_dscnt 0x0
	s_barrier_signal -1
	s_barrier_wait -1
	v_cmpx_gt_u32_e32 13, v0
	s_cbranch_execz .LBB89_518
; %bb.509:
	v_cmp_ne_u32_e32 vcc_lo, 1, v34
	s_cbranch_vccnz .LBB89_511
; %bb.510:
	v_cmp_eq_u32_e32 vcc_lo, 1, v0
	ds_load_b32 v29, v121
	v_cndmask_b32_e32 v28, v2, v3, vcc_lo
	v_cmp_eq_u32_e32 vcc_lo, 2, v0
	s_delay_alu instid0(VALU_DEP_2) | instskip(SKIP_1) | instid1(VALU_DEP_2)
	v_cndmask_b32_e32 v28, v28, v4, vcc_lo
	v_cmp_eq_u32_e32 vcc_lo, 3, v0
	v_cndmask_b32_e32 v28, v28, v5, vcc_lo
	v_cmp_eq_u32_e32 vcc_lo, 4, v0
	s_delay_alu instid0(VALU_DEP_2) | instskip(SKIP_1) | instid1(VALU_DEP_2)
	v_cndmask_b32_e32 v28, v28, v6, vcc_lo
	v_cmp_eq_u32_e32 vcc_lo, 5, v0
	;; [unrolled: 5-line block ×12, first 2 shown]
	v_cndmask_b32_e32 v28, v28, v27, vcc_lo
	s_wait_dscnt 0x0
	s_delay_alu instid0(VALU_DEP_1)
	v_mul_f32_e32 v30, v28, v29
	s_cbranch_execz .LBB89_512
	s_branch .LBB89_513
.LBB89_511:
                                        ; implicit-def: $vgpr30
.LBB89_512:
	ds_load_b32 v30, v121
.LBB89_513:
	s_mov_b32 s1, exec_lo
	v_cmpx_ne_u32_e32 12, v0
	s_cbranch_execz .LBB89_517
; %bb.514:
	v_mov_b64_e32 v[28:29], v[0:1]
	v_lshl_add_u32 v31, v0, 2, 0x74
	s_mov_b32 s2, 0
.LBB89_515:                             ; =>This Inner Loop Header: Depth=1
	s_delay_alu instid0(VALU_DEP_2)
	v_add_nc_u64_e32 v[28:29], 1, v[28:29]
	ds_load_b32 v33, v31
	v_add_nc_u32_e32 v31, 4, v31
	v_cmp_eq_u32_e32 vcc_lo, 1, v28
	v_cndmask_b32_e32 v32, v2, v3, vcc_lo
	v_cmp_eq_u32_e32 vcc_lo, 2, v28
	s_delay_alu instid0(VALU_DEP_2) | instskip(SKIP_1) | instid1(VALU_DEP_2)
	v_cndmask_b32_e32 v32, v32, v4, vcc_lo
	v_cmp_eq_u32_e32 vcc_lo, 3, v28
	v_cndmask_b32_e32 v32, v32, v5, vcc_lo
	v_cmp_eq_u32_e32 vcc_lo, 4, v28
	s_delay_alu instid0(VALU_DEP_2) | instskip(SKIP_1) | instid1(VALU_DEP_2)
	v_cndmask_b32_e32 v32, v32, v6, vcc_lo
	;; [unrolled: 5-line block ×12, first 2 shown]
	v_cmp_eq_u32_e32 vcc_lo, 25, v28
	v_cndmask_b32_e32 v32, v32, v27, vcc_lo
	v_cmp_lt_u32_e32 vcc_lo, 11, v28
	s_wait_dscnt 0x0
	s_delay_alu instid0(VALU_DEP_2) | instskip(SKIP_1) | instid1(SALU_CYCLE_1)
	v_fmac_f32_e32 v30, v32, v33
	s_or_b32 s2, vcc_lo, s2
	s_and_not1_b32 exec_lo, exec_lo, s2
	s_cbranch_execnz .LBB89_515
; %bb.516:
	s_or_b32 exec_lo, exec_lo, s2
.LBB89_517:
	s_delay_alu instid0(SALU_CYCLE_1)
	s_or_b32 exec_lo, exec_lo, s1
	v_mov_b32_e32 v15, 0
	ds_load_b32 v15, v15 offset:52
	s_wait_dscnt 0x0
	v_mul_f32_e32 v15, v30, v15
.LBB89_518:
	s_or_b32 exec_lo, exec_lo, s0
	s_delay_alu instid0(SALU_CYCLE_1)
	s_mov_b32 s0, exec_lo
	ds_store_b32 v121, v16
	s_wait_dscnt 0x0
	s_barrier_signal -1
	s_barrier_wait -1
	v_cmpx_gt_u32_e32 14, v0
	s_cbranch_execz .LBB89_528
; %bb.519:
	v_cmp_ne_u32_e32 vcc_lo, 1, v34
	s_cbranch_vccnz .LBB89_521
; %bb.520:
	v_cmp_eq_u32_e32 vcc_lo, 1, v0
	ds_load_b32 v29, v121
	v_cndmask_b32_e32 v28, v2, v3, vcc_lo
	v_cmp_eq_u32_e32 vcc_lo, 2, v0
	s_delay_alu instid0(VALU_DEP_2) | instskip(SKIP_1) | instid1(VALU_DEP_2)
	v_cndmask_b32_e32 v28, v28, v4, vcc_lo
	v_cmp_eq_u32_e32 vcc_lo, 3, v0
	v_cndmask_b32_e32 v28, v28, v5, vcc_lo
	v_cmp_eq_u32_e32 vcc_lo, 4, v0
	s_delay_alu instid0(VALU_DEP_2) | instskip(SKIP_1) | instid1(VALU_DEP_2)
	v_cndmask_b32_e32 v28, v28, v6, vcc_lo
	v_cmp_eq_u32_e32 vcc_lo, 5, v0
	;; [unrolled: 5-line block ×12, first 2 shown]
	v_cndmask_b32_e32 v28, v28, v27, vcc_lo
	s_wait_dscnt 0x0
	s_delay_alu instid0(VALU_DEP_1)
	v_mul_f32_e32 v30, v28, v29
	s_cbranch_execz .LBB89_522
	s_branch .LBB89_523
.LBB89_521:
                                        ; implicit-def: $vgpr30
.LBB89_522:
	ds_load_b32 v30, v121
.LBB89_523:
	s_mov_b32 s1, exec_lo
	v_cmpx_ne_u32_e32 13, v0
	s_cbranch_execz .LBB89_527
; %bb.524:
	v_mov_b64_e32 v[28:29], v[0:1]
	v_lshl_add_u32 v31, v0, 2, 0x74
	s_mov_b32 s2, 0
.LBB89_525:                             ; =>This Inner Loop Header: Depth=1
	s_delay_alu instid0(VALU_DEP_2)
	v_add_nc_u64_e32 v[28:29], 1, v[28:29]
	ds_load_b32 v33, v31
	v_add_nc_u32_e32 v31, 4, v31
	v_cmp_eq_u32_e32 vcc_lo, 1, v28
	v_cndmask_b32_e32 v32, v2, v3, vcc_lo
	v_cmp_eq_u32_e32 vcc_lo, 2, v28
	s_delay_alu instid0(VALU_DEP_2) | instskip(SKIP_1) | instid1(VALU_DEP_2)
	v_cndmask_b32_e32 v32, v32, v4, vcc_lo
	v_cmp_eq_u32_e32 vcc_lo, 3, v28
	v_cndmask_b32_e32 v32, v32, v5, vcc_lo
	v_cmp_eq_u32_e32 vcc_lo, 4, v28
	s_delay_alu instid0(VALU_DEP_2) | instskip(SKIP_1) | instid1(VALU_DEP_2)
	v_cndmask_b32_e32 v32, v32, v6, vcc_lo
	;; [unrolled: 5-line block ×12, first 2 shown]
	v_cmp_eq_u32_e32 vcc_lo, 25, v28
	v_cndmask_b32_e32 v32, v32, v27, vcc_lo
	v_cmp_lt_u32_e32 vcc_lo, 12, v28
	s_wait_dscnt 0x0
	s_delay_alu instid0(VALU_DEP_2) | instskip(SKIP_1) | instid1(SALU_CYCLE_1)
	v_fmac_f32_e32 v30, v32, v33
	s_or_b32 s2, vcc_lo, s2
	s_and_not1_b32 exec_lo, exec_lo, s2
	s_cbranch_execnz .LBB89_525
; %bb.526:
	s_or_b32 exec_lo, exec_lo, s2
.LBB89_527:
	s_delay_alu instid0(SALU_CYCLE_1)
	s_or_b32 exec_lo, exec_lo, s1
	v_mov_b32_e32 v16, 0
	ds_load_b32 v16, v16 offset:56
	s_wait_dscnt 0x0
	v_mul_f32_e32 v16, v30, v16
.LBB89_528:
	s_or_b32 exec_lo, exec_lo, s0
	s_delay_alu instid0(SALU_CYCLE_1)
	s_mov_b32 s0, exec_lo
	ds_store_b32 v121, v17
	s_wait_dscnt 0x0
	s_barrier_signal -1
	s_barrier_wait -1
	v_cmpx_gt_u32_e32 15, v0
	s_cbranch_execz .LBB89_538
; %bb.529:
	v_cmp_ne_u32_e32 vcc_lo, 1, v34
	s_cbranch_vccnz .LBB89_531
; %bb.530:
	v_cmp_eq_u32_e32 vcc_lo, 1, v0
	ds_load_b32 v29, v121
	v_cndmask_b32_e32 v28, v2, v3, vcc_lo
	v_cmp_eq_u32_e32 vcc_lo, 2, v0
	s_delay_alu instid0(VALU_DEP_2) | instskip(SKIP_1) | instid1(VALU_DEP_2)
	v_cndmask_b32_e32 v28, v28, v4, vcc_lo
	v_cmp_eq_u32_e32 vcc_lo, 3, v0
	v_cndmask_b32_e32 v28, v28, v5, vcc_lo
	v_cmp_eq_u32_e32 vcc_lo, 4, v0
	s_delay_alu instid0(VALU_DEP_2) | instskip(SKIP_1) | instid1(VALU_DEP_2)
	v_cndmask_b32_e32 v28, v28, v6, vcc_lo
	v_cmp_eq_u32_e32 vcc_lo, 5, v0
	;; [unrolled: 5-line block ×12, first 2 shown]
	v_cndmask_b32_e32 v28, v28, v27, vcc_lo
	s_wait_dscnt 0x0
	s_delay_alu instid0(VALU_DEP_1)
	v_mul_f32_e32 v30, v28, v29
	s_cbranch_execz .LBB89_532
	s_branch .LBB89_533
.LBB89_531:
                                        ; implicit-def: $vgpr30
.LBB89_532:
	ds_load_b32 v30, v121
.LBB89_533:
	s_mov_b32 s1, exec_lo
	v_cmpx_ne_u32_e32 14, v0
	s_cbranch_execz .LBB89_537
; %bb.534:
	v_mov_b64_e32 v[28:29], v[0:1]
	v_lshl_add_u32 v31, v0, 2, 0x74
	s_mov_b32 s2, 0
.LBB89_535:                             ; =>This Inner Loop Header: Depth=1
	s_delay_alu instid0(VALU_DEP_2)
	v_add_nc_u64_e32 v[28:29], 1, v[28:29]
	ds_load_b32 v33, v31
	v_add_nc_u32_e32 v31, 4, v31
	v_cmp_eq_u32_e32 vcc_lo, 1, v28
	v_cndmask_b32_e32 v32, v2, v3, vcc_lo
	v_cmp_eq_u32_e32 vcc_lo, 2, v28
	s_delay_alu instid0(VALU_DEP_2) | instskip(SKIP_1) | instid1(VALU_DEP_2)
	v_cndmask_b32_e32 v32, v32, v4, vcc_lo
	v_cmp_eq_u32_e32 vcc_lo, 3, v28
	v_cndmask_b32_e32 v32, v32, v5, vcc_lo
	v_cmp_eq_u32_e32 vcc_lo, 4, v28
	s_delay_alu instid0(VALU_DEP_2) | instskip(SKIP_1) | instid1(VALU_DEP_2)
	v_cndmask_b32_e32 v32, v32, v6, vcc_lo
	v_cmp_eq_u32_e32 vcc_lo, 5, v28
	v_cndmask_b32_e32 v32, v32, v7, vcc_lo
	v_cmp_eq_u32_e32 vcc_lo, 6, v28
	s_delay_alu instid0(VALU_DEP_2) | instskip(SKIP_1) | instid1(VALU_DEP_2)
	v_cndmask_b32_e32 v32, v32, v8, vcc_lo
	v_cmp_eq_u32_e32 vcc_lo, 7, v28
	v_cndmask_b32_e32 v32, v32, v9, vcc_lo
	v_cmp_eq_u32_e32 vcc_lo, 8, v28
	s_delay_alu instid0(VALU_DEP_2) | instskip(SKIP_1) | instid1(VALU_DEP_2)
	v_cndmask_b32_e32 v32, v32, v10, vcc_lo
	v_cmp_eq_u32_e32 vcc_lo, 9, v28
	v_cndmask_b32_e32 v32, v32, v11, vcc_lo
	v_cmp_eq_u32_e32 vcc_lo, 10, v28
	s_delay_alu instid0(VALU_DEP_2) | instskip(SKIP_1) | instid1(VALU_DEP_2)
	v_cndmask_b32_e32 v32, v32, v12, vcc_lo
	v_cmp_eq_u32_e32 vcc_lo, 11, v28
	v_cndmask_b32_e32 v32, v32, v13, vcc_lo
	v_cmp_eq_u32_e32 vcc_lo, 12, v28
	s_delay_alu instid0(VALU_DEP_2) | instskip(SKIP_1) | instid1(VALU_DEP_2)
	v_cndmask_b32_e32 v32, v32, v14, vcc_lo
	v_cmp_eq_u32_e32 vcc_lo, 13, v28
	v_cndmask_b32_e32 v32, v32, v15, vcc_lo
	v_cmp_eq_u32_e32 vcc_lo, 14, v28
	s_delay_alu instid0(VALU_DEP_2) | instskip(SKIP_1) | instid1(VALU_DEP_2)
	v_cndmask_b32_e32 v32, v32, v16, vcc_lo
	v_cmp_eq_u32_e32 vcc_lo, 15, v28
	v_cndmask_b32_e32 v32, v32, v17, vcc_lo
	v_cmp_eq_u32_e32 vcc_lo, 16, v28
	s_delay_alu instid0(VALU_DEP_2) | instskip(SKIP_1) | instid1(VALU_DEP_2)
	v_cndmask_b32_e32 v32, v32, v18, vcc_lo
	v_cmp_eq_u32_e32 vcc_lo, 17, v28
	v_cndmask_b32_e32 v32, v32, v19, vcc_lo
	v_cmp_eq_u32_e32 vcc_lo, 18, v28
	s_delay_alu instid0(VALU_DEP_2) | instskip(SKIP_1) | instid1(VALU_DEP_2)
	v_cndmask_b32_e32 v32, v32, v20, vcc_lo
	v_cmp_eq_u32_e32 vcc_lo, 19, v28
	v_cndmask_b32_e32 v32, v32, v21, vcc_lo
	v_cmp_eq_u32_e32 vcc_lo, 20, v28
	s_delay_alu instid0(VALU_DEP_2) | instskip(SKIP_1) | instid1(VALU_DEP_2)
	v_cndmask_b32_e32 v32, v32, v22, vcc_lo
	v_cmp_eq_u32_e32 vcc_lo, 21, v28
	v_cndmask_b32_e32 v32, v32, v23, vcc_lo
	v_cmp_eq_u32_e32 vcc_lo, 22, v28
	s_delay_alu instid0(VALU_DEP_2) | instskip(SKIP_1) | instid1(VALU_DEP_2)
	v_cndmask_b32_e32 v32, v32, v24, vcc_lo
	v_cmp_eq_u32_e32 vcc_lo, 23, v28
	v_cndmask_b32_e32 v32, v32, v25, vcc_lo
	v_cmp_eq_u32_e32 vcc_lo, 24, v28
	s_delay_alu instid0(VALU_DEP_2) | instskip(SKIP_1) | instid1(VALU_DEP_2)
	v_cndmask_b32_e32 v32, v32, v26, vcc_lo
	v_cmp_eq_u32_e32 vcc_lo, 25, v28
	v_cndmask_b32_e32 v32, v32, v27, vcc_lo
	v_cmp_lt_u32_e32 vcc_lo, 13, v28
	s_wait_dscnt 0x0
	s_delay_alu instid0(VALU_DEP_2) | instskip(SKIP_1) | instid1(SALU_CYCLE_1)
	v_fmac_f32_e32 v30, v32, v33
	s_or_b32 s2, vcc_lo, s2
	s_and_not1_b32 exec_lo, exec_lo, s2
	s_cbranch_execnz .LBB89_535
; %bb.536:
	s_or_b32 exec_lo, exec_lo, s2
.LBB89_537:
	s_delay_alu instid0(SALU_CYCLE_1)
	s_or_b32 exec_lo, exec_lo, s1
	v_mov_b32_e32 v17, 0
	ds_load_b32 v17, v17 offset:60
	s_wait_dscnt 0x0
	v_mul_f32_e32 v17, v30, v17
.LBB89_538:
	s_or_b32 exec_lo, exec_lo, s0
	s_delay_alu instid0(SALU_CYCLE_1)
	s_mov_b32 s0, exec_lo
	ds_store_b32 v121, v18
	s_wait_dscnt 0x0
	s_barrier_signal -1
	s_barrier_wait -1
	v_cmpx_gt_u32_e32 16, v0
	s_cbranch_execz .LBB89_548
; %bb.539:
	v_cmp_ne_u32_e32 vcc_lo, 1, v34
	s_cbranch_vccnz .LBB89_541
; %bb.540:
	v_cmp_eq_u32_e32 vcc_lo, 1, v0
	ds_load_b32 v29, v121
	v_cndmask_b32_e32 v28, v2, v3, vcc_lo
	v_cmp_eq_u32_e32 vcc_lo, 2, v0
	s_delay_alu instid0(VALU_DEP_2) | instskip(SKIP_1) | instid1(VALU_DEP_2)
	v_cndmask_b32_e32 v28, v28, v4, vcc_lo
	v_cmp_eq_u32_e32 vcc_lo, 3, v0
	v_cndmask_b32_e32 v28, v28, v5, vcc_lo
	v_cmp_eq_u32_e32 vcc_lo, 4, v0
	s_delay_alu instid0(VALU_DEP_2) | instskip(SKIP_1) | instid1(VALU_DEP_2)
	v_cndmask_b32_e32 v28, v28, v6, vcc_lo
	v_cmp_eq_u32_e32 vcc_lo, 5, v0
	;; [unrolled: 5-line block ×12, first 2 shown]
	v_cndmask_b32_e32 v28, v28, v27, vcc_lo
	s_wait_dscnt 0x0
	s_delay_alu instid0(VALU_DEP_1)
	v_mul_f32_e32 v30, v28, v29
	s_cbranch_execz .LBB89_542
	s_branch .LBB89_543
.LBB89_541:
                                        ; implicit-def: $vgpr30
.LBB89_542:
	ds_load_b32 v30, v121
.LBB89_543:
	s_mov_b32 s1, exec_lo
	v_cmpx_ne_u32_e32 15, v0
	s_cbranch_execz .LBB89_547
; %bb.544:
	v_mov_b64_e32 v[28:29], v[0:1]
	v_lshl_add_u32 v31, v0, 2, 0x74
	s_mov_b32 s2, 0
.LBB89_545:                             ; =>This Inner Loop Header: Depth=1
	s_delay_alu instid0(VALU_DEP_2)
	v_add_nc_u64_e32 v[28:29], 1, v[28:29]
	ds_load_b32 v33, v31
	v_add_nc_u32_e32 v31, 4, v31
	v_cmp_eq_u32_e32 vcc_lo, 1, v28
	v_cndmask_b32_e32 v32, v2, v3, vcc_lo
	v_cmp_eq_u32_e32 vcc_lo, 2, v28
	s_delay_alu instid0(VALU_DEP_2) | instskip(SKIP_1) | instid1(VALU_DEP_2)
	v_cndmask_b32_e32 v32, v32, v4, vcc_lo
	v_cmp_eq_u32_e32 vcc_lo, 3, v28
	v_cndmask_b32_e32 v32, v32, v5, vcc_lo
	v_cmp_eq_u32_e32 vcc_lo, 4, v28
	s_delay_alu instid0(VALU_DEP_2) | instskip(SKIP_1) | instid1(VALU_DEP_2)
	v_cndmask_b32_e32 v32, v32, v6, vcc_lo
	;; [unrolled: 5-line block ×12, first 2 shown]
	v_cmp_eq_u32_e32 vcc_lo, 25, v28
	v_cndmask_b32_e32 v32, v32, v27, vcc_lo
	v_cmp_lt_u32_e32 vcc_lo, 14, v28
	s_wait_dscnt 0x0
	s_delay_alu instid0(VALU_DEP_2) | instskip(SKIP_1) | instid1(SALU_CYCLE_1)
	v_fmac_f32_e32 v30, v32, v33
	s_or_b32 s2, vcc_lo, s2
	s_and_not1_b32 exec_lo, exec_lo, s2
	s_cbranch_execnz .LBB89_545
; %bb.546:
	s_or_b32 exec_lo, exec_lo, s2
.LBB89_547:
	s_delay_alu instid0(SALU_CYCLE_1)
	s_or_b32 exec_lo, exec_lo, s1
	v_mov_b32_e32 v18, 0
	ds_load_b32 v18, v18 offset:64
	s_wait_dscnt 0x0
	v_mul_f32_e32 v18, v30, v18
.LBB89_548:
	s_or_b32 exec_lo, exec_lo, s0
	s_delay_alu instid0(SALU_CYCLE_1)
	s_mov_b32 s0, exec_lo
	ds_store_b32 v121, v19
	s_wait_dscnt 0x0
	s_barrier_signal -1
	s_barrier_wait -1
	v_cmpx_gt_u32_e32 17, v0
	s_cbranch_execz .LBB89_558
; %bb.549:
	v_cmp_ne_u32_e32 vcc_lo, 1, v34
	s_cbranch_vccnz .LBB89_551
; %bb.550:
	v_cmp_eq_u32_e32 vcc_lo, 1, v0
	ds_load_b32 v29, v121
	v_cndmask_b32_e32 v28, v2, v3, vcc_lo
	v_cmp_eq_u32_e32 vcc_lo, 2, v0
	s_delay_alu instid0(VALU_DEP_2) | instskip(SKIP_1) | instid1(VALU_DEP_2)
	v_cndmask_b32_e32 v28, v28, v4, vcc_lo
	v_cmp_eq_u32_e32 vcc_lo, 3, v0
	v_cndmask_b32_e32 v28, v28, v5, vcc_lo
	v_cmp_eq_u32_e32 vcc_lo, 4, v0
	s_delay_alu instid0(VALU_DEP_2) | instskip(SKIP_1) | instid1(VALU_DEP_2)
	v_cndmask_b32_e32 v28, v28, v6, vcc_lo
	v_cmp_eq_u32_e32 vcc_lo, 5, v0
	;; [unrolled: 5-line block ×12, first 2 shown]
	v_cndmask_b32_e32 v28, v28, v27, vcc_lo
	s_wait_dscnt 0x0
	s_delay_alu instid0(VALU_DEP_1)
	v_mul_f32_e32 v30, v28, v29
	s_cbranch_execz .LBB89_552
	s_branch .LBB89_553
.LBB89_551:
                                        ; implicit-def: $vgpr30
.LBB89_552:
	ds_load_b32 v30, v121
.LBB89_553:
	s_mov_b32 s1, exec_lo
	v_cmpx_ne_u32_e32 16, v0
	s_cbranch_execz .LBB89_557
; %bb.554:
	v_mov_b64_e32 v[28:29], v[0:1]
	v_lshl_add_u32 v31, v0, 2, 0x74
	s_mov_b32 s2, 0
.LBB89_555:                             ; =>This Inner Loop Header: Depth=1
	s_delay_alu instid0(VALU_DEP_2)
	v_add_nc_u64_e32 v[28:29], 1, v[28:29]
	ds_load_b32 v33, v31
	v_add_nc_u32_e32 v31, 4, v31
	v_cmp_eq_u32_e32 vcc_lo, 1, v28
	v_cndmask_b32_e32 v32, v2, v3, vcc_lo
	v_cmp_eq_u32_e32 vcc_lo, 2, v28
	s_delay_alu instid0(VALU_DEP_2) | instskip(SKIP_1) | instid1(VALU_DEP_2)
	v_cndmask_b32_e32 v32, v32, v4, vcc_lo
	v_cmp_eq_u32_e32 vcc_lo, 3, v28
	v_cndmask_b32_e32 v32, v32, v5, vcc_lo
	v_cmp_eq_u32_e32 vcc_lo, 4, v28
	s_delay_alu instid0(VALU_DEP_2) | instskip(SKIP_1) | instid1(VALU_DEP_2)
	v_cndmask_b32_e32 v32, v32, v6, vcc_lo
	;; [unrolled: 5-line block ×12, first 2 shown]
	v_cmp_eq_u32_e32 vcc_lo, 25, v28
	v_cndmask_b32_e32 v32, v32, v27, vcc_lo
	v_cmp_lt_u32_e32 vcc_lo, 15, v28
	s_wait_dscnt 0x0
	s_delay_alu instid0(VALU_DEP_2) | instskip(SKIP_1) | instid1(SALU_CYCLE_1)
	v_fmac_f32_e32 v30, v32, v33
	s_or_b32 s2, vcc_lo, s2
	s_and_not1_b32 exec_lo, exec_lo, s2
	s_cbranch_execnz .LBB89_555
; %bb.556:
	s_or_b32 exec_lo, exec_lo, s2
.LBB89_557:
	s_delay_alu instid0(SALU_CYCLE_1)
	s_or_b32 exec_lo, exec_lo, s1
	v_mov_b32_e32 v19, 0
	ds_load_b32 v19, v19 offset:68
	s_wait_dscnt 0x0
	v_mul_f32_e32 v19, v30, v19
.LBB89_558:
	s_or_b32 exec_lo, exec_lo, s0
	s_delay_alu instid0(SALU_CYCLE_1)
	s_mov_b32 s0, exec_lo
	ds_store_b32 v121, v20
	s_wait_dscnt 0x0
	s_barrier_signal -1
	s_barrier_wait -1
	v_cmpx_gt_u32_e32 18, v0
	s_cbranch_execz .LBB89_568
; %bb.559:
	v_cmp_ne_u32_e32 vcc_lo, 1, v34
	s_cbranch_vccnz .LBB89_561
; %bb.560:
	v_cmp_eq_u32_e32 vcc_lo, 1, v0
	ds_load_b32 v29, v121
	v_cndmask_b32_e32 v28, v2, v3, vcc_lo
	v_cmp_eq_u32_e32 vcc_lo, 2, v0
	s_delay_alu instid0(VALU_DEP_2) | instskip(SKIP_1) | instid1(VALU_DEP_2)
	v_cndmask_b32_e32 v28, v28, v4, vcc_lo
	v_cmp_eq_u32_e32 vcc_lo, 3, v0
	v_cndmask_b32_e32 v28, v28, v5, vcc_lo
	v_cmp_eq_u32_e32 vcc_lo, 4, v0
	s_delay_alu instid0(VALU_DEP_2) | instskip(SKIP_1) | instid1(VALU_DEP_2)
	v_cndmask_b32_e32 v28, v28, v6, vcc_lo
	v_cmp_eq_u32_e32 vcc_lo, 5, v0
	;; [unrolled: 5-line block ×12, first 2 shown]
	v_cndmask_b32_e32 v28, v28, v27, vcc_lo
	s_wait_dscnt 0x0
	s_delay_alu instid0(VALU_DEP_1)
	v_mul_f32_e32 v30, v28, v29
	s_cbranch_execz .LBB89_562
	s_branch .LBB89_563
.LBB89_561:
                                        ; implicit-def: $vgpr30
.LBB89_562:
	ds_load_b32 v30, v121
.LBB89_563:
	s_mov_b32 s1, exec_lo
	v_cmpx_ne_u32_e32 17, v0
	s_cbranch_execz .LBB89_567
; %bb.564:
	v_mov_b64_e32 v[28:29], v[0:1]
	v_lshl_add_u32 v31, v0, 2, 0x74
	s_mov_b32 s2, 0
.LBB89_565:                             ; =>This Inner Loop Header: Depth=1
	s_delay_alu instid0(VALU_DEP_2)
	v_add_nc_u64_e32 v[28:29], 1, v[28:29]
	ds_load_b32 v33, v31
	v_add_nc_u32_e32 v31, 4, v31
	v_cmp_eq_u32_e32 vcc_lo, 1, v28
	v_cndmask_b32_e32 v32, v2, v3, vcc_lo
	v_cmp_eq_u32_e32 vcc_lo, 2, v28
	s_delay_alu instid0(VALU_DEP_2) | instskip(SKIP_1) | instid1(VALU_DEP_2)
	v_cndmask_b32_e32 v32, v32, v4, vcc_lo
	v_cmp_eq_u32_e32 vcc_lo, 3, v28
	v_cndmask_b32_e32 v32, v32, v5, vcc_lo
	v_cmp_eq_u32_e32 vcc_lo, 4, v28
	s_delay_alu instid0(VALU_DEP_2) | instskip(SKIP_1) | instid1(VALU_DEP_2)
	v_cndmask_b32_e32 v32, v32, v6, vcc_lo
	;; [unrolled: 5-line block ×12, first 2 shown]
	v_cmp_eq_u32_e32 vcc_lo, 25, v28
	v_cndmask_b32_e32 v32, v32, v27, vcc_lo
	v_cmp_lt_u32_e32 vcc_lo, 16, v28
	s_wait_dscnt 0x0
	s_delay_alu instid0(VALU_DEP_2) | instskip(SKIP_1) | instid1(SALU_CYCLE_1)
	v_fmac_f32_e32 v30, v32, v33
	s_or_b32 s2, vcc_lo, s2
	s_and_not1_b32 exec_lo, exec_lo, s2
	s_cbranch_execnz .LBB89_565
; %bb.566:
	s_or_b32 exec_lo, exec_lo, s2
.LBB89_567:
	s_delay_alu instid0(SALU_CYCLE_1)
	s_or_b32 exec_lo, exec_lo, s1
	v_mov_b32_e32 v20, 0
	ds_load_b32 v20, v20 offset:72
	s_wait_dscnt 0x0
	v_mul_f32_e32 v20, v30, v20
.LBB89_568:
	s_or_b32 exec_lo, exec_lo, s0
	s_delay_alu instid0(SALU_CYCLE_1)
	s_mov_b32 s0, exec_lo
	ds_store_b32 v121, v21
	s_wait_dscnt 0x0
	s_barrier_signal -1
	s_barrier_wait -1
	v_cmpx_gt_u32_e32 19, v0
	s_cbranch_execz .LBB89_578
; %bb.569:
	v_cmp_ne_u32_e32 vcc_lo, 1, v34
	s_cbranch_vccnz .LBB89_571
; %bb.570:
	v_cmp_eq_u32_e32 vcc_lo, 1, v0
	ds_load_b32 v29, v121
	v_cndmask_b32_e32 v28, v2, v3, vcc_lo
	v_cmp_eq_u32_e32 vcc_lo, 2, v0
	s_delay_alu instid0(VALU_DEP_2) | instskip(SKIP_1) | instid1(VALU_DEP_2)
	v_cndmask_b32_e32 v28, v28, v4, vcc_lo
	v_cmp_eq_u32_e32 vcc_lo, 3, v0
	v_cndmask_b32_e32 v28, v28, v5, vcc_lo
	v_cmp_eq_u32_e32 vcc_lo, 4, v0
	s_delay_alu instid0(VALU_DEP_2) | instskip(SKIP_1) | instid1(VALU_DEP_2)
	v_cndmask_b32_e32 v28, v28, v6, vcc_lo
	v_cmp_eq_u32_e32 vcc_lo, 5, v0
	;; [unrolled: 5-line block ×12, first 2 shown]
	v_cndmask_b32_e32 v28, v28, v27, vcc_lo
	s_wait_dscnt 0x0
	s_delay_alu instid0(VALU_DEP_1)
	v_mul_f32_e32 v30, v28, v29
	s_cbranch_execz .LBB89_572
	s_branch .LBB89_573
.LBB89_571:
                                        ; implicit-def: $vgpr30
.LBB89_572:
	ds_load_b32 v30, v121
.LBB89_573:
	s_mov_b32 s1, exec_lo
	v_cmpx_ne_u32_e32 18, v0
	s_cbranch_execz .LBB89_577
; %bb.574:
	v_mov_b64_e32 v[28:29], v[0:1]
	v_lshl_add_u32 v31, v0, 2, 0x74
	s_mov_b32 s2, 0
.LBB89_575:                             ; =>This Inner Loop Header: Depth=1
	s_delay_alu instid0(VALU_DEP_2)
	v_add_nc_u64_e32 v[28:29], 1, v[28:29]
	ds_load_b32 v33, v31
	v_add_nc_u32_e32 v31, 4, v31
	v_cmp_eq_u32_e32 vcc_lo, 1, v28
	v_cndmask_b32_e32 v32, v2, v3, vcc_lo
	v_cmp_eq_u32_e32 vcc_lo, 2, v28
	s_delay_alu instid0(VALU_DEP_2) | instskip(SKIP_1) | instid1(VALU_DEP_2)
	v_cndmask_b32_e32 v32, v32, v4, vcc_lo
	v_cmp_eq_u32_e32 vcc_lo, 3, v28
	v_cndmask_b32_e32 v32, v32, v5, vcc_lo
	v_cmp_eq_u32_e32 vcc_lo, 4, v28
	s_delay_alu instid0(VALU_DEP_2) | instskip(SKIP_1) | instid1(VALU_DEP_2)
	v_cndmask_b32_e32 v32, v32, v6, vcc_lo
	;; [unrolled: 5-line block ×12, first 2 shown]
	v_cmp_eq_u32_e32 vcc_lo, 25, v28
	v_cndmask_b32_e32 v32, v32, v27, vcc_lo
	v_cmp_lt_u32_e32 vcc_lo, 17, v28
	s_wait_dscnt 0x0
	s_delay_alu instid0(VALU_DEP_2) | instskip(SKIP_1) | instid1(SALU_CYCLE_1)
	v_fmac_f32_e32 v30, v32, v33
	s_or_b32 s2, vcc_lo, s2
	s_and_not1_b32 exec_lo, exec_lo, s2
	s_cbranch_execnz .LBB89_575
; %bb.576:
	s_or_b32 exec_lo, exec_lo, s2
.LBB89_577:
	s_delay_alu instid0(SALU_CYCLE_1)
	s_or_b32 exec_lo, exec_lo, s1
	v_mov_b32_e32 v21, 0
	ds_load_b32 v21, v21 offset:76
	s_wait_dscnt 0x0
	v_mul_f32_e32 v21, v30, v21
.LBB89_578:
	s_or_b32 exec_lo, exec_lo, s0
	s_delay_alu instid0(SALU_CYCLE_1)
	s_mov_b32 s0, exec_lo
	ds_store_b32 v121, v22
	s_wait_dscnt 0x0
	s_barrier_signal -1
	s_barrier_wait -1
	v_cmpx_gt_u32_e32 20, v0
	s_cbranch_execz .LBB89_588
; %bb.579:
	v_cmp_ne_u32_e32 vcc_lo, 1, v34
	s_cbranch_vccnz .LBB89_581
; %bb.580:
	v_cmp_eq_u32_e32 vcc_lo, 1, v0
	ds_load_b32 v29, v121
	v_cndmask_b32_e32 v28, v2, v3, vcc_lo
	v_cmp_eq_u32_e32 vcc_lo, 2, v0
	s_delay_alu instid0(VALU_DEP_2) | instskip(SKIP_1) | instid1(VALU_DEP_2)
	v_cndmask_b32_e32 v28, v28, v4, vcc_lo
	v_cmp_eq_u32_e32 vcc_lo, 3, v0
	v_cndmask_b32_e32 v28, v28, v5, vcc_lo
	v_cmp_eq_u32_e32 vcc_lo, 4, v0
	s_delay_alu instid0(VALU_DEP_2) | instskip(SKIP_1) | instid1(VALU_DEP_2)
	v_cndmask_b32_e32 v28, v28, v6, vcc_lo
	v_cmp_eq_u32_e32 vcc_lo, 5, v0
	;; [unrolled: 5-line block ×12, first 2 shown]
	v_cndmask_b32_e32 v28, v28, v27, vcc_lo
	s_wait_dscnt 0x0
	s_delay_alu instid0(VALU_DEP_1)
	v_mul_f32_e32 v30, v28, v29
	s_cbranch_execz .LBB89_582
	s_branch .LBB89_583
.LBB89_581:
                                        ; implicit-def: $vgpr30
.LBB89_582:
	ds_load_b32 v30, v121
.LBB89_583:
	s_mov_b32 s1, exec_lo
	v_cmpx_ne_u32_e32 19, v0
	s_cbranch_execz .LBB89_587
; %bb.584:
	v_mov_b64_e32 v[28:29], v[0:1]
	v_lshl_add_u32 v31, v0, 2, 0x74
	s_mov_b32 s2, 0
.LBB89_585:                             ; =>This Inner Loop Header: Depth=1
	s_delay_alu instid0(VALU_DEP_2)
	v_add_nc_u64_e32 v[28:29], 1, v[28:29]
	ds_load_b32 v33, v31
	v_add_nc_u32_e32 v31, 4, v31
	v_cmp_eq_u32_e32 vcc_lo, 1, v28
	v_cndmask_b32_e32 v32, v2, v3, vcc_lo
	v_cmp_eq_u32_e32 vcc_lo, 2, v28
	s_delay_alu instid0(VALU_DEP_2) | instskip(SKIP_1) | instid1(VALU_DEP_2)
	v_cndmask_b32_e32 v32, v32, v4, vcc_lo
	v_cmp_eq_u32_e32 vcc_lo, 3, v28
	v_cndmask_b32_e32 v32, v32, v5, vcc_lo
	v_cmp_eq_u32_e32 vcc_lo, 4, v28
	s_delay_alu instid0(VALU_DEP_2) | instskip(SKIP_1) | instid1(VALU_DEP_2)
	v_cndmask_b32_e32 v32, v32, v6, vcc_lo
	;; [unrolled: 5-line block ×12, first 2 shown]
	v_cmp_eq_u32_e32 vcc_lo, 25, v28
	v_cndmask_b32_e32 v32, v32, v27, vcc_lo
	v_cmp_lt_u32_e32 vcc_lo, 18, v28
	s_wait_dscnt 0x0
	s_delay_alu instid0(VALU_DEP_2) | instskip(SKIP_1) | instid1(SALU_CYCLE_1)
	v_fmac_f32_e32 v30, v32, v33
	s_or_b32 s2, vcc_lo, s2
	s_and_not1_b32 exec_lo, exec_lo, s2
	s_cbranch_execnz .LBB89_585
; %bb.586:
	s_or_b32 exec_lo, exec_lo, s2
.LBB89_587:
	s_delay_alu instid0(SALU_CYCLE_1)
	s_or_b32 exec_lo, exec_lo, s1
	v_mov_b32_e32 v22, 0
	ds_load_b32 v22, v22 offset:80
	s_wait_dscnt 0x0
	v_mul_f32_e32 v22, v30, v22
.LBB89_588:
	s_or_b32 exec_lo, exec_lo, s0
	s_delay_alu instid0(SALU_CYCLE_1)
	s_mov_b32 s0, exec_lo
	ds_store_b32 v121, v23
	s_wait_dscnt 0x0
	s_barrier_signal -1
	s_barrier_wait -1
	v_cmpx_gt_u32_e32 21, v0
	s_cbranch_execz .LBB89_598
; %bb.589:
	v_cmp_ne_u32_e32 vcc_lo, 1, v34
	s_cbranch_vccnz .LBB89_591
; %bb.590:
	v_cmp_eq_u32_e32 vcc_lo, 1, v0
	ds_load_b32 v29, v121
	v_cndmask_b32_e32 v28, v2, v3, vcc_lo
	v_cmp_eq_u32_e32 vcc_lo, 2, v0
	s_delay_alu instid0(VALU_DEP_2) | instskip(SKIP_1) | instid1(VALU_DEP_2)
	v_cndmask_b32_e32 v28, v28, v4, vcc_lo
	v_cmp_eq_u32_e32 vcc_lo, 3, v0
	v_cndmask_b32_e32 v28, v28, v5, vcc_lo
	v_cmp_eq_u32_e32 vcc_lo, 4, v0
	s_delay_alu instid0(VALU_DEP_2) | instskip(SKIP_1) | instid1(VALU_DEP_2)
	v_cndmask_b32_e32 v28, v28, v6, vcc_lo
	v_cmp_eq_u32_e32 vcc_lo, 5, v0
	v_cndmask_b32_e32 v28, v28, v7, vcc_lo
	v_cmp_eq_u32_e32 vcc_lo, 6, v0
	s_delay_alu instid0(VALU_DEP_2) | instskip(SKIP_1) | instid1(VALU_DEP_2)
	v_cndmask_b32_e32 v28, v28, v8, vcc_lo
	v_cmp_eq_u32_e32 vcc_lo, 7, v0
	v_cndmask_b32_e32 v28, v28, v9, vcc_lo
	v_cmp_eq_u32_e32 vcc_lo, 8, v0
	s_delay_alu instid0(VALU_DEP_2) | instskip(SKIP_1) | instid1(VALU_DEP_2)
	v_cndmask_b32_e32 v28, v28, v10, vcc_lo
	v_cmp_eq_u32_e32 vcc_lo, 9, v0
	v_cndmask_b32_e32 v28, v28, v11, vcc_lo
	v_cmp_eq_u32_e32 vcc_lo, 10, v0
	s_delay_alu instid0(VALU_DEP_2) | instskip(SKIP_1) | instid1(VALU_DEP_2)
	v_cndmask_b32_e32 v28, v28, v12, vcc_lo
	v_cmp_eq_u32_e32 vcc_lo, 11, v0
	v_cndmask_b32_e32 v28, v28, v13, vcc_lo
	v_cmp_eq_u32_e32 vcc_lo, 12, v0
	s_delay_alu instid0(VALU_DEP_2) | instskip(SKIP_1) | instid1(VALU_DEP_2)
	v_cndmask_b32_e32 v28, v28, v14, vcc_lo
	v_cmp_eq_u32_e32 vcc_lo, 13, v0
	v_cndmask_b32_e32 v28, v28, v15, vcc_lo
	v_cmp_eq_u32_e32 vcc_lo, 14, v0
	s_delay_alu instid0(VALU_DEP_2) | instskip(SKIP_1) | instid1(VALU_DEP_2)
	v_cndmask_b32_e32 v28, v28, v16, vcc_lo
	v_cmp_eq_u32_e32 vcc_lo, 15, v0
	v_cndmask_b32_e32 v28, v28, v17, vcc_lo
	v_cmp_eq_u32_e32 vcc_lo, 16, v0
	s_delay_alu instid0(VALU_DEP_2) | instskip(SKIP_1) | instid1(VALU_DEP_2)
	v_cndmask_b32_e32 v28, v28, v18, vcc_lo
	v_cmp_eq_u32_e32 vcc_lo, 17, v0
	v_cndmask_b32_e32 v28, v28, v19, vcc_lo
	v_cmp_eq_u32_e32 vcc_lo, 18, v0
	s_delay_alu instid0(VALU_DEP_2) | instskip(SKIP_1) | instid1(VALU_DEP_2)
	v_cndmask_b32_e32 v28, v28, v20, vcc_lo
	v_cmp_eq_u32_e32 vcc_lo, 19, v0
	v_cndmask_b32_e32 v28, v28, v21, vcc_lo
	v_cmp_eq_u32_e32 vcc_lo, 20, v0
	s_delay_alu instid0(VALU_DEP_2) | instskip(SKIP_1) | instid1(VALU_DEP_2)
	v_cndmask_b32_e32 v28, v28, v22, vcc_lo
	v_cmp_eq_u32_e32 vcc_lo, 21, v0
	v_cndmask_b32_e32 v28, v28, v23, vcc_lo
	v_cmp_eq_u32_e32 vcc_lo, 22, v0
	s_delay_alu instid0(VALU_DEP_2) | instskip(SKIP_1) | instid1(VALU_DEP_2)
	v_cndmask_b32_e32 v28, v28, v24, vcc_lo
	v_cmp_eq_u32_e32 vcc_lo, 23, v0
	v_cndmask_b32_e32 v28, v28, v25, vcc_lo
	v_cmp_eq_u32_e32 vcc_lo, 24, v0
	s_delay_alu instid0(VALU_DEP_2) | instskip(SKIP_1) | instid1(VALU_DEP_2)
	v_cndmask_b32_e32 v28, v28, v26, vcc_lo
	v_cmp_eq_u32_e32 vcc_lo, 25, v0
	v_cndmask_b32_e32 v28, v28, v27, vcc_lo
	s_wait_dscnt 0x0
	s_delay_alu instid0(VALU_DEP_1)
	v_mul_f32_e32 v30, v28, v29
	s_cbranch_execz .LBB89_592
	s_branch .LBB89_593
.LBB89_591:
                                        ; implicit-def: $vgpr30
.LBB89_592:
	ds_load_b32 v30, v121
.LBB89_593:
	s_mov_b32 s1, exec_lo
	v_cmpx_ne_u32_e32 20, v0
	s_cbranch_execz .LBB89_597
; %bb.594:
	v_mov_b64_e32 v[28:29], v[0:1]
	v_lshl_add_u32 v31, v0, 2, 0x74
	s_mov_b32 s2, 0
.LBB89_595:                             ; =>This Inner Loop Header: Depth=1
	s_delay_alu instid0(VALU_DEP_2)
	v_add_nc_u64_e32 v[28:29], 1, v[28:29]
	ds_load_b32 v33, v31
	v_add_nc_u32_e32 v31, 4, v31
	v_cmp_eq_u32_e32 vcc_lo, 1, v28
	v_cndmask_b32_e32 v32, v2, v3, vcc_lo
	v_cmp_eq_u32_e32 vcc_lo, 2, v28
	s_delay_alu instid0(VALU_DEP_2) | instskip(SKIP_1) | instid1(VALU_DEP_2)
	v_cndmask_b32_e32 v32, v32, v4, vcc_lo
	v_cmp_eq_u32_e32 vcc_lo, 3, v28
	v_cndmask_b32_e32 v32, v32, v5, vcc_lo
	v_cmp_eq_u32_e32 vcc_lo, 4, v28
	s_delay_alu instid0(VALU_DEP_2) | instskip(SKIP_1) | instid1(VALU_DEP_2)
	v_cndmask_b32_e32 v32, v32, v6, vcc_lo
	;; [unrolled: 5-line block ×12, first 2 shown]
	v_cmp_eq_u32_e32 vcc_lo, 25, v28
	v_cndmask_b32_e32 v32, v32, v27, vcc_lo
	v_cmp_lt_u32_e32 vcc_lo, 19, v28
	s_wait_dscnt 0x0
	s_delay_alu instid0(VALU_DEP_2) | instskip(SKIP_1) | instid1(SALU_CYCLE_1)
	v_fmac_f32_e32 v30, v32, v33
	s_or_b32 s2, vcc_lo, s2
	s_and_not1_b32 exec_lo, exec_lo, s2
	s_cbranch_execnz .LBB89_595
; %bb.596:
	s_or_b32 exec_lo, exec_lo, s2
.LBB89_597:
	s_delay_alu instid0(SALU_CYCLE_1)
	s_or_b32 exec_lo, exec_lo, s1
	v_mov_b32_e32 v23, 0
	ds_load_b32 v23, v23 offset:84
	s_wait_dscnt 0x0
	v_mul_f32_e32 v23, v30, v23
.LBB89_598:
	s_or_b32 exec_lo, exec_lo, s0
	s_delay_alu instid0(SALU_CYCLE_1)
	s_mov_b32 s0, exec_lo
	ds_store_b32 v121, v24
	s_wait_dscnt 0x0
	s_barrier_signal -1
	s_barrier_wait -1
	v_cmpx_gt_u32_e32 22, v0
	s_cbranch_execz .LBB89_608
; %bb.599:
	v_cmp_ne_u32_e32 vcc_lo, 1, v34
	s_cbranch_vccnz .LBB89_601
; %bb.600:
	v_cmp_eq_u32_e32 vcc_lo, 1, v0
	ds_load_b32 v29, v121
	v_cndmask_b32_e32 v28, v2, v3, vcc_lo
	v_cmp_eq_u32_e32 vcc_lo, 2, v0
	s_delay_alu instid0(VALU_DEP_2) | instskip(SKIP_1) | instid1(VALU_DEP_2)
	v_cndmask_b32_e32 v28, v28, v4, vcc_lo
	v_cmp_eq_u32_e32 vcc_lo, 3, v0
	v_cndmask_b32_e32 v28, v28, v5, vcc_lo
	v_cmp_eq_u32_e32 vcc_lo, 4, v0
	s_delay_alu instid0(VALU_DEP_2) | instskip(SKIP_1) | instid1(VALU_DEP_2)
	v_cndmask_b32_e32 v28, v28, v6, vcc_lo
	v_cmp_eq_u32_e32 vcc_lo, 5, v0
	;; [unrolled: 5-line block ×12, first 2 shown]
	v_cndmask_b32_e32 v28, v28, v27, vcc_lo
	s_wait_dscnt 0x0
	s_delay_alu instid0(VALU_DEP_1)
	v_mul_f32_e32 v30, v28, v29
	s_cbranch_execz .LBB89_602
	s_branch .LBB89_603
.LBB89_601:
                                        ; implicit-def: $vgpr30
.LBB89_602:
	ds_load_b32 v30, v121
.LBB89_603:
	s_mov_b32 s1, exec_lo
	v_cmpx_ne_u32_e32 21, v0
	s_cbranch_execz .LBB89_607
; %bb.604:
	v_mov_b64_e32 v[28:29], v[0:1]
	v_lshl_add_u32 v31, v0, 2, 0x74
	s_mov_b32 s2, 0
.LBB89_605:                             ; =>This Inner Loop Header: Depth=1
	s_delay_alu instid0(VALU_DEP_2)
	v_add_nc_u64_e32 v[28:29], 1, v[28:29]
	ds_load_b32 v33, v31
	v_add_nc_u32_e32 v31, 4, v31
	v_cmp_eq_u32_e32 vcc_lo, 1, v28
	v_cndmask_b32_e32 v32, v2, v3, vcc_lo
	v_cmp_eq_u32_e32 vcc_lo, 2, v28
	s_delay_alu instid0(VALU_DEP_2) | instskip(SKIP_1) | instid1(VALU_DEP_2)
	v_cndmask_b32_e32 v32, v32, v4, vcc_lo
	v_cmp_eq_u32_e32 vcc_lo, 3, v28
	v_cndmask_b32_e32 v32, v32, v5, vcc_lo
	v_cmp_eq_u32_e32 vcc_lo, 4, v28
	s_delay_alu instid0(VALU_DEP_2) | instskip(SKIP_1) | instid1(VALU_DEP_2)
	v_cndmask_b32_e32 v32, v32, v6, vcc_lo
	;; [unrolled: 5-line block ×12, first 2 shown]
	v_cmp_eq_u32_e32 vcc_lo, 25, v28
	v_cndmask_b32_e32 v32, v32, v27, vcc_lo
	v_cmp_lt_u32_e32 vcc_lo, 20, v28
	s_wait_dscnt 0x0
	s_delay_alu instid0(VALU_DEP_2) | instskip(SKIP_1) | instid1(SALU_CYCLE_1)
	v_fmac_f32_e32 v30, v32, v33
	s_or_b32 s2, vcc_lo, s2
	s_and_not1_b32 exec_lo, exec_lo, s2
	s_cbranch_execnz .LBB89_605
; %bb.606:
	s_or_b32 exec_lo, exec_lo, s2
.LBB89_607:
	s_delay_alu instid0(SALU_CYCLE_1)
	s_or_b32 exec_lo, exec_lo, s1
	v_mov_b32_e32 v24, 0
	ds_load_b32 v24, v24 offset:88
	s_wait_dscnt 0x0
	v_mul_f32_e32 v24, v30, v24
.LBB89_608:
	s_or_b32 exec_lo, exec_lo, s0
	s_delay_alu instid0(SALU_CYCLE_1)
	s_mov_b32 s0, exec_lo
	ds_store_b32 v121, v25
	s_wait_dscnt 0x0
	s_barrier_signal -1
	s_barrier_wait -1
	v_cmpx_gt_u32_e32 23, v0
	s_cbranch_execz .LBB89_618
; %bb.609:
	v_cmp_ne_u32_e32 vcc_lo, 1, v34
	s_cbranch_vccnz .LBB89_611
; %bb.610:
	v_cmp_eq_u32_e32 vcc_lo, 1, v0
	ds_load_b32 v29, v121
	v_cndmask_b32_e32 v28, v2, v3, vcc_lo
	v_cmp_eq_u32_e32 vcc_lo, 2, v0
	s_delay_alu instid0(VALU_DEP_2) | instskip(SKIP_1) | instid1(VALU_DEP_2)
	v_cndmask_b32_e32 v28, v28, v4, vcc_lo
	v_cmp_eq_u32_e32 vcc_lo, 3, v0
	v_cndmask_b32_e32 v28, v28, v5, vcc_lo
	v_cmp_eq_u32_e32 vcc_lo, 4, v0
	s_delay_alu instid0(VALU_DEP_2) | instskip(SKIP_1) | instid1(VALU_DEP_2)
	v_cndmask_b32_e32 v28, v28, v6, vcc_lo
	v_cmp_eq_u32_e32 vcc_lo, 5, v0
	;; [unrolled: 5-line block ×12, first 2 shown]
	v_cndmask_b32_e32 v28, v28, v27, vcc_lo
	s_wait_dscnt 0x0
	s_delay_alu instid0(VALU_DEP_1)
	v_mul_f32_e32 v30, v28, v29
	s_cbranch_execz .LBB89_612
	s_branch .LBB89_613
.LBB89_611:
                                        ; implicit-def: $vgpr30
.LBB89_612:
	ds_load_b32 v30, v121
.LBB89_613:
	s_mov_b32 s1, exec_lo
	v_cmpx_ne_u32_e32 22, v0
	s_cbranch_execz .LBB89_617
; %bb.614:
	v_mov_b64_e32 v[28:29], v[0:1]
	v_lshl_add_u32 v31, v0, 2, 0x74
	s_mov_b32 s2, 0
.LBB89_615:                             ; =>This Inner Loop Header: Depth=1
	s_delay_alu instid0(VALU_DEP_2)
	v_add_nc_u64_e32 v[28:29], 1, v[28:29]
	ds_load_b32 v33, v31
	v_add_nc_u32_e32 v31, 4, v31
	v_cmp_eq_u32_e32 vcc_lo, 1, v28
	v_cndmask_b32_e32 v32, v2, v3, vcc_lo
	v_cmp_eq_u32_e32 vcc_lo, 2, v28
	s_delay_alu instid0(VALU_DEP_2) | instskip(SKIP_1) | instid1(VALU_DEP_2)
	v_cndmask_b32_e32 v32, v32, v4, vcc_lo
	v_cmp_eq_u32_e32 vcc_lo, 3, v28
	v_cndmask_b32_e32 v32, v32, v5, vcc_lo
	v_cmp_eq_u32_e32 vcc_lo, 4, v28
	s_delay_alu instid0(VALU_DEP_2) | instskip(SKIP_1) | instid1(VALU_DEP_2)
	v_cndmask_b32_e32 v32, v32, v6, vcc_lo
	;; [unrolled: 5-line block ×12, first 2 shown]
	v_cmp_eq_u32_e32 vcc_lo, 25, v28
	v_cndmask_b32_e32 v32, v32, v27, vcc_lo
	v_cmp_lt_u32_e32 vcc_lo, 21, v28
	s_wait_dscnt 0x0
	s_delay_alu instid0(VALU_DEP_2) | instskip(SKIP_1) | instid1(SALU_CYCLE_1)
	v_fmac_f32_e32 v30, v32, v33
	s_or_b32 s2, vcc_lo, s2
	s_and_not1_b32 exec_lo, exec_lo, s2
	s_cbranch_execnz .LBB89_615
; %bb.616:
	s_or_b32 exec_lo, exec_lo, s2
.LBB89_617:
	s_delay_alu instid0(SALU_CYCLE_1)
	s_or_b32 exec_lo, exec_lo, s1
	v_mov_b32_e32 v25, 0
	ds_load_b32 v25, v25 offset:92
	s_wait_dscnt 0x0
	v_mul_f32_e32 v25, v30, v25
.LBB89_618:
	s_or_b32 exec_lo, exec_lo, s0
	v_cmp_gt_u32_e64 s0, 24, v0
	ds_store_b32 v121, v26
	s_wait_dscnt 0x0
	s_barrier_signal -1
	s_barrier_wait -1
	s_and_saveexec_b32 s1, s0
	s_cbranch_execz .LBB89_628
; %bb.619:
	v_cmp_ne_u32_e32 vcc_lo, 1, v34
	s_cbranch_vccnz .LBB89_621
; %bb.620:
	v_cmp_eq_u32_e32 vcc_lo, 1, v0
	ds_load_b32 v29, v121
	v_cndmask_b32_e32 v28, v2, v3, vcc_lo
	v_cmp_eq_u32_e32 vcc_lo, 2, v0
	s_delay_alu instid0(VALU_DEP_2) | instskip(SKIP_1) | instid1(VALU_DEP_2)
	v_cndmask_b32_e32 v28, v28, v4, vcc_lo
	v_cmp_eq_u32_e32 vcc_lo, 3, v0
	v_cndmask_b32_e32 v28, v28, v5, vcc_lo
	v_cmp_eq_u32_e32 vcc_lo, 4, v0
	s_delay_alu instid0(VALU_DEP_2) | instskip(SKIP_1) | instid1(VALU_DEP_2)
	v_cndmask_b32_e32 v28, v28, v6, vcc_lo
	v_cmp_eq_u32_e32 vcc_lo, 5, v0
	;; [unrolled: 5-line block ×12, first 2 shown]
	v_cndmask_b32_e32 v28, v28, v27, vcc_lo
	s_wait_dscnt 0x0
	s_delay_alu instid0(VALU_DEP_1)
	v_mul_f32_e32 v30, v28, v29
	s_cbranch_execz .LBB89_622
	s_branch .LBB89_623
.LBB89_621:
                                        ; implicit-def: $vgpr30
.LBB89_622:
	ds_load_b32 v30, v121
.LBB89_623:
	s_mov_b32 s2, exec_lo
	v_cmpx_ne_u32_e32 23, v0
	s_cbranch_execz .LBB89_627
; %bb.624:
	v_mov_b64_e32 v[28:29], v[0:1]
	v_lshl_add_u32 v31, v0, 2, 0x74
	s_mov_b32 s3, 0
.LBB89_625:                             ; =>This Inner Loop Header: Depth=1
	s_delay_alu instid0(VALU_DEP_2)
	v_add_nc_u64_e32 v[28:29], 1, v[28:29]
	ds_load_b32 v33, v31
	v_add_nc_u32_e32 v31, 4, v31
	v_cmp_eq_u32_e32 vcc_lo, 1, v28
	v_cndmask_b32_e32 v32, v2, v3, vcc_lo
	v_cmp_eq_u32_e32 vcc_lo, 2, v28
	s_delay_alu instid0(VALU_DEP_2) | instskip(SKIP_1) | instid1(VALU_DEP_2)
	v_cndmask_b32_e32 v32, v32, v4, vcc_lo
	v_cmp_eq_u32_e32 vcc_lo, 3, v28
	v_cndmask_b32_e32 v32, v32, v5, vcc_lo
	v_cmp_eq_u32_e32 vcc_lo, 4, v28
	s_delay_alu instid0(VALU_DEP_2) | instskip(SKIP_1) | instid1(VALU_DEP_2)
	v_cndmask_b32_e32 v32, v32, v6, vcc_lo
	;; [unrolled: 5-line block ×12, first 2 shown]
	v_cmp_eq_u32_e32 vcc_lo, 25, v28
	v_cndmask_b32_e32 v32, v32, v27, vcc_lo
	v_cmp_lt_u32_e32 vcc_lo, 22, v28
	s_wait_dscnt 0x0
	s_delay_alu instid0(VALU_DEP_2) | instskip(SKIP_1) | instid1(SALU_CYCLE_1)
	v_fmac_f32_e32 v30, v32, v33
	s_or_b32 s3, vcc_lo, s3
	s_and_not1_b32 exec_lo, exec_lo, s3
	s_cbranch_execnz .LBB89_625
; %bb.626:
	s_or_b32 exec_lo, exec_lo, s3
.LBB89_627:
	s_delay_alu instid0(SALU_CYCLE_1)
	s_or_b32 exec_lo, exec_lo, s2
	v_mov_b32_e32 v26, 0
	ds_load_b32 v26, v26 offset:96
	s_wait_dscnt 0x0
	v_mul_f32_e32 v26, v30, v26
.LBB89_628:
	s_or_b32 exec_lo, exec_lo, s1
	s_delay_alu instid0(SALU_CYCLE_1)
	s_mov_b32 s1, exec_lo
	ds_store_b32 v121, v27
	s_wait_dscnt 0x0
	s_barrier_signal -1
	s_barrier_wait -1
	v_cmpx_ne_u32_e32 25, v0
	s_cbranch_execz .LBB89_638
; %bb.629:
	v_cmp_ne_u32_e32 vcc_lo, 1, v34
	s_cbranch_vccnz .LBB89_631
; %bb.630:
	v_cmp_eq_u32_e32 vcc_lo, 1, v0
	ds_load_b32 v29, v121
	v_cndmask_b32_e32 v28, v2, v3, vcc_lo
	v_cmp_eq_u32_e32 vcc_lo, 2, v0
	s_delay_alu instid0(VALU_DEP_2) | instskip(SKIP_1) | instid1(VALU_DEP_2)
	v_cndmask_b32_e32 v28, v28, v4, vcc_lo
	v_cmp_eq_u32_e32 vcc_lo, 3, v0
	v_cndmask_b32_e32 v28, v28, v5, vcc_lo
	v_cmp_eq_u32_e32 vcc_lo, 4, v0
	s_delay_alu instid0(VALU_DEP_2) | instskip(SKIP_1) | instid1(VALU_DEP_2)
	v_cndmask_b32_e32 v28, v28, v6, vcc_lo
	v_cmp_eq_u32_e32 vcc_lo, 5, v0
	;; [unrolled: 5-line block ×12, first 2 shown]
	v_cndmask_b32_e32 v28, v28, v27, vcc_lo
	s_wait_dscnt 0x0
	s_delay_alu instid0(VALU_DEP_1)
	v_mul_f32_e32 v28, v28, v29
	s_cbranch_execz .LBB89_632
	s_branch .LBB89_633
.LBB89_631:
                                        ; implicit-def: $vgpr28
.LBB89_632:
	ds_load_b32 v28, v121
.LBB89_633:
	s_and_saveexec_b32 s2, s0
	s_cbranch_execz .LBB89_637
; %bb.634:
	v_lshl_add_u32 v29, v0, 2, 0x74
	s_mov_b32 s0, 0
.LBB89_635:                             ; =>This Inner Loop Header: Depth=1
	v_add_nc_u64_e32 v[0:1], 1, v[0:1]
	ds_load_b32 v31, v29
	v_add_nc_u32_e32 v29, 4, v29
	v_cmp_eq_u32_e32 vcc_lo, 1, v0
	v_cndmask_b32_e32 v30, v2, v3, vcc_lo
	v_cmp_eq_u32_e32 vcc_lo, 2, v0
	s_delay_alu instid0(VALU_DEP_2) | instskip(SKIP_1) | instid1(VALU_DEP_2)
	v_cndmask_b32_e32 v30, v30, v4, vcc_lo
	v_cmp_eq_u32_e32 vcc_lo, 3, v0
	v_cndmask_b32_e32 v30, v30, v5, vcc_lo
	v_cmp_eq_u32_e32 vcc_lo, 4, v0
	s_delay_alu instid0(VALU_DEP_2) | instskip(SKIP_1) | instid1(VALU_DEP_2)
	v_cndmask_b32_e32 v30, v30, v6, vcc_lo
	;; [unrolled: 5-line block ×12, first 2 shown]
	v_cmp_eq_u32_e32 vcc_lo, 25, v0
	v_cndmask_b32_e32 v30, v30, v27, vcc_lo
	v_cmp_lt_u32_e32 vcc_lo, 23, v0
	s_wait_dscnt 0x0
	s_delay_alu instid0(VALU_DEP_2) | instskip(SKIP_1) | instid1(SALU_CYCLE_1)
	v_fmac_f32_e32 v28, v30, v31
	s_or_b32 s0, vcc_lo, s0
	s_and_not1_b32 exec_lo, exec_lo, s0
	s_cbranch_execnz .LBB89_635
; %bb.636:
	s_or_b32 exec_lo, exec_lo, s0
.LBB89_637:
	s_delay_alu instid0(SALU_CYCLE_1)
	s_or_b32 exec_lo, exec_lo, s2
	v_mov_b32_e32 v0, 0
	ds_load_b32 v0, v0 offset:100
	s_wait_dscnt 0x0
	v_mul_f32_e32 v27, v28, v0
.LBB89_638:
	s_or_b32 exec_lo, exec_lo, s1
	v_mov_b64_e32 v[64:65], v[32:33]
	s_delay_alu instid0(VALU_DEP_2)
	v_mov_b64_e32 v[58:59], v[26:27]
	v_mov_b64_e32 v[56:57], v[24:25]
	v_mov_b64_e32 v[54:55], v[22:23]
	v_mov_b64_e32 v[52:53], v[20:21]
	v_mov_b64_e32 v[50:51], v[18:19]
	v_mov_b64_e32 v[48:49], v[16:17]
	v_mov_b64_e32 v[46:47], v[14:15]
	v_mov_b64_e32 v[44:45], v[12:13]
	v_mov_b64_e32 v[42:43], v[10:11]
	v_mov_b64_e32 v[40:41], v[8:9]
	v_mov_b64_e32 v[38:39], v[6:7]
	v_mov_b64_e32 v[36:37], v[4:5]
	v_mov_b64_e32 v[34:35], v[2:3]
	v_mov_b64_e32 v[62:63], v[30:31]
	v_mov_b64_e32 v[60:61], v[28:29]
.LBB89_639:
	s_wait_xcnt 0x1
	v_lshl_add_u64 v[0:1], v[66:67], 2, s[26:27]
	s_wait_loadcnt_dscnt 0x102
	v_lshl_add_u64 v[2:3], v[68:69], 2, s[26:27]
	v_lshl_add_u64 v[4:5], v[70:71], 2, s[26:27]
	;; [unrolled: 1-line block ×12, first 2 shown]
	s_wait_loadcnt_dscnt 0x1
	v_lshl_add_u64 v[26:27], v[92:93], 2, s[26:27]
	v_lshl_add_u64 v[28:29], v[94:95], 2, s[26:27]
	v_lshl_add_u64 v[30:31], v[96:97], 2, s[26:27]
	v_lshl_add_u64 v[32:33], v[98:99], 2, s[26:27]
	v_lshl_add_u64 v[60:61], v[102:103], 2, s[26:27]
	v_lshl_add_u64 v[62:63], v[106:107], 2, s[26:27]
	v_lshl_add_u64 v[64:65], v[108:109], 2, s[26:27]
	v_lshl_add_u64 v[66:67], v[110:111], 2, s[26:27]
	v_lshl_add_u64 v[68:69], v[112:113], 2, s[26:27]
	v_lshl_add_u64 v[70:71], v[114:115], 2, s[26:27]
	v_lshl_add_u64 v[72:73], v[116:117], 2, s[26:27]
	s_clause 0x19
	flat_store_b32 v[100:101], v34
	flat_store_b32 v[104:105], v35
	;; [unrolled: 1-line block ×26, first 2 shown]
.LBB89_640:
	s_sendmsg sendmsg(MSG_DEALLOC_VGPRS)
	s_endpgm
	.section	.rodata,"a",@progbits
	.p2align	6, 0x0
	.amdhsa_kernel _ZN9rocsolver6v33100L18trti2_kernel_smallILi26EfPKPfEEv13rocblas_fill_17rocblas_diagonal_T1_iil
		.amdhsa_group_segment_fixed_size 216
		.amdhsa_private_segment_fixed_size 0
		.amdhsa_kernarg_size 32
		.amdhsa_user_sgpr_count 2
		.amdhsa_user_sgpr_dispatch_ptr 0
		.amdhsa_user_sgpr_queue_ptr 0
		.amdhsa_user_sgpr_kernarg_segment_ptr 1
		.amdhsa_user_sgpr_dispatch_id 0
		.amdhsa_user_sgpr_kernarg_preload_length 0
		.amdhsa_user_sgpr_kernarg_preload_offset 0
		.amdhsa_user_sgpr_private_segment_size 0
		.amdhsa_wavefront_size32 1
		.amdhsa_uses_dynamic_stack 0
		.amdhsa_enable_private_segment 0
		.amdhsa_system_sgpr_workgroup_id_x 1
		.amdhsa_system_sgpr_workgroup_id_y 0
		.amdhsa_system_sgpr_workgroup_id_z 0
		.amdhsa_system_sgpr_workgroup_info 0
		.amdhsa_system_vgpr_workitem_id 0
		.amdhsa_next_free_vgpr 133
		.amdhsa_next_free_sgpr 32
		.amdhsa_named_barrier_count 0
		.amdhsa_reserve_vcc 1
		.amdhsa_float_round_mode_32 0
		.amdhsa_float_round_mode_16_64 0
		.amdhsa_float_denorm_mode_32 3
		.amdhsa_float_denorm_mode_16_64 3
		.amdhsa_fp16_overflow 0
		.amdhsa_memory_ordered 1
		.amdhsa_forward_progress 1
		.amdhsa_inst_pref_size 255
		.amdhsa_round_robin_scheduling 0
		.amdhsa_exception_fp_ieee_invalid_op 0
		.amdhsa_exception_fp_denorm_src 0
		.amdhsa_exception_fp_ieee_div_zero 0
		.amdhsa_exception_fp_ieee_overflow 0
		.amdhsa_exception_fp_ieee_underflow 0
		.amdhsa_exception_fp_ieee_inexact 0
		.amdhsa_exception_int_div_zero 0
	.end_amdhsa_kernel
	.section	.text._ZN9rocsolver6v33100L18trti2_kernel_smallILi26EfPKPfEEv13rocblas_fill_17rocblas_diagonal_T1_iil,"axG",@progbits,_ZN9rocsolver6v33100L18trti2_kernel_smallILi26EfPKPfEEv13rocblas_fill_17rocblas_diagonal_T1_iil,comdat
.Lfunc_end89:
	.size	_ZN9rocsolver6v33100L18trti2_kernel_smallILi26EfPKPfEEv13rocblas_fill_17rocblas_diagonal_T1_iil, .Lfunc_end89-_ZN9rocsolver6v33100L18trti2_kernel_smallILi26EfPKPfEEv13rocblas_fill_17rocblas_diagonal_T1_iil
                                        ; -- End function
	.set _ZN9rocsolver6v33100L18trti2_kernel_smallILi26EfPKPfEEv13rocblas_fill_17rocblas_diagonal_T1_iil.num_vgpr, 133
	.set _ZN9rocsolver6v33100L18trti2_kernel_smallILi26EfPKPfEEv13rocblas_fill_17rocblas_diagonal_T1_iil.num_agpr, 0
	.set _ZN9rocsolver6v33100L18trti2_kernel_smallILi26EfPKPfEEv13rocblas_fill_17rocblas_diagonal_T1_iil.numbered_sgpr, 32
	.set _ZN9rocsolver6v33100L18trti2_kernel_smallILi26EfPKPfEEv13rocblas_fill_17rocblas_diagonal_T1_iil.num_named_barrier, 0
	.set _ZN9rocsolver6v33100L18trti2_kernel_smallILi26EfPKPfEEv13rocblas_fill_17rocblas_diagonal_T1_iil.private_seg_size, 0
	.set _ZN9rocsolver6v33100L18trti2_kernel_smallILi26EfPKPfEEv13rocblas_fill_17rocblas_diagonal_T1_iil.uses_vcc, 1
	.set _ZN9rocsolver6v33100L18trti2_kernel_smallILi26EfPKPfEEv13rocblas_fill_17rocblas_diagonal_T1_iil.uses_flat_scratch, 1
	.set _ZN9rocsolver6v33100L18trti2_kernel_smallILi26EfPKPfEEv13rocblas_fill_17rocblas_diagonal_T1_iil.has_dyn_sized_stack, 0
	.set _ZN9rocsolver6v33100L18trti2_kernel_smallILi26EfPKPfEEv13rocblas_fill_17rocblas_diagonal_T1_iil.has_recursion, 0
	.set _ZN9rocsolver6v33100L18trti2_kernel_smallILi26EfPKPfEEv13rocblas_fill_17rocblas_diagonal_T1_iil.has_indirect_call, 0
	.section	.AMDGPU.csdata,"",@progbits
; Kernel info:
; codeLenInByte = 43792
; TotalNumSgprs: 34
; NumVgprs: 133
; ScratchSize: 0
; MemoryBound: 0
; FloatMode: 240
; IeeeMode: 1
; LDSByteSize: 216 bytes/workgroup (compile time only)
; SGPRBlocks: 0
; VGPRBlocks: 8
; NumSGPRsForWavesPerEU: 34
; NumVGPRsForWavesPerEU: 133
; NamedBarCnt: 0
; Occupancy: 7
; WaveLimiterHint : 1
; COMPUTE_PGM_RSRC2:SCRATCH_EN: 0
; COMPUTE_PGM_RSRC2:USER_SGPR: 2
; COMPUTE_PGM_RSRC2:TRAP_HANDLER: 0
; COMPUTE_PGM_RSRC2:TGID_X_EN: 1
; COMPUTE_PGM_RSRC2:TGID_Y_EN: 0
; COMPUTE_PGM_RSRC2:TGID_Z_EN: 0
; COMPUTE_PGM_RSRC2:TIDIG_COMP_CNT: 0
	.section	.text._ZN9rocsolver6v33100L18trti2_kernel_smallILi27EfPKPfEEv13rocblas_fill_17rocblas_diagonal_T1_iil,"axG",@progbits,_ZN9rocsolver6v33100L18trti2_kernel_smallILi27EfPKPfEEv13rocblas_fill_17rocblas_diagonal_T1_iil,comdat
	.globl	_ZN9rocsolver6v33100L18trti2_kernel_smallILi27EfPKPfEEv13rocblas_fill_17rocblas_diagonal_T1_iil ; -- Begin function _ZN9rocsolver6v33100L18trti2_kernel_smallILi27EfPKPfEEv13rocblas_fill_17rocblas_diagonal_T1_iil
	.p2align	8
	.type	_ZN9rocsolver6v33100L18trti2_kernel_smallILi27EfPKPfEEv13rocblas_fill_17rocblas_diagonal_T1_iil,@function
_ZN9rocsolver6v33100L18trti2_kernel_smallILi27EfPKPfEEv13rocblas_fill_17rocblas_diagonal_T1_iil: ; @_ZN9rocsolver6v33100L18trti2_kernel_smallILi27EfPKPfEEv13rocblas_fill_17rocblas_diagonal_T1_iil
; %bb.0:
	s_mov_b32 s2, exec_lo
	v_cmpx_gt_u32_e32 27, v0
	s_cbranch_execz .LBB90_666
; %bb.1:
	s_clause 0x1
	s_load_b64 s[2:3], s[0:1], 0x10
	s_load_b128 s[28:31], s[0:1], 0x0
	s_wait_xcnt 0x0
	s_bfe_u32 s0, ttmp6, 0x4000c
	s_and_b32 s1, ttmp6, 15
	s_add_co_i32 s0, s0, 1
	s_getreg_b32 s4, hwreg(HW_REG_IB_STS2, 6, 4)
	s_mul_i32 s0, ttmp9, s0
	v_mov_b32_e32 v1, 0
	s_add_co_i32 s0, s1, s0
	s_delay_alu instid0(VALU_DEP_1)
	v_mov_b32_e32 v35, v1
	s_wait_kmcnt 0x0
	v_add3_u32 v66, s3, s3, v0
	s_ashr_i32 s1, s2, 31
	s_cmp_eq_u32 s4, 0
	s_cselect_b32 s4, ttmp9, s0
	s_delay_alu instid0(VALU_DEP_1)
	v_add_nc_u32_e32 v68, s3, v66
	s_ashr_i32 s5, s4, 31
	s_mov_b32 s0, s2
	s_lshl_b64 s[4:5], s[4:5], 3
	s_lshl_b64 s[0:1], s[0:1], 2
	v_add_nc_u32_e32 v70, s3, v68
	s_add_nc_u64 s[4:5], s[30:31], s[4:5]
	s_load_b64 s[4:5], s[4:5], 0x0
	s_delay_alu instid0(VALU_DEP_1) | instskip(NEXT) | instid1(VALU_DEP_1)
	v_add_nc_u32_e32 v72, s3, v70
	v_add_nc_u32_e32 v74, s3, v72
	s_delay_alu instid0(VALU_DEP_1) | instskip(NEXT) | instid1(VALU_DEP_1)
	v_add_nc_u32_e32 v76, s3, v74
	v_add_nc_u32_e32 v78, s3, v76
	s_wait_kmcnt 0x0
	s_add_nc_u64 s[30:31], s[4:5], s[0:1]
	s_mov_b32 s0, s3
	s_delay_alu instid0(VALU_DEP_1) | instskip(SKIP_3) | instid1(VALU_DEP_1)
	v_add_nc_u32_e32 v80, s3, v78
	s_ashr_i32 s1, s3, 31
	s_cmp_lg_u32 s29, 0x84
	s_cselect_b32 s27, -1, 0
	v_add_nc_u32_e32 v82, s3, v80
	s_cmp_eq_u32 s29, 0x84
	s_delay_alu instid0(VALU_DEP_1) | instskip(NEXT) | instid1(VALU_DEP_1)
	v_add_nc_u32_e32 v84, s3, v82
	v_add_nc_u32_e32 v86, s3, v84
	s_delay_alu instid0(VALU_DEP_1) | instskip(NEXT) | instid1(VALU_DEP_1)
	v_add_nc_u32_e32 v88, s3, v86
	v_add_nc_u32_e32 v90, s3, v88
	;; [unrolled: 3-line block ×6, first 2 shown]
	s_delay_alu instid0(VALU_DEP_1) | instskip(NEXT) | instid1(VALU_DEP_1)
	v_dual_lshlrev_b32 v34, 2, v0 :: v_dual_add_nc_u32 v112, s3, v110
	v_add_nc_u64_e32 v[102:103], s[30:31], v[34:35]
	s_delay_alu instid0(VALU_DEP_2) | instskip(NEXT) | instid1(VALU_DEP_2)
	v_dual_mov_b32 v35, -1.0 :: v_dual_add_nc_u32 v114, s3, v112
	v_lshl_add_u64 v[106:107], s[0:1], 2, v[102:103]
	v_cmp_eq_u32_e64 s0, 0, v0
	s_delay_alu instid0(VALU_DEP_3)
	v_add_nc_u32_e32 v116, s3, v114
	s_clause 0xf
	flat_load_b32 v3, v[106:107]
	flat_load_b32 v4, v66, s[30:31] scale_offset
	flat_load_b32 v5, v68, s[30:31] scale_offset
	;; [unrolled: 1-line block ×15, first 2 shown]
	v_add_nc_u32_e32 v118, s3, v116
	s_clause 0xa
	flat_load_b32 v19, v96, s[30:31] scale_offset
	flat_load_b32 v20, v98, s[30:31] scale_offset
	;; [unrolled: 1-line block ×11, first 2 shown]
	s_cbranch_scc1 .LBB90_3
; %bb.2:
	v_cmp_eq_u32_e64 s1, 1, v0
	v_cmp_eq_u32_e64 s2, 2, v0
	v_cmp_eq_u32_e64 s3, 3, v0
	v_cmp_eq_u32_e64 s4, 4, v0
	v_cmp_eq_u32_e64 s5, 5, v0
	s_wait_loadcnt_dscnt 0x202
	v_cndmask_b32_e64 v29, v2, v3, s1
	v_cmp_eq_u32_e64 s6, 6, v0
	v_cmp_eq_u32_e64 s7, 7, v0
	v_cmp_eq_u32_e64 s8, 8, v0
	v_cmp_eq_u32_e64 s9, 9, v0
	v_cndmask_b32_e64 v29, v29, v4, s2
	v_cmp_eq_u32_e64 s10, 10, v0
	v_cmp_eq_u32_e64 s11, 11, v0
	v_cmp_eq_u32_e64 s12, 12, v0
	v_cmp_eq_u32_e64 s13, 13, v0
	;; [unrolled: 5-line block ×5, first 2 shown]
	v_cndmask_b32_e64 v29, v29, v8, s6
	v_cmp_eq_u32_e64 s26, 26, v0
	s_delay_alu instid0(VALU_DEP_2) | instskip(NEXT) | instid1(VALU_DEP_1)
	v_cndmask_b32_e64 v29, v29, v9, s7
	v_cndmask_b32_e64 v29, v29, v10, s8
	s_delay_alu instid0(VALU_DEP_1) | instskip(NEXT) | instid1(VALU_DEP_1)
	v_cndmask_b32_e64 v29, v29, v11, s9
	v_cndmask_b32_e64 v29, v29, v12, s10
	s_delay_alu instid0(VALU_DEP_1) | instskip(NEXT) | instid1(VALU_DEP_1)
	;; [unrolled: 3-line block ×8, first 2 shown]
	v_cndmask_b32_e64 v29, v29, v25, s23
	v_cndmask_b32_e64 v29, v29, v26, s24
	s_wait_loadcnt_dscnt 0x101
	s_delay_alu instid0(VALU_DEP_1) | instskip(SKIP_1) | instid1(VALU_DEP_1)
	v_cndmask_b32_e64 v29, v29, v27, s25
	s_wait_loadcnt_dscnt 0x0
	v_cndmask_b32_e64 v29, v29, v28, s26
	s_delay_alu instid0(VALU_DEP_1) | instskip(SKIP_1) | instid1(VALU_DEP_2)
	v_div_scale_f32 v30, null, v29, v29, 1.0
	v_div_scale_f32 v33, vcc_lo, 1.0, v29, 1.0
	v_rcp_f32_e32 v31, v30
	v_nop
	s_delay_alu instid0(TRANS32_DEP_1) | instskip(NEXT) | instid1(VALU_DEP_1)
	v_fma_f32 v32, -v30, v31, 1.0
	v_fmac_f32_e32 v31, v32, v31
	s_delay_alu instid0(VALU_DEP_1) | instskip(NEXT) | instid1(VALU_DEP_1)
	v_mul_f32_e32 v32, v33, v31
	v_fma_f32 v35, -v30, v32, v33
	s_delay_alu instid0(VALU_DEP_1) | instskip(NEXT) | instid1(VALU_DEP_1)
	v_fmac_f32_e32 v32, v35, v31
	v_fma_f32 v30, -v30, v32, v33
	s_delay_alu instid0(VALU_DEP_1) | instskip(NEXT) | instid1(VALU_DEP_1)
	v_div_fmas_f32 v30, v30, v31, v32
	v_div_fixup_f32 v29, v30, v29, 1.0
	s_delay_alu instid0(VALU_DEP_1)
	v_dual_cndmask_b32 v28, v28, v29, s26 :: v_dual_cndmask_b32 v27, v27, v29, s25
	v_dual_cndmask_b32 v26, v26, v29, s24 :: v_dual_cndmask_b32 v25, v25, v29, s23
	;; [unrolled: 1-line block ×13, first 2 shown]
	v_cndmask_b32_e64 v2, v2, v29, s0
	v_xor_b32_e32 v35, 0x80000000, v29
.LBB90_3:
	v_dual_ashrrev_i32 v67, 31, v66 :: v_dual_ashrrev_i32 v69, 31, v68
	v_dual_ashrrev_i32 v71, 31, v70 :: v_dual_ashrrev_i32 v73, 31, v72
	;; [unrolled: 1-line block ×12, first 2 shown]
	v_ashrrev_i32_e32 v117, 31, v116
	v_add_nc_u32_e32 v123, 0x70, v34
	s_cmp_eq_u32 s28, 0x79
	ds_store_b32 v34, v35
	s_cbranch_scc1 .LBB90_7
; %bb.4:
	s_wait_loadcnt_dscnt 0x1
	v_mov_b64_e32 v[64:65], v[32:33]
	v_mov_b64_e32 v[62:63], v[30:31]
	;; [unrolled: 1-line block ×16, first 2 shown]
	v_cmp_eq_u32_e64 s1, 26, v0
	ds_store_b32 v123, v27
	s_wait_dscnt 0x0
	s_barrier_signal -1
	s_barrier_wait -1
	s_and_saveexec_b32 s0, s1
	s_cbranch_execz .LBB90_11
; %bb.5:
	s_and_b32 vcc_lo, exec_lo, s27
	s_cbranch_vccz .LBB90_8
; %bb.6:
	v_cmp_eq_u32_e32 vcc_lo, 1, v0
	ds_load_b32 v35, v123
	v_cndmask_b32_e32 v34, v2, v3, vcc_lo
	v_cmp_eq_u32_e32 vcc_lo, 2, v0
	s_delay_alu instid0(VALU_DEP_2) | instskip(SKIP_1) | instid1(VALU_DEP_2)
	v_cndmask_b32_e32 v34, v34, v4, vcc_lo
	v_cmp_eq_u32_e32 vcc_lo, 3, v0
	v_cndmask_b32_e32 v34, v34, v5, vcc_lo
	v_cmp_eq_u32_e32 vcc_lo, 4, v0
	s_delay_alu instid0(VALU_DEP_2) | instskip(SKIP_1) | instid1(VALU_DEP_2)
	v_cndmask_b32_e32 v34, v34, v6, vcc_lo
	v_cmp_eq_u32_e32 vcc_lo, 5, v0
	v_cndmask_b32_e32 v34, v34, v7, vcc_lo
	v_cmp_eq_u32_e32 vcc_lo, 6, v0
	s_delay_alu instid0(VALU_DEP_2) | instskip(SKIP_1) | instid1(VALU_DEP_2)
	v_cndmask_b32_e32 v34, v34, v8, vcc_lo
	v_cmp_eq_u32_e32 vcc_lo, 7, v0
	v_cndmask_b32_e32 v34, v34, v9, vcc_lo
	v_cmp_eq_u32_e32 vcc_lo, 8, v0
	s_delay_alu instid0(VALU_DEP_2) | instskip(SKIP_1) | instid1(VALU_DEP_2)
	v_cndmask_b32_e32 v34, v34, v10, vcc_lo
	v_cmp_eq_u32_e32 vcc_lo, 9, v0
	v_cndmask_b32_e32 v34, v34, v11, vcc_lo
	v_cmp_eq_u32_e32 vcc_lo, 10, v0
	s_delay_alu instid0(VALU_DEP_2) | instskip(SKIP_1) | instid1(VALU_DEP_2)
	v_cndmask_b32_e32 v34, v34, v12, vcc_lo
	v_cmp_eq_u32_e32 vcc_lo, 11, v0
	v_cndmask_b32_e32 v34, v34, v13, vcc_lo
	v_cmp_eq_u32_e32 vcc_lo, 12, v0
	s_delay_alu instid0(VALU_DEP_2) | instskip(SKIP_1) | instid1(VALU_DEP_2)
	v_cndmask_b32_e32 v34, v34, v14, vcc_lo
	v_cmp_eq_u32_e32 vcc_lo, 13, v0
	v_cndmask_b32_e32 v34, v34, v15, vcc_lo
	v_cmp_eq_u32_e32 vcc_lo, 14, v0
	s_delay_alu instid0(VALU_DEP_2) | instskip(SKIP_1) | instid1(VALU_DEP_2)
	v_cndmask_b32_e32 v34, v34, v16, vcc_lo
	v_cmp_eq_u32_e32 vcc_lo, 15, v0
	v_cndmask_b32_e32 v34, v34, v17, vcc_lo
	v_cmp_eq_u32_e32 vcc_lo, 16, v0
	s_delay_alu instid0(VALU_DEP_2) | instskip(SKIP_1) | instid1(VALU_DEP_2)
	v_cndmask_b32_e32 v34, v34, v18, vcc_lo
	v_cmp_eq_u32_e32 vcc_lo, 17, v0
	v_cndmask_b32_e32 v34, v34, v19, vcc_lo
	v_cmp_eq_u32_e32 vcc_lo, 18, v0
	s_delay_alu instid0(VALU_DEP_2) | instskip(SKIP_1) | instid1(VALU_DEP_2)
	v_cndmask_b32_e32 v34, v34, v20, vcc_lo
	v_cmp_eq_u32_e32 vcc_lo, 19, v0
	v_cndmask_b32_e32 v34, v34, v21, vcc_lo
	v_cmp_eq_u32_e32 vcc_lo, 20, v0
	s_delay_alu instid0(VALU_DEP_2) | instskip(SKIP_1) | instid1(VALU_DEP_2)
	v_cndmask_b32_e32 v34, v34, v22, vcc_lo
	v_cmp_eq_u32_e32 vcc_lo, 21, v0
	v_cndmask_b32_e32 v34, v34, v23, vcc_lo
	v_cmp_eq_u32_e32 vcc_lo, 22, v0
	s_delay_alu instid0(VALU_DEP_2) | instskip(SKIP_1) | instid1(VALU_DEP_2)
	v_cndmask_b32_e32 v34, v34, v24, vcc_lo
	v_cmp_eq_u32_e32 vcc_lo, 23, v0
	v_cndmask_b32_e32 v34, v34, v25, vcc_lo
	v_cmp_eq_u32_e32 vcc_lo, 24, v0
	s_delay_alu instid0(VALU_DEP_2) | instskip(SKIP_1) | instid1(VALU_DEP_2)
	v_cndmask_b32_e32 v34, v34, v26, vcc_lo
	v_cmp_eq_u32_e32 vcc_lo, 25, v0
	v_cndmask_b32_e32 v34, v34, v27, vcc_lo
	v_cmp_eq_u32_e32 vcc_lo, 26, v0
	s_delay_alu instid0(VALU_DEP_2) | instskip(SKIP_1) | instid1(VALU_DEP_1)
	v_cndmask_b32_e32 v34, v34, v28, vcc_lo
	s_wait_dscnt 0x0
	v_mul_f32_e32 v57, v34, v35
	s_cbranch_execz .LBB90_9
	s_branch .LBB90_10
.LBB90_7:
                                        ; implicit-def: $vgpr34_vgpr35_vgpr36_vgpr37_vgpr38_vgpr39_vgpr40_vgpr41_vgpr42_vgpr43_vgpr44_vgpr45_vgpr46_vgpr47_vgpr48_vgpr49_vgpr50_vgpr51_vgpr52_vgpr53_vgpr54_vgpr55_vgpr56_vgpr57_vgpr58_vgpr59_vgpr60_vgpr61_vgpr62_vgpr63_vgpr64_vgpr65
	s_cbranch_execnz .LBB90_402
	s_branch .LBB90_665
.LBB90_8:
                                        ; implicit-def: $vgpr57
.LBB90_9:
	ds_load_b32 v57, v123
.LBB90_10:
	v_dual_mov_b32 v38, 0 :: v_dual_mov_b32 v34, v2
	v_dual_mov_b32 v35, v3 :: v_dual_mov_b32 v36, v4
	v_mov_b32_e32 v37, v5
	ds_load_b32 v58, v38 offset:100
	v_dual_mov_b32 v38, v6 :: v_dual_mov_b32 v39, v7
	v_dual_mov_b32 v40, v8 :: v_dual_mov_b32 v41, v9
	;; [unrolled: 1-line block ×9, first 2 shown]
	s_wait_dscnt 0x0
	v_dual_mov_b32 v56, v24 :: v_dual_mul_f32 v59, v57, v58
	v_dual_mov_b32 v58, v26 :: v_dual_mov_b32 v57, v25
	v_mov_b32_e32 v60, v28
.LBB90_11:
	s_or_b32 exec_lo, exec_lo, s0
	v_cmp_lt_u32_e64 s0, 24, v0
	ds_store_b32 v123, v58
	s_wait_dscnt 0x0
	s_barrier_signal -1
	s_barrier_wait -1
	s_and_saveexec_b32 s2, s0
	s_cbranch_execz .LBB90_17
; %bb.12:
	s_and_not1_b32 vcc_lo, exec_lo, s27
	s_cbranch_vccnz .LBB90_14
; %bb.13:
	v_cmp_eq_u32_e32 vcc_lo, 1, v0
	ds_load_b32 v62, v123
	v_cndmask_b32_e32 v61, v34, v35, vcc_lo
	v_cmp_eq_u32_e32 vcc_lo, 2, v0
	s_delay_alu instid0(VALU_DEP_2) | instskip(SKIP_1) | instid1(VALU_DEP_2)
	v_cndmask_b32_e32 v61, v61, v36, vcc_lo
	v_cmp_eq_u32_e32 vcc_lo, 3, v0
	v_cndmask_b32_e32 v61, v61, v37, vcc_lo
	v_cmp_eq_u32_e32 vcc_lo, 4, v0
	s_delay_alu instid0(VALU_DEP_2) | instskip(SKIP_1) | instid1(VALU_DEP_2)
	v_cndmask_b32_e32 v61, v61, v38, vcc_lo
	v_cmp_eq_u32_e32 vcc_lo, 5, v0
	;; [unrolled: 5-line block ×12, first 2 shown]
	v_cndmask_b32_e32 v58, v58, v59, vcc_lo
	v_cmp_eq_u32_e32 vcc_lo, 26, v0
	s_delay_alu instid0(VALU_DEP_2) | instskip(SKIP_1) | instid1(VALU_DEP_1)
	v_cndmask_b32_e32 v58, v58, v60, vcc_lo
	s_wait_dscnt 0x0
	v_mul_f32_e32 v58, v58, v62
	s_cbranch_execz .LBB90_15
	s_branch .LBB90_16
.LBB90_14:
                                        ; implicit-def: $vgpr58
.LBB90_15:
	ds_load_b32 v58, v123
.LBB90_16:
	v_mov_b32_e32 v61, 0
	ds_load_2addr_b32 v[62:63], v61 offset0:24 offset1:53
	s_wait_dscnt 0x0
	v_fma_f32 v61, v59, v63, v58
	s_delay_alu instid0(VALU_DEP_1) | instskip(NEXT) | instid1(VALU_DEP_1)
	v_cndmask_b32_e64 v58, v58, v61, s1
	v_mul_f32_e32 v58, v58, v62
.LBB90_17:
	s_or_b32 exec_lo, exec_lo, s2
	v_cmp_lt_u32_e64 s1, 23, v0
	ds_store_b32 v123, v57
	s_wait_dscnt 0x0
	s_barrier_signal -1
	s_barrier_wait -1
	s_and_saveexec_b32 s4, s1
	s_cbranch_execz .LBB90_33
; %bb.18:
	s_and_not1_b32 vcc_lo, exec_lo, s27
	s_cbranch_vccnz .LBB90_20
; %bb.19:
	v_cmp_eq_u32_e32 vcc_lo, 1, v0
	ds_load_b32 v121, v123
	v_cndmask_b32_e32 v120, v34, v35, vcc_lo
	v_cmp_eq_u32_e32 vcc_lo, 2, v0
	s_delay_alu instid0(VALU_DEP_2) | instskip(SKIP_1) | instid1(VALU_DEP_2)
	v_cndmask_b32_e32 v120, v120, v36, vcc_lo
	v_cmp_eq_u32_e32 vcc_lo, 3, v0
	v_cndmask_b32_e32 v120, v120, v37, vcc_lo
	v_cmp_eq_u32_e32 vcc_lo, 4, v0
	s_delay_alu instid0(VALU_DEP_2) | instskip(SKIP_1) | instid1(VALU_DEP_2)
	v_cndmask_b32_e32 v120, v120, v38, vcc_lo
	v_cmp_eq_u32_e32 vcc_lo, 5, v0
	;; [unrolled: 5-line block ×12, first 2 shown]
	v_cndmask_b32_e32 v120, v120, v59, vcc_lo
	v_cmp_eq_u32_e32 vcc_lo, 26, v0
	s_delay_alu instid0(VALU_DEP_2) | instskip(SKIP_1) | instid1(VALU_DEP_1)
	v_cndmask_b32_e32 v120, v120, v60, vcc_lo
	s_wait_dscnt 0x0
	v_mul_f32_e32 v124, v120, v121
	s_cbranch_execz .LBB90_21
	s_branch .LBB90_22
.LBB90_20:
                                        ; implicit-def: $vgpr124
.LBB90_21:
	ds_load_b32 v124, v123
.LBB90_22:
	s_and_saveexec_b32 s5, s0
	s_cbranch_execz .LBB90_32
; %bb.23:
	v_subrev_nc_u32_e32 v120, 25, v0
	s_delay_alu instid0(VALU_DEP_1)
	v_cmp_lt_u32_e32 vcc_lo, 6, v120
	v_mov_b32_e32 v120, 24
	s_and_saveexec_b32 s0, vcc_lo
	s_cbranch_execz .LBB90_27
; %bb.24:
	v_and_b32_e32 v120, 24, v0
	s_mov_b32 s6, 0
	s_mov_b64 s[2:3], 31
	s_movk_i32 s7, 0xd0
	s_delay_alu instid0(VALU_DEP_1)
	v_sub_nc_u32_e32 v122, 0, v120
.LBB90_25:                              ; =>This Inner Loop Header: Depth=1
	s_add_co_i32 m0, s2, -7
	v_movrels_b32_e32 v121, v34
	v_mov_b32_e32 v120, s7
	s_add_co_i32 m0, s2, -6
	s_add_co_i32 s7, s7, 32
	v_movrels_b32_e32 v125, v34
	s_add_co_i32 m0, s2, -5
	ds_load_b128 v[126:129], v120
	ds_load_b128 v[130:133], v120 offset:16
	v_movrels_b32_e32 v120, v34
	s_add_co_i32 m0, s2, -4
	s_wait_dscnt 0x1
	v_fmac_f32_e32 v124, v121, v126
	v_movrels_b32_e32 v121, v34
	s_add_co_i32 m0, s2, -3
	s_delay_alu instid0(VALU_DEP_2) | instskip(NEXT) | instid1(VALU_DEP_1)
	v_fmac_f32_e32 v124, v125, v127
	v_fmac_f32_e32 v124, v120, v128
	v_movrels_b32_e32 v120, v34
	s_add_co_i32 m0, s2, -2
	s_delay_alu instid0(VALU_DEP_2) | instskip(SKIP_3) | instid1(VALU_DEP_2)
	v_fmac_f32_e32 v124, v121, v129
	v_movrels_b32_e32 v121, v34
	s_add_co_i32 m0, s2, -1
	s_wait_dscnt 0x0
	v_fmac_f32_e32 v124, v120, v130
	v_movrels_b32_e32 v120, v34
	s_mov_b32 m0, s2
	s_add_nc_u64 s[2:3], s[2:3], 8
	v_movrels_b32_e32 v125, v34
	v_dual_fmac_f32 v124, v121, v131 :: v_dual_add_nc_u32 v121, s2, v122
	s_add_co_i32 s8, s2, -7
	s_delay_alu instid0(VALU_DEP_1) | instskip(NEXT) | instid1(VALU_DEP_2)
	v_fmac_f32_e32 v124, v120, v132
	v_cmp_eq_u32_e32 vcc_lo, 7, v121
	s_delay_alu instid0(VALU_DEP_2) | instskip(SKIP_1) | instid1(SALU_CYCLE_1)
	v_dual_mov_b32 v120, s8 :: v_dual_fmac_f32 v124, v125, v133
	s_or_b32 s6, vcc_lo, s6
	s_and_not1_b32 exec_lo, exec_lo, s6
	s_cbranch_execnz .LBB90_25
; %bb.26:
	s_or_b32 exec_lo, exec_lo, s6
.LBB90_27:
	s_delay_alu instid0(SALU_CYCLE_1) | instskip(SKIP_3) | instid1(VALU_DEP_1)
	s_or_b32 exec_lo, exec_lo, s0
	v_and_b32_e32 v61, 7, v0
	s_mov_b32 s2, 0
	s_mov_b32 s0, exec_lo
	v_cmpx_ne_u32_e32 0, v61
	s_cbranch_execz .LBB90_31
; %bb.28:
	v_lshl_add_u32 v62, v120, 2, 0x70
	v_mov_b32_e32 v121, 0
.LBB90_29:                              ; =>This Inner Loop Header: Depth=1
	v_cmp_eq_u32_e32 vcc_lo, 1, v120
	ds_load_b32 v64, v62
	v_dual_add_nc_u32 v61, -1, v61 :: v_dual_add_nc_u32 v62, 4, v62
	v_cndmask_b32_e32 v63, v34, v35, vcc_lo
	v_cmp_eq_u32_e32 vcc_lo, 2, v120
	s_delay_alu instid0(VALU_DEP_2) | instskip(SKIP_1) | instid1(VALU_DEP_2)
	v_cndmask_b32_e32 v63, v63, v36, vcc_lo
	v_cmp_eq_u32_e32 vcc_lo, 3, v120
	v_cndmask_b32_e32 v63, v63, v37, vcc_lo
	v_cmp_eq_u32_e32 vcc_lo, 4, v120
	s_delay_alu instid0(VALU_DEP_2) | instskip(SKIP_1) | instid1(VALU_DEP_2)
	v_cndmask_b32_e32 v63, v63, v38, vcc_lo
	v_cmp_eq_u32_e32 vcc_lo, 5, v120
	v_cndmask_b32_e32 v63, v63, v39, vcc_lo
	v_cmp_eq_u32_e32 vcc_lo, 6, v120
	s_delay_alu instid0(VALU_DEP_2) | instskip(SKIP_1) | instid1(VALU_DEP_2)
	v_cndmask_b32_e32 v63, v63, v40, vcc_lo
	v_cmp_eq_u32_e32 vcc_lo, 7, v120
	v_cndmask_b32_e32 v63, v63, v41, vcc_lo
	v_cmp_eq_u32_e32 vcc_lo, 8, v120
	s_delay_alu instid0(VALU_DEP_2) | instskip(SKIP_1) | instid1(VALU_DEP_2)
	v_cndmask_b32_e32 v63, v63, v42, vcc_lo
	v_cmp_eq_u32_e32 vcc_lo, 9, v120
	v_cndmask_b32_e32 v63, v63, v43, vcc_lo
	v_cmp_eq_u32_e32 vcc_lo, 10, v120
	s_delay_alu instid0(VALU_DEP_2) | instskip(SKIP_1) | instid1(VALU_DEP_2)
	v_cndmask_b32_e32 v63, v63, v44, vcc_lo
	v_cmp_eq_u32_e32 vcc_lo, 11, v120
	v_cndmask_b32_e32 v63, v63, v45, vcc_lo
	v_cmp_eq_u32_e32 vcc_lo, 12, v120
	s_delay_alu instid0(VALU_DEP_2) | instskip(SKIP_1) | instid1(VALU_DEP_2)
	v_cndmask_b32_e32 v63, v63, v46, vcc_lo
	v_cmp_eq_u32_e32 vcc_lo, 13, v120
	v_cndmask_b32_e32 v63, v63, v47, vcc_lo
	v_cmp_eq_u32_e32 vcc_lo, 14, v120
	s_delay_alu instid0(VALU_DEP_2) | instskip(SKIP_1) | instid1(VALU_DEP_2)
	v_cndmask_b32_e32 v63, v63, v48, vcc_lo
	v_cmp_eq_u32_e32 vcc_lo, 15, v120
	v_cndmask_b32_e32 v63, v63, v49, vcc_lo
	v_cmp_eq_u32_e32 vcc_lo, 16, v120
	s_delay_alu instid0(VALU_DEP_2) | instskip(SKIP_1) | instid1(VALU_DEP_2)
	v_cndmask_b32_e32 v63, v63, v50, vcc_lo
	v_cmp_eq_u32_e32 vcc_lo, 17, v120
	v_cndmask_b32_e32 v63, v63, v51, vcc_lo
	v_cmp_eq_u32_e32 vcc_lo, 18, v120
	s_delay_alu instid0(VALU_DEP_2) | instskip(SKIP_1) | instid1(VALU_DEP_2)
	v_cndmask_b32_e32 v63, v63, v52, vcc_lo
	v_cmp_eq_u32_e32 vcc_lo, 19, v120
	v_cndmask_b32_e32 v63, v63, v53, vcc_lo
	v_cmp_eq_u32_e32 vcc_lo, 20, v120
	s_delay_alu instid0(VALU_DEP_2) | instskip(SKIP_1) | instid1(VALU_DEP_2)
	v_cndmask_b32_e32 v63, v63, v54, vcc_lo
	v_cmp_eq_u32_e32 vcc_lo, 21, v120
	v_cndmask_b32_e32 v63, v63, v55, vcc_lo
	v_cmp_eq_u32_e32 vcc_lo, 22, v120
	s_delay_alu instid0(VALU_DEP_2) | instskip(SKIP_1) | instid1(VALU_DEP_2)
	v_cndmask_b32_e32 v63, v63, v56, vcc_lo
	v_cmp_eq_u32_e32 vcc_lo, 23, v120
	v_cndmask_b32_e32 v63, v63, v57, vcc_lo
	v_cmp_eq_u32_e32 vcc_lo, 24, v120
	s_delay_alu instid0(VALU_DEP_2) | instskip(SKIP_1) | instid1(VALU_DEP_2)
	v_cndmask_b32_e32 v63, v63, v58, vcc_lo
	v_cmp_eq_u32_e32 vcc_lo, 25, v120
	v_cndmask_b32_e32 v63, v63, v59, vcc_lo
	v_cmp_eq_u32_e32 vcc_lo, 26, v120
	v_add_nc_u64_e32 v[120:121], 1, v[120:121]
	s_delay_alu instid0(VALU_DEP_3) | instskip(SKIP_2) | instid1(VALU_DEP_2)
	v_cndmask_b32_e32 v63, v63, v60, vcc_lo
	v_cmp_eq_u32_e32 vcc_lo, 0, v61
	s_wait_dscnt 0x0
	v_fmac_f32_e32 v124, v63, v64
	s_or_b32 s2, vcc_lo, s2
	s_delay_alu instid0(SALU_CYCLE_1)
	s_and_not1_b32 exec_lo, exec_lo, s2
	s_cbranch_execnz .LBB90_29
; %bb.30:
	s_or_b32 exec_lo, exec_lo, s2
.LBB90_31:
	s_delay_alu instid0(SALU_CYCLE_1)
	s_or_b32 exec_lo, exec_lo, s0
.LBB90_32:
	s_delay_alu instid0(SALU_CYCLE_1)
	s_or_b32 exec_lo, exec_lo, s5
	v_mov_b32_e32 v57, 0
	ds_load_b32 v57, v57 offset:92
	s_wait_dscnt 0x0
	v_mul_f32_e32 v57, v124, v57
.LBB90_33:
	s_or_b32 exec_lo, exec_lo, s4
	v_cmp_lt_u32_e64 s0, 22, v0
	ds_store_b32 v123, v56
	s_wait_dscnt 0x0
	s_barrier_signal -1
	s_barrier_wait -1
	s_and_saveexec_b32 s4, s0
	s_cbranch_execz .LBB90_49
; %bb.34:
	s_and_not1_b32 vcc_lo, exec_lo, s27
	s_cbranch_vccnz .LBB90_36
; %bb.35:
	v_cmp_eq_u32_e32 vcc_lo, 1, v0
	ds_load_b32 v121, v123
	v_cndmask_b32_e32 v120, v34, v35, vcc_lo
	v_cmp_eq_u32_e32 vcc_lo, 2, v0
	s_delay_alu instid0(VALU_DEP_2) | instskip(SKIP_1) | instid1(VALU_DEP_2)
	v_cndmask_b32_e32 v120, v120, v36, vcc_lo
	v_cmp_eq_u32_e32 vcc_lo, 3, v0
	v_cndmask_b32_e32 v120, v120, v37, vcc_lo
	v_cmp_eq_u32_e32 vcc_lo, 4, v0
	s_delay_alu instid0(VALU_DEP_2) | instskip(SKIP_1) | instid1(VALU_DEP_2)
	v_cndmask_b32_e32 v120, v120, v38, vcc_lo
	v_cmp_eq_u32_e32 vcc_lo, 5, v0
	;; [unrolled: 5-line block ×12, first 2 shown]
	v_cndmask_b32_e32 v120, v120, v59, vcc_lo
	v_cmp_eq_u32_e32 vcc_lo, 26, v0
	s_delay_alu instid0(VALU_DEP_2) | instskip(SKIP_1) | instid1(VALU_DEP_1)
	v_cndmask_b32_e32 v120, v120, v60, vcc_lo
	s_wait_dscnt 0x0
	v_mul_f32_e32 v124, v120, v121
	s_cbranch_execz .LBB90_37
	s_branch .LBB90_38
.LBB90_36:
                                        ; implicit-def: $vgpr124
.LBB90_37:
	ds_load_b32 v124, v123
.LBB90_38:
	s_and_saveexec_b32 s5, s1
	s_cbranch_execz .LBB90_48
; %bb.39:
	v_subrev_nc_u32_e32 v122, 24, v0
	v_mov_b32_e32 v120, 23
	v_subrev_nc_u32_e32 v121, 23, v0
	s_mov_b32 s1, exec_lo
	s_delay_alu instid0(VALU_DEP_3)
	v_cmpx_lt_u32_e32 6, v122
	s_cbranch_execz .LBB90_43
; %bb.40:
	s_delay_alu instid0(VALU_DEP_2) | instskip(SKIP_3) | instid1(VALU_DEP_1)
	v_and_b32_e32 v120, -8, v121
	s_mov_b32 s6, 0
	s_mov_b64 s[2:3], 30
	s_movk_i32 s7, 0xcc
	v_sub_nc_u32_e32 v122, 0, v120
.LBB90_41:                              ; =>This Inner Loop Header: Depth=1
	s_add_co_i32 m0, s2, -7
	v_movrels_b32_e32 v125, v34
	v_mov_b32_e32 v120, s7
	s_add_co_i32 m0, s2, -6
	s_add_co_i32 s7, s7, 32
	v_movrels_b32_e32 v134, v34
	ds_load_2addr_b32 v[126:127], v120 offset1:1
	ds_load_2addr_b32 v[128:129], v120 offset0:2 offset1:3
	s_add_co_i32 m0, s2, -5
	s_wait_dscnt 0x1
	v_fmac_f32_e32 v124, v125, v126
	ds_load_2addr_b32 v[130:131], v120 offset0:4 offset1:5
	ds_load_2addr_b32 v[132:133], v120 offset0:6 offset1:7
	v_movrels_b32_e32 v120, v34
	s_add_co_i32 m0, s2, -4
	v_fmac_f32_e32 v124, v134, v127
	v_movrels_b32_e32 v125, v34
	s_add_co_i32 m0, s2, -3
	s_wait_dscnt 0x2
	s_delay_alu instid0(VALU_DEP_2) | instskip(SKIP_2) | instid1(VALU_DEP_2)
	v_fmac_f32_e32 v124, v120, v128
	v_movrels_b32_e32 v120, v34
	s_add_co_i32 m0, s2, -2
	v_fmac_f32_e32 v124, v125, v129
	v_movrels_b32_e32 v125, v34
	s_add_co_i32 m0, s2, -1
	s_wait_dscnt 0x1
	s_delay_alu instid0(VALU_DEP_2)
	v_fmac_f32_e32 v124, v120, v130
	v_movrels_b32_e32 v120, v34
	s_mov_b32 m0, s2
	s_add_nc_u64 s[2:3], s[2:3], 8
	v_movrels_b32_e32 v126, v34
	v_dual_fmac_f32 v124, v125, v131 :: v_dual_add_nc_u32 v125, s2, v122
	s_add_co_i32 s8, s2, -7
	s_wait_dscnt 0x0
	s_delay_alu instid0(VALU_DEP_1) | instskip(NEXT) | instid1(VALU_DEP_2)
	v_fmac_f32_e32 v124, v120, v132
	v_cmp_eq_u32_e32 vcc_lo, 30, v125
	s_delay_alu instid0(VALU_DEP_2) | instskip(SKIP_1) | instid1(SALU_CYCLE_1)
	v_dual_mov_b32 v120, s8 :: v_dual_fmac_f32 v124, v126, v133
	s_or_b32 s6, vcc_lo, s6
	s_and_not1_b32 exec_lo, exec_lo, s6
	s_cbranch_execnz .LBB90_41
; %bb.42:
	s_or_b32 exec_lo, exec_lo, s6
.LBB90_43:
	s_delay_alu instid0(SALU_CYCLE_1) | instskip(SKIP_3) | instid1(VALU_DEP_1)
	s_or_b32 exec_lo, exec_lo, s1
	v_and_b32_e32 v61, 7, v121
	s_mov_b32 s2, 0
	s_mov_b32 s1, exec_lo
	v_cmpx_ne_u32_e32 0, v61
	s_cbranch_execz .LBB90_47
; %bb.44:
	v_lshl_add_u32 v62, v120, 2, 0x70
	v_mov_b32_e32 v121, 0
.LBB90_45:                              ; =>This Inner Loop Header: Depth=1
	v_cmp_eq_u32_e32 vcc_lo, 1, v120
	ds_load_b32 v64, v62
	v_dual_add_nc_u32 v61, -1, v61 :: v_dual_add_nc_u32 v62, 4, v62
	v_cndmask_b32_e32 v63, v34, v35, vcc_lo
	v_cmp_eq_u32_e32 vcc_lo, 2, v120
	s_delay_alu instid0(VALU_DEP_2) | instskip(SKIP_1) | instid1(VALU_DEP_2)
	v_cndmask_b32_e32 v63, v63, v36, vcc_lo
	v_cmp_eq_u32_e32 vcc_lo, 3, v120
	v_cndmask_b32_e32 v63, v63, v37, vcc_lo
	v_cmp_eq_u32_e32 vcc_lo, 4, v120
	s_delay_alu instid0(VALU_DEP_2) | instskip(SKIP_1) | instid1(VALU_DEP_2)
	v_cndmask_b32_e32 v63, v63, v38, vcc_lo
	v_cmp_eq_u32_e32 vcc_lo, 5, v120
	;; [unrolled: 5-line block ×12, first 2 shown]
	v_cndmask_b32_e32 v63, v63, v59, vcc_lo
	v_cmp_eq_u32_e32 vcc_lo, 26, v120
	v_add_nc_u64_e32 v[120:121], 1, v[120:121]
	s_delay_alu instid0(VALU_DEP_3) | instskip(SKIP_2) | instid1(VALU_DEP_2)
	v_cndmask_b32_e32 v63, v63, v60, vcc_lo
	v_cmp_eq_u32_e32 vcc_lo, 0, v61
	s_wait_dscnt 0x0
	v_fmac_f32_e32 v124, v63, v64
	s_or_b32 s2, vcc_lo, s2
	s_delay_alu instid0(SALU_CYCLE_1)
	s_and_not1_b32 exec_lo, exec_lo, s2
	s_cbranch_execnz .LBB90_45
; %bb.46:
	s_or_b32 exec_lo, exec_lo, s2
.LBB90_47:
	s_delay_alu instid0(SALU_CYCLE_1)
	s_or_b32 exec_lo, exec_lo, s1
.LBB90_48:
	s_delay_alu instid0(SALU_CYCLE_1)
	s_or_b32 exec_lo, exec_lo, s5
	v_mov_b32_e32 v56, 0
	ds_load_b32 v56, v56 offset:88
	s_wait_dscnt 0x0
	v_mul_f32_e32 v56, v124, v56
.LBB90_49:
	s_or_b32 exec_lo, exec_lo, s4
	v_cmp_lt_u32_e64 s1, 21, v0
	ds_store_b32 v123, v55
	s_wait_dscnt 0x0
	s_barrier_signal -1
	s_barrier_wait -1
	s_and_saveexec_b32 s4, s1
	s_cbranch_execz .LBB90_65
; %bb.50:
	s_and_not1_b32 vcc_lo, exec_lo, s27
	s_cbranch_vccnz .LBB90_52
; %bb.51:
	v_cmp_eq_u32_e32 vcc_lo, 1, v0
	ds_load_b32 v121, v123
	v_cndmask_b32_e32 v120, v34, v35, vcc_lo
	v_cmp_eq_u32_e32 vcc_lo, 2, v0
	s_delay_alu instid0(VALU_DEP_2) | instskip(SKIP_1) | instid1(VALU_DEP_2)
	v_cndmask_b32_e32 v120, v120, v36, vcc_lo
	v_cmp_eq_u32_e32 vcc_lo, 3, v0
	v_cndmask_b32_e32 v120, v120, v37, vcc_lo
	v_cmp_eq_u32_e32 vcc_lo, 4, v0
	s_delay_alu instid0(VALU_DEP_2) | instskip(SKIP_1) | instid1(VALU_DEP_2)
	v_cndmask_b32_e32 v120, v120, v38, vcc_lo
	v_cmp_eq_u32_e32 vcc_lo, 5, v0
	;; [unrolled: 5-line block ×12, first 2 shown]
	v_cndmask_b32_e32 v120, v120, v59, vcc_lo
	v_cmp_eq_u32_e32 vcc_lo, 26, v0
	s_delay_alu instid0(VALU_DEP_2) | instskip(SKIP_1) | instid1(VALU_DEP_1)
	v_cndmask_b32_e32 v120, v120, v60, vcc_lo
	s_wait_dscnt 0x0
	v_mul_f32_e32 v124, v120, v121
	s_cbranch_execz .LBB90_53
	s_branch .LBB90_54
.LBB90_52:
                                        ; implicit-def: $vgpr124
.LBB90_53:
	ds_load_b32 v124, v123
.LBB90_54:
	s_and_saveexec_b32 s5, s0
	s_cbranch_execz .LBB90_64
; %bb.55:
	v_subrev_nc_u32_e32 v122, 23, v0
	v_mov_b32_e32 v120, 22
	v_subrev_nc_u32_e32 v121, 22, v0
	s_mov_b32 s0, exec_lo
	s_delay_alu instid0(VALU_DEP_3)
	v_cmpx_lt_u32_e32 6, v122
	s_cbranch_execz .LBB90_59
; %bb.56:
	s_delay_alu instid0(VALU_DEP_2) | instskip(SKIP_3) | instid1(VALU_DEP_1)
	v_and_b32_e32 v120, -8, v121
	s_mov_b32 s6, 0
	s_mov_b64 s[2:3], 29
	s_movk_i32 s7, 0xc8
	v_sub_nc_u32_e32 v122, 0, v120
.LBB90_57:                              ; =>This Inner Loop Header: Depth=1
	s_add_co_i32 m0, s2, -7
	v_movrels_b32_e32 v125, v34
	v_mov_b32_e32 v120, s7
	s_add_co_i32 m0, s2, -6
	s_add_co_i32 s7, s7, 32
	v_movrels_b32_e32 v134, v34
	s_add_co_i32 m0, s2, -5
	ds_load_2addr_b64 v[126:129], v120 offset1:1
	ds_load_2addr_b64 v[130:133], v120 offset0:2 offset1:3
	v_movrels_b32_e32 v120, v34
	s_add_co_i32 m0, s2, -4
	s_wait_dscnt 0x1
	v_fmac_f32_e32 v124, v125, v126
	v_movrels_b32_e32 v125, v34
	s_add_co_i32 m0, s2, -3
	s_delay_alu instid0(VALU_DEP_2) | instskip(NEXT) | instid1(VALU_DEP_1)
	v_fmac_f32_e32 v124, v134, v127
	v_fmac_f32_e32 v124, v120, v128
	v_movrels_b32_e32 v120, v34
	s_add_co_i32 m0, s2, -2
	s_delay_alu instid0(VALU_DEP_2) | instskip(SKIP_3) | instid1(VALU_DEP_2)
	v_fmac_f32_e32 v124, v125, v129
	v_movrels_b32_e32 v125, v34
	s_add_co_i32 m0, s2, -1
	s_wait_dscnt 0x0
	v_fmac_f32_e32 v124, v120, v130
	v_movrels_b32_e32 v120, v34
	s_mov_b32 m0, s2
	s_add_nc_u64 s[2:3], s[2:3], 8
	v_movrels_b32_e32 v126, v34
	v_dual_fmac_f32 v124, v125, v131 :: v_dual_add_nc_u32 v125, s2, v122
	s_add_co_i32 s8, s2, -7
	s_delay_alu instid0(VALU_DEP_1) | instskip(NEXT) | instid1(VALU_DEP_2)
	v_fmac_f32_e32 v124, v120, v132
	v_cmp_eq_u32_e32 vcc_lo, 29, v125
	s_delay_alu instid0(VALU_DEP_2) | instskip(SKIP_1) | instid1(SALU_CYCLE_1)
	v_dual_mov_b32 v120, s8 :: v_dual_fmac_f32 v124, v126, v133
	s_or_b32 s6, vcc_lo, s6
	s_and_not1_b32 exec_lo, exec_lo, s6
	s_cbranch_execnz .LBB90_57
; %bb.58:
	s_or_b32 exec_lo, exec_lo, s6
.LBB90_59:
	s_delay_alu instid0(SALU_CYCLE_1) | instskip(SKIP_3) | instid1(VALU_DEP_1)
	s_or_b32 exec_lo, exec_lo, s0
	v_and_b32_e32 v61, 7, v121
	s_mov_b32 s2, 0
	s_mov_b32 s0, exec_lo
	v_cmpx_ne_u32_e32 0, v61
	s_cbranch_execz .LBB90_63
; %bb.60:
	v_lshl_add_u32 v62, v120, 2, 0x70
	v_mov_b32_e32 v121, 0
.LBB90_61:                              ; =>This Inner Loop Header: Depth=1
	v_cmp_eq_u32_e32 vcc_lo, 1, v120
	ds_load_b32 v64, v62
	v_dual_add_nc_u32 v61, -1, v61 :: v_dual_add_nc_u32 v62, 4, v62
	v_cndmask_b32_e32 v63, v34, v35, vcc_lo
	v_cmp_eq_u32_e32 vcc_lo, 2, v120
	s_delay_alu instid0(VALU_DEP_2) | instskip(SKIP_1) | instid1(VALU_DEP_2)
	v_cndmask_b32_e32 v63, v63, v36, vcc_lo
	v_cmp_eq_u32_e32 vcc_lo, 3, v120
	v_cndmask_b32_e32 v63, v63, v37, vcc_lo
	v_cmp_eq_u32_e32 vcc_lo, 4, v120
	s_delay_alu instid0(VALU_DEP_2) | instskip(SKIP_1) | instid1(VALU_DEP_2)
	v_cndmask_b32_e32 v63, v63, v38, vcc_lo
	v_cmp_eq_u32_e32 vcc_lo, 5, v120
	;; [unrolled: 5-line block ×12, first 2 shown]
	v_cndmask_b32_e32 v63, v63, v59, vcc_lo
	v_cmp_eq_u32_e32 vcc_lo, 26, v120
	v_add_nc_u64_e32 v[120:121], 1, v[120:121]
	s_delay_alu instid0(VALU_DEP_3) | instskip(SKIP_2) | instid1(VALU_DEP_2)
	v_cndmask_b32_e32 v63, v63, v60, vcc_lo
	v_cmp_eq_u32_e32 vcc_lo, 0, v61
	s_wait_dscnt 0x0
	v_fmac_f32_e32 v124, v63, v64
	s_or_b32 s2, vcc_lo, s2
	s_delay_alu instid0(SALU_CYCLE_1)
	s_and_not1_b32 exec_lo, exec_lo, s2
	s_cbranch_execnz .LBB90_61
; %bb.62:
	s_or_b32 exec_lo, exec_lo, s2
.LBB90_63:
	s_delay_alu instid0(SALU_CYCLE_1)
	s_or_b32 exec_lo, exec_lo, s0
.LBB90_64:
	s_delay_alu instid0(SALU_CYCLE_1)
	s_or_b32 exec_lo, exec_lo, s5
	v_mov_b32_e32 v55, 0
	ds_load_b32 v55, v55 offset:84
	s_wait_dscnt 0x0
	v_mul_f32_e32 v55, v124, v55
.LBB90_65:
	s_or_b32 exec_lo, exec_lo, s4
	v_cmp_lt_u32_e64 s0, 20, v0
	ds_store_b32 v123, v54
	s_wait_dscnt 0x0
	s_barrier_signal -1
	s_barrier_wait -1
	s_and_saveexec_b32 s4, s0
	s_cbranch_execz .LBB90_81
; %bb.66:
	s_and_not1_b32 vcc_lo, exec_lo, s27
	s_cbranch_vccnz .LBB90_68
; %bb.67:
	v_cmp_eq_u32_e32 vcc_lo, 1, v0
	ds_load_b32 v121, v123
	v_cndmask_b32_e32 v120, v34, v35, vcc_lo
	v_cmp_eq_u32_e32 vcc_lo, 2, v0
	s_delay_alu instid0(VALU_DEP_2) | instskip(SKIP_1) | instid1(VALU_DEP_2)
	v_cndmask_b32_e32 v120, v120, v36, vcc_lo
	v_cmp_eq_u32_e32 vcc_lo, 3, v0
	v_cndmask_b32_e32 v120, v120, v37, vcc_lo
	v_cmp_eq_u32_e32 vcc_lo, 4, v0
	s_delay_alu instid0(VALU_DEP_2) | instskip(SKIP_1) | instid1(VALU_DEP_2)
	v_cndmask_b32_e32 v120, v120, v38, vcc_lo
	v_cmp_eq_u32_e32 vcc_lo, 5, v0
	;; [unrolled: 5-line block ×12, first 2 shown]
	v_cndmask_b32_e32 v120, v120, v59, vcc_lo
	v_cmp_eq_u32_e32 vcc_lo, 26, v0
	s_delay_alu instid0(VALU_DEP_2) | instskip(SKIP_1) | instid1(VALU_DEP_1)
	v_cndmask_b32_e32 v120, v120, v60, vcc_lo
	s_wait_dscnt 0x0
	v_mul_f32_e32 v124, v120, v121
	s_cbranch_execz .LBB90_69
	s_branch .LBB90_70
.LBB90_68:
                                        ; implicit-def: $vgpr124
.LBB90_69:
	ds_load_b32 v124, v123
.LBB90_70:
	s_and_saveexec_b32 s5, s1
	s_cbranch_execz .LBB90_80
; %bb.71:
	v_subrev_nc_u32_e32 v122, 22, v0
	v_mov_b32_e32 v120, 21
	v_subrev_nc_u32_e32 v121, 21, v0
	s_mov_b32 s1, exec_lo
	s_delay_alu instid0(VALU_DEP_3)
	v_cmpx_lt_u32_e32 6, v122
	s_cbranch_execz .LBB90_75
; %bb.72:
	s_delay_alu instid0(VALU_DEP_2) | instskip(SKIP_3) | instid1(VALU_DEP_1)
	v_and_b32_e32 v120, -8, v121
	s_mov_b32 s6, 0
	s_mov_b64 s[2:3], 28
	s_movk_i32 s7, 0xc4
	v_sub_nc_u32_e32 v122, 0, v120
.LBB90_73:                              ; =>This Inner Loop Header: Depth=1
	s_add_co_i32 m0, s2, -7
	v_movrels_b32_e32 v125, v34
	v_mov_b32_e32 v120, s7
	s_add_co_i32 m0, s2, -6
	s_add_co_i32 s7, s7, 32
	v_movrels_b32_e32 v134, v34
	ds_load_2addr_b32 v[126:127], v120 offset1:1
	ds_load_2addr_b32 v[128:129], v120 offset0:2 offset1:3
	s_add_co_i32 m0, s2, -5
	s_wait_dscnt 0x1
	v_fmac_f32_e32 v124, v125, v126
	ds_load_2addr_b32 v[130:131], v120 offset0:4 offset1:5
	ds_load_2addr_b32 v[132:133], v120 offset0:6 offset1:7
	v_movrels_b32_e32 v120, v34
	s_add_co_i32 m0, s2, -4
	v_fmac_f32_e32 v124, v134, v127
	v_movrels_b32_e32 v125, v34
	s_add_co_i32 m0, s2, -3
	s_wait_dscnt 0x2
	s_delay_alu instid0(VALU_DEP_2) | instskip(SKIP_2) | instid1(VALU_DEP_2)
	v_fmac_f32_e32 v124, v120, v128
	v_movrels_b32_e32 v120, v34
	s_add_co_i32 m0, s2, -2
	v_fmac_f32_e32 v124, v125, v129
	v_movrels_b32_e32 v125, v34
	s_add_co_i32 m0, s2, -1
	s_wait_dscnt 0x1
	s_delay_alu instid0(VALU_DEP_2)
	v_fmac_f32_e32 v124, v120, v130
	v_movrels_b32_e32 v120, v34
	s_mov_b32 m0, s2
	s_add_nc_u64 s[2:3], s[2:3], 8
	v_movrels_b32_e32 v126, v34
	v_dual_fmac_f32 v124, v125, v131 :: v_dual_add_nc_u32 v125, s2, v122
	s_add_co_i32 s8, s2, -7
	s_wait_dscnt 0x0
	s_delay_alu instid0(VALU_DEP_1) | instskip(NEXT) | instid1(VALU_DEP_2)
	v_fmac_f32_e32 v124, v120, v132
	v_cmp_eq_u32_e32 vcc_lo, 28, v125
	s_delay_alu instid0(VALU_DEP_2) | instskip(SKIP_1) | instid1(SALU_CYCLE_1)
	v_dual_mov_b32 v120, s8 :: v_dual_fmac_f32 v124, v126, v133
	s_or_b32 s6, vcc_lo, s6
	s_and_not1_b32 exec_lo, exec_lo, s6
	s_cbranch_execnz .LBB90_73
; %bb.74:
	s_or_b32 exec_lo, exec_lo, s6
.LBB90_75:
	s_delay_alu instid0(SALU_CYCLE_1) | instskip(SKIP_3) | instid1(VALU_DEP_1)
	s_or_b32 exec_lo, exec_lo, s1
	v_and_b32_e32 v61, 7, v121
	s_mov_b32 s2, 0
	s_mov_b32 s1, exec_lo
	v_cmpx_ne_u32_e32 0, v61
	s_cbranch_execz .LBB90_79
; %bb.76:
	v_lshl_add_u32 v62, v120, 2, 0x70
	v_mov_b32_e32 v121, 0
.LBB90_77:                              ; =>This Inner Loop Header: Depth=1
	v_cmp_eq_u32_e32 vcc_lo, 1, v120
	ds_load_b32 v64, v62
	v_dual_add_nc_u32 v61, -1, v61 :: v_dual_add_nc_u32 v62, 4, v62
	v_cndmask_b32_e32 v63, v34, v35, vcc_lo
	v_cmp_eq_u32_e32 vcc_lo, 2, v120
	s_delay_alu instid0(VALU_DEP_2) | instskip(SKIP_1) | instid1(VALU_DEP_2)
	v_cndmask_b32_e32 v63, v63, v36, vcc_lo
	v_cmp_eq_u32_e32 vcc_lo, 3, v120
	v_cndmask_b32_e32 v63, v63, v37, vcc_lo
	v_cmp_eq_u32_e32 vcc_lo, 4, v120
	s_delay_alu instid0(VALU_DEP_2) | instskip(SKIP_1) | instid1(VALU_DEP_2)
	v_cndmask_b32_e32 v63, v63, v38, vcc_lo
	v_cmp_eq_u32_e32 vcc_lo, 5, v120
	v_cndmask_b32_e32 v63, v63, v39, vcc_lo
	v_cmp_eq_u32_e32 vcc_lo, 6, v120
	s_delay_alu instid0(VALU_DEP_2) | instskip(SKIP_1) | instid1(VALU_DEP_2)
	v_cndmask_b32_e32 v63, v63, v40, vcc_lo
	v_cmp_eq_u32_e32 vcc_lo, 7, v120
	v_cndmask_b32_e32 v63, v63, v41, vcc_lo
	v_cmp_eq_u32_e32 vcc_lo, 8, v120
	s_delay_alu instid0(VALU_DEP_2) | instskip(SKIP_1) | instid1(VALU_DEP_2)
	v_cndmask_b32_e32 v63, v63, v42, vcc_lo
	v_cmp_eq_u32_e32 vcc_lo, 9, v120
	v_cndmask_b32_e32 v63, v63, v43, vcc_lo
	v_cmp_eq_u32_e32 vcc_lo, 10, v120
	s_delay_alu instid0(VALU_DEP_2) | instskip(SKIP_1) | instid1(VALU_DEP_2)
	v_cndmask_b32_e32 v63, v63, v44, vcc_lo
	v_cmp_eq_u32_e32 vcc_lo, 11, v120
	v_cndmask_b32_e32 v63, v63, v45, vcc_lo
	v_cmp_eq_u32_e32 vcc_lo, 12, v120
	s_delay_alu instid0(VALU_DEP_2) | instskip(SKIP_1) | instid1(VALU_DEP_2)
	v_cndmask_b32_e32 v63, v63, v46, vcc_lo
	v_cmp_eq_u32_e32 vcc_lo, 13, v120
	v_cndmask_b32_e32 v63, v63, v47, vcc_lo
	v_cmp_eq_u32_e32 vcc_lo, 14, v120
	s_delay_alu instid0(VALU_DEP_2) | instskip(SKIP_1) | instid1(VALU_DEP_2)
	v_cndmask_b32_e32 v63, v63, v48, vcc_lo
	v_cmp_eq_u32_e32 vcc_lo, 15, v120
	v_cndmask_b32_e32 v63, v63, v49, vcc_lo
	v_cmp_eq_u32_e32 vcc_lo, 16, v120
	s_delay_alu instid0(VALU_DEP_2) | instskip(SKIP_1) | instid1(VALU_DEP_2)
	v_cndmask_b32_e32 v63, v63, v50, vcc_lo
	v_cmp_eq_u32_e32 vcc_lo, 17, v120
	v_cndmask_b32_e32 v63, v63, v51, vcc_lo
	v_cmp_eq_u32_e32 vcc_lo, 18, v120
	s_delay_alu instid0(VALU_DEP_2) | instskip(SKIP_1) | instid1(VALU_DEP_2)
	v_cndmask_b32_e32 v63, v63, v52, vcc_lo
	v_cmp_eq_u32_e32 vcc_lo, 19, v120
	v_cndmask_b32_e32 v63, v63, v53, vcc_lo
	v_cmp_eq_u32_e32 vcc_lo, 20, v120
	s_delay_alu instid0(VALU_DEP_2) | instskip(SKIP_1) | instid1(VALU_DEP_2)
	v_cndmask_b32_e32 v63, v63, v54, vcc_lo
	v_cmp_eq_u32_e32 vcc_lo, 21, v120
	v_cndmask_b32_e32 v63, v63, v55, vcc_lo
	v_cmp_eq_u32_e32 vcc_lo, 22, v120
	s_delay_alu instid0(VALU_DEP_2) | instskip(SKIP_1) | instid1(VALU_DEP_2)
	v_cndmask_b32_e32 v63, v63, v56, vcc_lo
	v_cmp_eq_u32_e32 vcc_lo, 23, v120
	v_cndmask_b32_e32 v63, v63, v57, vcc_lo
	v_cmp_eq_u32_e32 vcc_lo, 24, v120
	s_delay_alu instid0(VALU_DEP_2) | instskip(SKIP_1) | instid1(VALU_DEP_2)
	v_cndmask_b32_e32 v63, v63, v58, vcc_lo
	v_cmp_eq_u32_e32 vcc_lo, 25, v120
	v_cndmask_b32_e32 v63, v63, v59, vcc_lo
	v_cmp_eq_u32_e32 vcc_lo, 26, v120
	v_add_nc_u64_e32 v[120:121], 1, v[120:121]
	s_delay_alu instid0(VALU_DEP_3) | instskip(SKIP_2) | instid1(VALU_DEP_2)
	v_cndmask_b32_e32 v63, v63, v60, vcc_lo
	v_cmp_eq_u32_e32 vcc_lo, 0, v61
	s_wait_dscnt 0x0
	v_fmac_f32_e32 v124, v63, v64
	s_or_b32 s2, vcc_lo, s2
	s_delay_alu instid0(SALU_CYCLE_1)
	s_and_not1_b32 exec_lo, exec_lo, s2
	s_cbranch_execnz .LBB90_77
; %bb.78:
	s_or_b32 exec_lo, exec_lo, s2
.LBB90_79:
	s_delay_alu instid0(SALU_CYCLE_1)
	s_or_b32 exec_lo, exec_lo, s1
.LBB90_80:
	s_delay_alu instid0(SALU_CYCLE_1)
	s_or_b32 exec_lo, exec_lo, s5
	v_mov_b32_e32 v54, 0
	ds_load_b32 v54, v54 offset:80
	s_wait_dscnt 0x0
	v_mul_f32_e32 v54, v124, v54
.LBB90_81:
	s_or_b32 exec_lo, exec_lo, s4
	v_cmp_lt_u32_e64 s1, 19, v0
	ds_store_b32 v123, v53
	s_wait_dscnt 0x0
	s_barrier_signal -1
	s_barrier_wait -1
	s_and_saveexec_b32 s4, s1
	s_cbranch_execz .LBB90_97
; %bb.82:
	s_and_not1_b32 vcc_lo, exec_lo, s27
	s_cbranch_vccnz .LBB90_84
; %bb.83:
	v_cmp_eq_u32_e32 vcc_lo, 1, v0
	ds_load_b32 v121, v123
	v_cndmask_b32_e32 v120, v34, v35, vcc_lo
	v_cmp_eq_u32_e32 vcc_lo, 2, v0
	s_delay_alu instid0(VALU_DEP_2) | instskip(SKIP_1) | instid1(VALU_DEP_2)
	v_cndmask_b32_e32 v120, v120, v36, vcc_lo
	v_cmp_eq_u32_e32 vcc_lo, 3, v0
	v_cndmask_b32_e32 v120, v120, v37, vcc_lo
	v_cmp_eq_u32_e32 vcc_lo, 4, v0
	s_delay_alu instid0(VALU_DEP_2) | instskip(SKIP_1) | instid1(VALU_DEP_2)
	v_cndmask_b32_e32 v120, v120, v38, vcc_lo
	v_cmp_eq_u32_e32 vcc_lo, 5, v0
	;; [unrolled: 5-line block ×12, first 2 shown]
	v_cndmask_b32_e32 v120, v120, v59, vcc_lo
	v_cmp_eq_u32_e32 vcc_lo, 26, v0
	s_delay_alu instid0(VALU_DEP_2) | instskip(SKIP_1) | instid1(VALU_DEP_1)
	v_cndmask_b32_e32 v120, v120, v60, vcc_lo
	s_wait_dscnt 0x0
	v_mul_f32_e32 v124, v120, v121
	s_cbranch_execz .LBB90_85
	s_branch .LBB90_86
.LBB90_84:
                                        ; implicit-def: $vgpr124
.LBB90_85:
	ds_load_b32 v124, v123
.LBB90_86:
	s_and_saveexec_b32 s5, s0
	s_cbranch_execz .LBB90_96
; %bb.87:
	v_subrev_nc_u32_e32 v122, 21, v0
	v_mov_b32_e32 v120, 20
	v_subrev_nc_u32_e32 v121, 20, v0
	s_mov_b32 s0, exec_lo
	s_delay_alu instid0(VALU_DEP_3)
	v_cmpx_lt_u32_e32 6, v122
	s_cbranch_execz .LBB90_91
; %bb.88:
	s_delay_alu instid0(VALU_DEP_2) | instskip(SKIP_3) | instid1(VALU_DEP_1)
	v_and_b32_e32 v120, -8, v121
	s_mov_b32 s6, 0
	s_mov_b64 s[2:3], 27
	s_movk_i32 s7, 0xc0
	v_sub_nc_u32_e32 v122, 0, v120
.LBB90_89:                              ; =>This Inner Loop Header: Depth=1
	s_add_co_i32 m0, s2, -7
	v_movrels_b32_e32 v125, v34
	v_mov_b32_e32 v120, s7
	s_add_co_i32 m0, s2, -6
	s_add_co_i32 s7, s7, 32
	v_movrels_b32_e32 v134, v34
	s_add_co_i32 m0, s2, -5
	ds_load_b128 v[126:129], v120
	ds_load_b128 v[130:133], v120 offset:16
	v_movrels_b32_e32 v120, v34
	s_add_co_i32 m0, s2, -4
	s_wait_dscnt 0x1
	v_fmac_f32_e32 v124, v125, v126
	v_movrels_b32_e32 v125, v34
	s_add_co_i32 m0, s2, -3
	s_delay_alu instid0(VALU_DEP_2) | instskip(NEXT) | instid1(VALU_DEP_1)
	v_fmac_f32_e32 v124, v134, v127
	v_fmac_f32_e32 v124, v120, v128
	v_movrels_b32_e32 v120, v34
	s_add_co_i32 m0, s2, -2
	s_delay_alu instid0(VALU_DEP_2) | instskip(SKIP_3) | instid1(VALU_DEP_2)
	v_fmac_f32_e32 v124, v125, v129
	v_movrels_b32_e32 v125, v34
	s_add_co_i32 m0, s2, -1
	s_wait_dscnt 0x0
	v_fmac_f32_e32 v124, v120, v130
	v_movrels_b32_e32 v120, v34
	s_mov_b32 m0, s2
	s_add_nc_u64 s[2:3], s[2:3], 8
	v_movrels_b32_e32 v126, v34
	v_dual_fmac_f32 v124, v125, v131 :: v_dual_add_nc_u32 v125, s2, v122
	s_add_co_i32 s8, s2, -7
	s_delay_alu instid0(VALU_DEP_1) | instskip(NEXT) | instid1(VALU_DEP_2)
	v_fmac_f32_e32 v124, v120, v132
	v_cmp_eq_u32_e32 vcc_lo, 27, v125
	s_delay_alu instid0(VALU_DEP_2) | instskip(SKIP_1) | instid1(SALU_CYCLE_1)
	v_dual_mov_b32 v120, s8 :: v_dual_fmac_f32 v124, v126, v133
	s_or_b32 s6, vcc_lo, s6
	s_and_not1_b32 exec_lo, exec_lo, s6
	s_cbranch_execnz .LBB90_89
; %bb.90:
	s_or_b32 exec_lo, exec_lo, s6
.LBB90_91:
	s_delay_alu instid0(SALU_CYCLE_1) | instskip(SKIP_3) | instid1(VALU_DEP_1)
	s_or_b32 exec_lo, exec_lo, s0
	v_and_b32_e32 v61, 7, v121
	s_mov_b32 s2, 0
	s_mov_b32 s0, exec_lo
	v_cmpx_ne_u32_e32 0, v61
	s_cbranch_execz .LBB90_95
; %bb.92:
	v_lshl_add_u32 v62, v120, 2, 0x70
	v_mov_b32_e32 v121, 0
.LBB90_93:                              ; =>This Inner Loop Header: Depth=1
	v_cmp_eq_u32_e32 vcc_lo, 1, v120
	ds_load_b32 v64, v62
	v_dual_add_nc_u32 v61, -1, v61 :: v_dual_add_nc_u32 v62, 4, v62
	v_cndmask_b32_e32 v63, v34, v35, vcc_lo
	v_cmp_eq_u32_e32 vcc_lo, 2, v120
	s_delay_alu instid0(VALU_DEP_2) | instskip(SKIP_1) | instid1(VALU_DEP_2)
	v_cndmask_b32_e32 v63, v63, v36, vcc_lo
	v_cmp_eq_u32_e32 vcc_lo, 3, v120
	v_cndmask_b32_e32 v63, v63, v37, vcc_lo
	v_cmp_eq_u32_e32 vcc_lo, 4, v120
	s_delay_alu instid0(VALU_DEP_2) | instskip(SKIP_1) | instid1(VALU_DEP_2)
	v_cndmask_b32_e32 v63, v63, v38, vcc_lo
	v_cmp_eq_u32_e32 vcc_lo, 5, v120
	;; [unrolled: 5-line block ×12, first 2 shown]
	v_cndmask_b32_e32 v63, v63, v59, vcc_lo
	v_cmp_eq_u32_e32 vcc_lo, 26, v120
	v_add_nc_u64_e32 v[120:121], 1, v[120:121]
	s_delay_alu instid0(VALU_DEP_3) | instskip(SKIP_2) | instid1(VALU_DEP_2)
	v_cndmask_b32_e32 v63, v63, v60, vcc_lo
	v_cmp_eq_u32_e32 vcc_lo, 0, v61
	s_wait_dscnt 0x0
	v_fmac_f32_e32 v124, v63, v64
	s_or_b32 s2, vcc_lo, s2
	s_delay_alu instid0(SALU_CYCLE_1)
	s_and_not1_b32 exec_lo, exec_lo, s2
	s_cbranch_execnz .LBB90_93
; %bb.94:
	s_or_b32 exec_lo, exec_lo, s2
.LBB90_95:
	s_delay_alu instid0(SALU_CYCLE_1)
	s_or_b32 exec_lo, exec_lo, s0
.LBB90_96:
	s_delay_alu instid0(SALU_CYCLE_1)
	s_or_b32 exec_lo, exec_lo, s5
	v_mov_b32_e32 v53, 0
	ds_load_b32 v53, v53 offset:76
	s_wait_dscnt 0x0
	v_mul_f32_e32 v53, v124, v53
.LBB90_97:
	s_or_b32 exec_lo, exec_lo, s4
	v_cmp_lt_u32_e64 s0, 18, v0
	ds_store_b32 v123, v52
	s_wait_dscnt 0x0
	s_barrier_signal -1
	s_barrier_wait -1
	s_and_saveexec_b32 s4, s0
	s_cbranch_execz .LBB90_113
; %bb.98:
	s_and_not1_b32 vcc_lo, exec_lo, s27
	s_cbranch_vccnz .LBB90_100
; %bb.99:
	v_cmp_eq_u32_e32 vcc_lo, 1, v0
	ds_load_b32 v121, v123
	v_cndmask_b32_e32 v120, v34, v35, vcc_lo
	v_cmp_eq_u32_e32 vcc_lo, 2, v0
	s_delay_alu instid0(VALU_DEP_2) | instskip(SKIP_1) | instid1(VALU_DEP_2)
	v_cndmask_b32_e32 v120, v120, v36, vcc_lo
	v_cmp_eq_u32_e32 vcc_lo, 3, v0
	v_cndmask_b32_e32 v120, v120, v37, vcc_lo
	v_cmp_eq_u32_e32 vcc_lo, 4, v0
	s_delay_alu instid0(VALU_DEP_2) | instskip(SKIP_1) | instid1(VALU_DEP_2)
	v_cndmask_b32_e32 v120, v120, v38, vcc_lo
	v_cmp_eq_u32_e32 vcc_lo, 5, v0
	;; [unrolled: 5-line block ×12, first 2 shown]
	v_cndmask_b32_e32 v120, v120, v59, vcc_lo
	v_cmp_eq_u32_e32 vcc_lo, 26, v0
	s_delay_alu instid0(VALU_DEP_2) | instskip(SKIP_1) | instid1(VALU_DEP_1)
	v_cndmask_b32_e32 v120, v120, v60, vcc_lo
	s_wait_dscnt 0x0
	v_mul_f32_e32 v124, v120, v121
	s_cbranch_execz .LBB90_101
	s_branch .LBB90_102
.LBB90_100:
                                        ; implicit-def: $vgpr124
.LBB90_101:
	ds_load_b32 v124, v123
.LBB90_102:
	s_and_saveexec_b32 s5, s1
	s_cbranch_execz .LBB90_112
; %bb.103:
	v_subrev_nc_u32_e32 v122, 20, v0
	v_mov_b32_e32 v120, 19
	v_subrev_nc_u32_e32 v121, 19, v0
	s_mov_b32 s1, exec_lo
	s_delay_alu instid0(VALU_DEP_3)
	v_cmpx_lt_u32_e32 6, v122
	s_cbranch_execz .LBB90_107
; %bb.104:
	s_delay_alu instid0(VALU_DEP_2) | instskip(SKIP_3) | instid1(VALU_DEP_1)
	v_and_b32_e32 v120, -8, v121
	s_mov_b32 s6, 0
	s_mov_b64 s[2:3], 26
	s_movk_i32 s7, 0xbc
	v_sub_nc_u32_e32 v122, 0, v120
.LBB90_105:                             ; =>This Inner Loop Header: Depth=1
	s_add_co_i32 m0, s2, -7
	v_movrels_b32_e32 v125, v34
	v_mov_b32_e32 v120, s7
	s_add_co_i32 m0, s2, -6
	s_add_co_i32 s7, s7, 32
	v_movrels_b32_e32 v134, v34
	ds_load_2addr_b32 v[126:127], v120 offset1:1
	ds_load_2addr_b32 v[128:129], v120 offset0:2 offset1:3
	s_add_co_i32 m0, s2, -5
	s_wait_dscnt 0x1
	v_fmac_f32_e32 v124, v125, v126
	ds_load_2addr_b32 v[130:131], v120 offset0:4 offset1:5
	ds_load_2addr_b32 v[132:133], v120 offset0:6 offset1:7
	v_movrels_b32_e32 v120, v34
	s_add_co_i32 m0, s2, -4
	v_fmac_f32_e32 v124, v134, v127
	v_movrels_b32_e32 v125, v34
	s_add_co_i32 m0, s2, -3
	s_wait_dscnt 0x2
	s_delay_alu instid0(VALU_DEP_2) | instskip(SKIP_2) | instid1(VALU_DEP_2)
	v_fmac_f32_e32 v124, v120, v128
	v_movrels_b32_e32 v120, v34
	s_add_co_i32 m0, s2, -2
	v_fmac_f32_e32 v124, v125, v129
	v_movrels_b32_e32 v125, v34
	s_add_co_i32 m0, s2, -1
	s_wait_dscnt 0x1
	s_delay_alu instid0(VALU_DEP_2)
	v_fmac_f32_e32 v124, v120, v130
	v_movrels_b32_e32 v120, v34
	s_mov_b32 m0, s2
	s_add_nc_u64 s[2:3], s[2:3], 8
	v_movrels_b32_e32 v126, v34
	v_dual_fmac_f32 v124, v125, v131 :: v_dual_add_nc_u32 v125, s2, v122
	s_add_co_i32 s8, s2, -7
	s_wait_dscnt 0x0
	s_delay_alu instid0(VALU_DEP_1) | instskip(NEXT) | instid1(VALU_DEP_2)
	v_fmac_f32_e32 v124, v120, v132
	v_cmp_eq_u32_e32 vcc_lo, 26, v125
	s_delay_alu instid0(VALU_DEP_2) | instskip(SKIP_1) | instid1(SALU_CYCLE_1)
	v_dual_mov_b32 v120, s8 :: v_dual_fmac_f32 v124, v126, v133
	s_or_b32 s6, vcc_lo, s6
	s_and_not1_b32 exec_lo, exec_lo, s6
	s_cbranch_execnz .LBB90_105
; %bb.106:
	s_or_b32 exec_lo, exec_lo, s6
.LBB90_107:
	s_delay_alu instid0(SALU_CYCLE_1) | instskip(SKIP_3) | instid1(VALU_DEP_1)
	s_or_b32 exec_lo, exec_lo, s1
	v_and_b32_e32 v61, 7, v121
	s_mov_b32 s2, 0
	s_mov_b32 s1, exec_lo
	v_cmpx_ne_u32_e32 0, v61
	s_cbranch_execz .LBB90_111
; %bb.108:
	v_lshl_add_u32 v62, v120, 2, 0x70
	v_mov_b32_e32 v121, 0
.LBB90_109:                             ; =>This Inner Loop Header: Depth=1
	v_cmp_eq_u32_e32 vcc_lo, 1, v120
	ds_load_b32 v64, v62
	v_dual_add_nc_u32 v61, -1, v61 :: v_dual_add_nc_u32 v62, 4, v62
	v_cndmask_b32_e32 v63, v34, v35, vcc_lo
	v_cmp_eq_u32_e32 vcc_lo, 2, v120
	s_delay_alu instid0(VALU_DEP_2) | instskip(SKIP_1) | instid1(VALU_DEP_2)
	v_cndmask_b32_e32 v63, v63, v36, vcc_lo
	v_cmp_eq_u32_e32 vcc_lo, 3, v120
	v_cndmask_b32_e32 v63, v63, v37, vcc_lo
	v_cmp_eq_u32_e32 vcc_lo, 4, v120
	s_delay_alu instid0(VALU_DEP_2) | instskip(SKIP_1) | instid1(VALU_DEP_2)
	v_cndmask_b32_e32 v63, v63, v38, vcc_lo
	v_cmp_eq_u32_e32 vcc_lo, 5, v120
	;; [unrolled: 5-line block ×12, first 2 shown]
	v_cndmask_b32_e32 v63, v63, v59, vcc_lo
	v_cmp_eq_u32_e32 vcc_lo, 26, v120
	v_add_nc_u64_e32 v[120:121], 1, v[120:121]
	s_delay_alu instid0(VALU_DEP_3) | instskip(SKIP_2) | instid1(VALU_DEP_2)
	v_cndmask_b32_e32 v63, v63, v60, vcc_lo
	v_cmp_eq_u32_e32 vcc_lo, 0, v61
	s_wait_dscnt 0x0
	v_fmac_f32_e32 v124, v63, v64
	s_or_b32 s2, vcc_lo, s2
	s_delay_alu instid0(SALU_CYCLE_1)
	s_and_not1_b32 exec_lo, exec_lo, s2
	s_cbranch_execnz .LBB90_109
; %bb.110:
	s_or_b32 exec_lo, exec_lo, s2
.LBB90_111:
	s_delay_alu instid0(SALU_CYCLE_1)
	s_or_b32 exec_lo, exec_lo, s1
.LBB90_112:
	s_delay_alu instid0(SALU_CYCLE_1)
	s_or_b32 exec_lo, exec_lo, s5
	v_mov_b32_e32 v52, 0
	ds_load_b32 v52, v52 offset:72
	s_wait_dscnt 0x0
	v_mul_f32_e32 v52, v124, v52
.LBB90_113:
	s_or_b32 exec_lo, exec_lo, s4
	v_cmp_lt_u32_e64 s1, 17, v0
	ds_store_b32 v123, v51
	s_wait_dscnt 0x0
	s_barrier_signal -1
	s_barrier_wait -1
	s_and_saveexec_b32 s4, s1
	s_cbranch_execz .LBB90_129
; %bb.114:
	s_and_not1_b32 vcc_lo, exec_lo, s27
	s_cbranch_vccnz .LBB90_116
; %bb.115:
	v_cmp_eq_u32_e32 vcc_lo, 1, v0
	ds_load_b32 v121, v123
	v_cndmask_b32_e32 v120, v34, v35, vcc_lo
	v_cmp_eq_u32_e32 vcc_lo, 2, v0
	s_delay_alu instid0(VALU_DEP_2) | instskip(SKIP_1) | instid1(VALU_DEP_2)
	v_cndmask_b32_e32 v120, v120, v36, vcc_lo
	v_cmp_eq_u32_e32 vcc_lo, 3, v0
	v_cndmask_b32_e32 v120, v120, v37, vcc_lo
	v_cmp_eq_u32_e32 vcc_lo, 4, v0
	s_delay_alu instid0(VALU_DEP_2) | instskip(SKIP_1) | instid1(VALU_DEP_2)
	v_cndmask_b32_e32 v120, v120, v38, vcc_lo
	v_cmp_eq_u32_e32 vcc_lo, 5, v0
	;; [unrolled: 5-line block ×12, first 2 shown]
	v_cndmask_b32_e32 v120, v120, v59, vcc_lo
	v_cmp_eq_u32_e32 vcc_lo, 26, v0
	s_delay_alu instid0(VALU_DEP_2) | instskip(SKIP_1) | instid1(VALU_DEP_1)
	v_cndmask_b32_e32 v120, v120, v60, vcc_lo
	s_wait_dscnt 0x0
	v_mul_f32_e32 v124, v120, v121
	s_cbranch_execz .LBB90_117
	s_branch .LBB90_118
.LBB90_116:
                                        ; implicit-def: $vgpr124
.LBB90_117:
	ds_load_b32 v124, v123
.LBB90_118:
	s_and_saveexec_b32 s5, s0
	s_cbranch_execz .LBB90_128
; %bb.119:
	v_subrev_nc_u32_e32 v122, 19, v0
	v_mov_b32_e32 v120, 18
	v_subrev_nc_u32_e32 v121, 18, v0
	s_mov_b32 s0, exec_lo
	s_delay_alu instid0(VALU_DEP_3)
	v_cmpx_lt_u32_e32 6, v122
	s_cbranch_execz .LBB90_123
; %bb.120:
	s_delay_alu instid0(VALU_DEP_2) | instskip(SKIP_3) | instid1(VALU_DEP_1)
	v_and_b32_e32 v120, -8, v121
	s_mov_b32 s6, 0
	s_mov_b64 s[2:3], 25
	s_movk_i32 s7, 0xb8
	v_sub_nc_u32_e32 v122, 0, v120
.LBB90_121:                             ; =>This Inner Loop Header: Depth=1
	s_add_co_i32 m0, s2, -7
	v_movrels_b32_e32 v125, v34
	v_mov_b32_e32 v120, s7
	s_add_co_i32 m0, s2, -6
	s_add_co_i32 s7, s7, 32
	v_movrels_b32_e32 v134, v34
	s_add_co_i32 m0, s2, -5
	ds_load_2addr_b64 v[126:129], v120 offset1:1
	ds_load_2addr_b64 v[130:133], v120 offset0:2 offset1:3
	v_movrels_b32_e32 v120, v34
	s_add_co_i32 m0, s2, -4
	s_wait_dscnt 0x1
	v_fmac_f32_e32 v124, v125, v126
	v_movrels_b32_e32 v125, v34
	s_add_co_i32 m0, s2, -3
	s_delay_alu instid0(VALU_DEP_2) | instskip(NEXT) | instid1(VALU_DEP_1)
	v_fmac_f32_e32 v124, v134, v127
	v_fmac_f32_e32 v124, v120, v128
	v_movrels_b32_e32 v120, v34
	s_add_co_i32 m0, s2, -2
	s_delay_alu instid0(VALU_DEP_2) | instskip(SKIP_3) | instid1(VALU_DEP_2)
	v_fmac_f32_e32 v124, v125, v129
	v_movrels_b32_e32 v125, v34
	s_add_co_i32 m0, s2, -1
	s_wait_dscnt 0x0
	v_fmac_f32_e32 v124, v120, v130
	v_movrels_b32_e32 v120, v34
	s_mov_b32 m0, s2
	s_add_nc_u64 s[2:3], s[2:3], 8
	v_movrels_b32_e32 v126, v34
	v_dual_fmac_f32 v124, v125, v131 :: v_dual_add_nc_u32 v125, s2, v122
	s_add_co_i32 s8, s2, -7
	s_delay_alu instid0(VALU_DEP_1) | instskip(NEXT) | instid1(VALU_DEP_2)
	v_fmac_f32_e32 v124, v120, v132
	v_cmp_eq_u32_e32 vcc_lo, 25, v125
	s_delay_alu instid0(VALU_DEP_2) | instskip(SKIP_1) | instid1(SALU_CYCLE_1)
	v_dual_mov_b32 v120, s8 :: v_dual_fmac_f32 v124, v126, v133
	s_or_b32 s6, vcc_lo, s6
	s_and_not1_b32 exec_lo, exec_lo, s6
	s_cbranch_execnz .LBB90_121
; %bb.122:
	s_or_b32 exec_lo, exec_lo, s6
.LBB90_123:
	s_delay_alu instid0(SALU_CYCLE_1) | instskip(SKIP_3) | instid1(VALU_DEP_1)
	s_or_b32 exec_lo, exec_lo, s0
	v_and_b32_e32 v61, 7, v121
	s_mov_b32 s2, 0
	s_mov_b32 s0, exec_lo
	v_cmpx_ne_u32_e32 0, v61
	s_cbranch_execz .LBB90_127
; %bb.124:
	v_lshl_add_u32 v62, v120, 2, 0x70
	v_mov_b32_e32 v121, 0
.LBB90_125:                             ; =>This Inner Loop Header: Depth=1
	v_cmp_eq_u32_e32 vcc_lo, 1, v120
	ds_load_b32 v64, v62
	v_dual_add_nc_u32 v61, -1, v61 :: v_dual_add_nc_u32 v62, 4, v62
	v_cndmask_b32_e32 v63, v34, v35, vcc_lo
	v_cmp_eq_u32_e32 vcc_lo, 2, v120
	s_delay_alu instid0(VALU_DEP_2) | instskip(SKIP_1) | instid1(VALU_DEP_2)
	v_cndmask_b32_e32 v63, v63, v36, vcc_lo
	v_cmp_eq_u32_e32 vcc_lo, 3, v120
	v_cndmask_b32_e32 v63, v63, v37, vcc_lo
	v_cmp_eq_u32_e32 vcc_lo, 4, v120
	s_delay_alu instid0(VALU_DEP_2) | instskip(SKIP_1) | instid1(VALU_DEP_2)
	v_cndmask_b32_e32 v63, v63, v38, vcc_lo
	v_cmp_eq_u32_e32 vcc_lo, 5, v120
	;; [unrolled: 5-line block ×12, first 2 shown]
	v_cndmask_b32_e32 v63, v63, v59, vcc_lo
	v_cmp_eq_u32_e32 vcc_lo, 26, v120
	v_add_nc_u64_e32 v[120:121], 1, v[120:121]
	s_delay_alu instid0(VALU_DEP_3) | instskip(SKIP_2) | instid1(VALU_DEP_2)
	v_cndmask_b32_e32 v63, v63, v60, vcc_lo
	v_cmp_eq_u32_e32 vcc_lo, 0, v61
	s_wait_dscnt 0x0
	v_fmac_f32_e32 v124, v63, v64
	s_or_b32 s2, vcc_lo, s2
	s_delay_alu instid0(SALU_CYCLE_1)
	s_and_not1_b32 exec_lo, exec_lo, s2
	s_cbranch_execnz .LBB90_125
; %bb.126:
	s_or_b32 exec_lo, exec_lo, s2
.LBB90_127:
	s_delay_alu instid0(SALU_CYCLE_1)
	s_or_b32 exec_lo, exec_lo, s0
.LBB90_128:
	s_delay_alu instid0(SALU_CYCLE_1)
	s_or_b32 exec_lo, exec_lo, s5
	v_mov_b32_e32 v51, 0
	ds_load_b32 v51, v51 offset:68
	s_wait_dscnt 0x0
	v_mul_f32_e32 v51, v124, v51
.LBB90_129:
	s_or_b32 exec_lo, exec_lo, s4
	v_cmp_lt_u32_e64 s0, 16, v0
	ds_store_b32 v123, v50
	s_wait_dscnt 0x0
	s_barrier_signal -1
	s_barrier_wait -1
	s_and_saveexec_b32 s4, s0
	s_cbranch_execz .LBB90_145
; %bb.130:
	s_and_not1_b32 vcc_lo, exec_lo, s27
	s_cbranch_vccnz .LBB90_132
; %bb.131:
	v_cmp_eq_u32_e32 vcc_lo, 1, v0
	ds_load_b32 v121, v123
	v_cndmask_b32_e32 v120, v34, v35, vcc_lo
	v_cmp_eq_u32_e32 vcc_lo, 2, v0
	s_delay_alu instid0(VALU_DEP_2) | instskip(SKIP_1) | instid1(VALU_DEP_2)
	v_cndmask_b32_e32 v120, v120, v36, vcc_lo
	v_cmp_eq_u32_e32 vcc_lo, 3, v0
	v_cndmask_b32_e32 v120, v120, v37, vcc_lo
	v_cmp_eq_u32_e32 vcc_lo, 4, v0
	s_delay_alu instid0(VALU_DEP_2) | instskip(SKIP_1) | instid1(VALU_DEP_2)
	v_cndmask_b32_e32 v120, v120, v38, vcc_lo
	v_cmp_eq_u32_e32 vcc_lo, 5, v0
	;; [unrolled: 5-line block ×12, first 2 shown]
	v_cndmask_b32_e32 v120, v120, v59, vcc_lo
	v_cmp_eq_u32_e32 vcc_lo, 26, v0
	s_delay_alu instid0(VALU_DEP_2) | instskip(SKIP_1) | instid1(VALU_DEP_1)
	v_cndmask_b32_e32 v120, v120, v60, vcc_lo
	s_wait_dscnt 0x0
	v_mul_f32_e32 v124, v120, v121
	s_cbranch_execz .LBB90_133
	s_branch .LBB90_134
.LBB90_132:
                                        ; implicit-def: $vgpr124
.LBB90_133:
	ds_load_b32 v124, v123
.LBB90_134:
	s_and_saveexec_b32 s5, s1
	s_cbranch_execz .LBB90_144
; %bb.135:
	v_subrev_nc_u32_e32 v122, 18, v0
	v_mov_b32_e32 v120, 17
	v_subrev_nc_u32_e32 v121, 17, v0
	s_mov_b32 s1, exec_lo
	s_delay_alu instid0(VALU_DEP_3)
	v_cmpx_lt_u32_e32 6, v122
	s_cbranch_execz .LBB90_139
; %bb.136:
	s_delay_alu instid0(VALU_DEP_2) | instskip(SKIP_3) | instid1(VALU_DEP_1)
	v_and_b32_e32 v120, -8, v121
	s_mov_b32 s6, 0
	s_mov_b64 s[2:3], 24
	s_movk_i32 s7, 0xb4
	v_sub_nc_u32_e32 v122, 0, v120
.LBB90_137:                             ; =>This Inner Loop Header: Depth=1
	s_add_co_i32 m0, s2, -7
	v_movrels_b32_e32 v125, v34
	v_mov_b32_e32 v120, s7
	s_add_co_i32 m0, s2, -6
	s_add_co_i32 s7, s7, 32
	v_movrels_b32_e32 v134, v34
	ds_load_2addr_b32 v[126:127], v120 offset1:1
	ds_load_2addr_b32 v[128:129], v120 offset0:2 offset1:3
	s_add_co_i32 m0, s2, -5
	s_wait_dscnt 0x1
	v_fmac_f32_e32 v124, v125, v126
	ds_load_2addr_b32 v[130:131], v120 offset0:4 offset1:5
	ds_load_2addr_b32 v[132:133], v120 offset0:6 offset1:7
	v_movrels_b32_e32 v120, v34
	s_add_co_i32 m0, s2, -4
	v_fmac_f32_e32 v124, v134, v127
	v_movrels_b32_e32 v125, v34
	s_add_co_i32 m0, s2, -3
	s_wait_dscnt 0x2
	s_delay_alu instid0(VALU_DEP_2) | instskip(SKIP_2) | instid1(VALU_DEP_2)
	v_fmac_f32_e32 v124, v120, v128
	v_movrels_b32_e32 v120, v34
	s_add_co_i32 m0, s2, -2
	v_fmac_f32_e32 v124, v125, v129
	v_movrels_b32_e32 v125, v34
	s_add_co_i32 m0, s2, -1
	s_wait_dscnt 0x1
	s_delay_alu instid0(VALU_DEP_2)
	v_fmac_f32_e32 v124, v120, v130
	v_movrels_b32_e32 v120, v34
	s_mov_b32 m0, s2
	s_add_nc_u64 s[2:3], s[2:3], 8
	v_movrels_b32_e32 v126, v34
	v_dual_fmac_f32 v124, v125, v131 :: v_dual_add_nc_u32 v125, s2, v122
	s_add_co_i32 s8, s2, -7
	s_wait_dscnt 0x0
	s_delay_alu instid0(VALU_DEP_1) | instskip(NEXT) | instid1(VALU_DEP_2)
	v_fmac_f32_e32 v124, v120, v132
	v_cmp_eq_u32_e32 vcc_lo, 24, v125
	s_delay_alu instid0(VALU_DEP_2) | instskip(SKIP_1) | instid1(SALU_CYCLE_1)
	v_dual_mov_b32 v120, s8 :: v_dual_fmac_f32 v124, v126, v133
	s_or_b32 s6, vcc_lo, s6
	s_and_not1_b32 exec_lo, exec_lo, s6
	s_cbranch_execnz .LBB90_137
; %bb.138:
	s_or_b32 exec_lo, exec_lo, s6
.LBB90_139:
	s_delay_alu instid0(SALU_CYCLE_1) | instskip(SKIP_3) | instid1(VALU_DEP_1)
	s_or_b32 exec_lo, exec_lo, s1
	v_and_b32_e32 v61, 7, v121
	s_mov_b32 s2, 0
	s_mov_b32 s1, exec_lo
	v_cmpx_ne_u32_e32 0, v61
	s_cbranch_execz .LBB90_143
; %bb.140:
	v_lshl_add_u32 v62, v120, 2, 0x70
	v_mov_b32_e32 v121, 0
.LBB90_141:                             ; =>This Inner Loop Header: Depth=1
	v_cmp_eq_u32_e32 vcc_lo, 1, v120
	ds_load_b32 v64, v62
	v_dual_add_nc_u32 v61, -1, v61 :: v_dual_add_nc_u32 v62, 4, v62
	v_cndmask_b32_e32 v63, v34, v35, vcc_lo
	v_cmp_eq_u32_e32 vcc_lo, 2, v120
	s_delay_alu instid0(VALU_DEP_2) | instskip(SKIP_1) | instid1(VALU_DEP_2)
	v_cndmask_b32_e32 v63, v63, v36, vcc_lo
	v_cmp_eq_u32_e32 vcc_lo, 3, v120
	v_cndmask_b32_e32 v63, v63, v37, vcc_lo
	v_cmp_eq_u32_e32 vcc_lo, 4, v120
	s_delay_alu instid0(VALU_DEP_2) | instskip(SKIP_1) | instid1(VALU_DEP_2)
	v_cndmask_b32_e32 v63, v63, v38, vcc_lo
	v_cmp_eq_u32_e32 vcc_lo, 5, v120
	;; [unrolled: 5-line block ×12, first 2 shown]
	v_cndmask_b32_e32 v63, v63, v59, vcc_lo
	v_cmp_eq_u32_e32 vcc_lo, 26, v120
	v_add_nc_u64_e32 v[120:121], 1, v[120:121]
	s_delay_alu instid0(VALU_DEP_3) | instskip(SKIP_2) | instid1(VALU_DEP_2)
	v_cndmask_b32_e32 v63, v63, v60, vcc_lo
	v_cmp_eq_u32_e32 vcc_lo, 0, v61
	s_wait_dscnt 0x0
	v_fmac_f32_e32 v124, v63, v64
	s_or_b32 s2, vcc_lo, s2
	s_delay_alu instid0(SALU_CYCLE_1)
	s_and_not1_b32 exec_lo, exec_lo, s2
	s_cbranch_execnz .LBB90_141
; %bb.142:
	s_or_b32 exec_lo, exec_lo, s2
.LBB90_143:
	s_delay_alu instid0(SALU_CYCLE_1)
	s_or_b32 exec_lo, exec_lo, s1
.LBB90_144:
	s_delay_alu instid0(SALU_CYCLE_1)
	s_or_b32 exec_lo, exec_lo, s5
	v_mov_b32_e32 v50, 0
	ds_load_b32 v50, v50 offset:64
	s_wait_dscnt 0x0
	v_mul_f32_e32 v50, v124, v50
.LBB90_145:
	s_or_b32 exec_lo, exec_lo, s4
	v_cmp_lt_u32_e64 s1, 15, v0
	ds_store_b32 v123, v49
	s_wait_dscnt 0x0
	s_barrier_signal -1
	s_barrier_wait -1
	s_and_saveexec_b32 s4, s1
	s_cbranch_execz .LBB90_161
; %bb.146:
	s_and_not1_b32 vcc_lo, exec_lo, s27
	s_cbranch_vccnz .LBB90_148
; %bb.147:
	v_cmp_eq_u32_e32 vcc_lo, 1, v0
	ds_load_b32 v121, v123
	v_cndmask_b32_e32 v120, v34, v35, vcc_lo
	v_cmp_eq_u32_e32 vcc_lo, 2, v0
	s_delay_alu instid0(VALU_DEP_2) | instskip(SKIP_1) | instid1(VALU_DEP_2)
	v_cndmask_b32_e32 v120, v120, v36, vcc_lo
	v_cmp_eq_u32_e32 vcc_lo, 3, v0
	v_cndmask_b32_e32 v120, v120, v37, vcc_lo
	v_cmp_eq_u32_e32 vcc_lo, 4, v0
	s_delay_alu instid0(VALU_DEP_2) | instskip(SKIP_1) | instid1(VALU_DEP_2)
	v_cndmask_b32_e32 v120, v120, v38, vcc_lo
	v_cmp_eq_u32_e32 vcc_lo, 5, v0
	;; [unrolled: 5-line block ×12, first 2 shown]
	v_cndmask_b32_e32 v120, v120, v59, vcc_lo
	v_cmp_eq_u32_e32 vcc_lo, 26, v0
	s_delay_alu instid0(VALU_DEP_2) | instskip(SKIP_1) | instid1(VALU_DEP_1)
	v_cndmask_b32_e32 v120, v120, v60, vcc_lo
	s_wait_dscnt 0x0
	v_mul_f32_e32 v124, v120, v121
	s_cbranch_execz .LBB90_149
	s_branch .LBB90_150
.LBB90_148:
                                        ; implicit-def: $vgpr124
.LBB90_149:
	ds_load_b32 v124, v123
.LBB90_150:
	s_and_saveexec_b32 s5, s0
	s_cbranch_execz .LBB90_160
; %bb.151:
	v_subrev_nc_u32_e32 v120, 17, v0
	s_delay_alu instid0(VALU_DEP_1)
	v_cmp_lt_u32_e32 vcc_lo, 6, v120
	v_mov_b32_e32 v120, 16
	s_and_saveexec_b32 s0, vcc_lo
	s_cbranch_execz .LBB90_155
; %bb.152:
	v_and_b32_e32 v120, 24, v0
	s_mov_b32 s6, 0
	s_mov_b64 s[2:3], 23
	s_movk_i32 s7, 0xb0
	s_delay_alu instid0(VALU_DEP_1)
	v_sub_nc_u32_e32 v122, 0, v120
.LBB90_153:                             ; =>This Inner Loop Header: Depth=1
	s_add_co_i32 m0, s2, -7
	v_movrels_b32_e32 v121, v34
	v_mov_b32_e32 v120, s7
	s_add_co_i32 m0, s2, -6
	s_add_co_i32 s7, s7, 32
	v_movrels_b32_e32 v125, v34
	s_add_co_i32 m0, s2, -5
	ds_load_b128 v[126:129], v120
	ds_load_b128 v[130:133], v120 offset:16
	v_movrels_b32_e32 v120, v34
	s_add_co_i32 m0, s2, -4
	s_wait_dscnt 0x1
	v_fmac_f32_e32 v124, v121, v126
	v_movrels_b32_e32 v121, v34
	s_add_co_i32 m0, s2, -3
	s_delay_alu instid0(VALU_DEP_2) | instskip(NEXT) | instid1(VALU_DEP_1)
	v_fmac_f32_e32 v124, v125, v127
	v_fmac_f32_e32 v124, v120, v128
	v_movrels_b32_e32 v120, v34
	s_add_co_i32 m0, s2, -2
	s_delay_alu instid0(VALU_DEP_2) | instskip(SKIP_3) | instid1(VALU_DEP_2)
	v_fmac_f32_e32 v124, v121, v129
	v_movrels_b32_e32 v121, v34
	s_add_co_i32 m0, s2, -1
	s_wait_dscnt 0x0
	v_fmac_f32_e32 v124, v120, v130
	v_movrels_b32_e32 v120, v34
	s_mov_b32 m0, s2
	s_add_nc_u64 s[2:3], s[2:3], 8
	v_movrels_b32_e32 v125, v34
	v_dual_fmac_f32 v124, v121, v131 :: v_dual_add_nc_u32 v121, s2, v122
	s_add_co_i32 s8, s2, -7
	s_delay_alu instid0(VALU_DEP_1) | instskip(NEXT) | instid1(VALU_DEP_2)
	v_fmac_f32_e32 v124, v120, v132
	v_cmp_eq_u32_e32 vcc_lo, 7, v121
	s_delay_alu instid0(VALU_DEP_2) | instskip(SKIP_1) | instid1(SALU_CYCLE_1)
	v_dual_mov_b32 v120, s8 :: v_dual_fmac_f32 v124, v125, v133
	s_or_b32 s6, vcc_lo, s6
	s_and_not1_b32 exec_lo, exec_lo, s6
	s_cbranch_execnz .LBB90_153
; %bb.154:
	s_or_b32 exec_lo, exec_lo, s6
.LBB90_155:
	s_delay_alu instid0(SALU_CYCLE_1) | instskip(SKIP_3) | instid1(VALU_DEP_1)
	s_or_b32 exec_lo, exec_lo, s0
	v_and_b32_e32 v61, 7, v0
	s_mov_b32 s2, 0
	s_mov_b32 s0, exec_lo
	v_cmpx_ne_u32_e32 0, v61
	s_cbranch_execz .LBB90_159
; %bb.156:
	v_lshl_add_u32 v62, v120, 2, 0x70
	v_mov_b32_e32 v121, 0
.LBB90_157:                             ; =>This Inner Loop Header: Depth=1
	v_cmp_eq_u32_e32 vcc_lo, 1, v120
	ds_load_b32 v64, v62
	v_dual_add_nc_u32 v61, -1, v61 :: v_dual_add_nc_u32 v62, 4, v62
	v_cndmask_b32_e32 v63, v34, v35, vcc_lo
	v_cmp_eq_u32_e32 vcc_lo, 2, v120
	s_delay_alu instid0(VALU_DEP_2) | instskip(SKIP_1) | instid1(VALU_DEP_2)
	v_cndmask_b32_e32 v63, v63, v36, vcc_lo
	v_cmp_eq_u32_e32 vcc_lo, 3, v120
	v_cndmask_b32_e32 v63, v63, v37, vcc_lo
	v_cmp_eq_u32_e32 vcc_lo, 4, v120
	s_delay_alu instid0(VALU_DEP_2) | instskip(SKIP_1) | instid1(VALU_DEP_2)
	v_cndmask_b32_e32 v63, v63, v38, vcc_lo
	v_cmp_eq_u32_e32 vcc_lo, 5, v120
	;; [unrolled: 5-line block ×12, first 2 shown]
	v_cndmask_b32_e32 v63, v63, v59, vcc_lo
	v_cmp_eq_u32_e32 vcc_lo, 26, v120
	v_add_nc_u64_e32 v[120:121], 1, v[120:121]
	s_delay_alu instid0(VALU_DEP_3) | instskip(SKIP_2) | instid1(VALU_DEP_2)
	v_cndmask_b32_e32 v63, v63, v60, vcc_lo
	v_cmp_eq_u32_e32 vcc_lo, 0, v61
	s_wait_dscnt 0x0
	v_fmac_f32_e32 v124, v63, v64
	s_or_b32 s2, vcc_lo, s2
	s_delay_alu instid0(SALU_CYCLE_1)
	s_and_not1_b32 exec_lo, exec_lo, s2
	s_cbranch_execnz .LBB90_157
; %bb.158:
	s_or_b32 exec_lo, exec_lo, s2
.LBB90_159:
	s_delay_alu instid0(SALU_CYCLE_1)
	s_or_b32 exec_lo, exec_lo, s0
.LBB90_160:
	s_delay_alu instid0(SALU_CYCLE_1)
	s_or_b32 exec_lo, exec_lo, s5
	v_mov_b32_e32 v49, 0
	ds_load_b32 v49, v49 offset:60
	s_wait_dscnt 0x0
	v_mul_f32_e32 v49, v124, v49
.LBB90_161:
	s_or_b32 exec_lo, exec_lo, s4
	v_cmp_lt_u32_e64 s0, 14, v0
	ds_store_b32 v123, v48
	s_wait_dscnt 0x0
	s_barrier_signal -1
	s_barrier_wait -1
	s_and_saveexec_b32 s4, s0
	s_cbranch_execz .LBB90_177
; %bb.162:
	s_and_not1_b32 vcc_lo, exec_lo, s27
	s_cbranch_vccnz .LBB90_164
; %bb.163:
	v_cmp_eq_u32_e32 vcc_lo, 1, v0
	ds_load_b32 v121, v123
	v_cndmask_b32_e32 v120, v34, v35, vcc_lo
	v_cmp_eq_u32_e32 vcc_lo, 2, v0
	s_delay_alu instid0(VALU_DEP_2) | instskip(SKIP_1) | instid1(VALU_DEP_2)
	v_cndmask_b32_e32 v120, v120, v36, vcc_lo
	v_cmp_eq_u32_e32 vcc_lo, 3, v0
	v_cndmask_b32_e32 v120, v120, v37, vcc_lo
	v_cmp_eq_u32_e32 vcc_lo, 4, v0
	s_delay_alu instid0(VALU_DEP_2) | instskip(SKIP_1) | instid1(VALU_DEP_2)
	v_cndmask_b32_e32 v120, v120, v38, vcc_lo
	v_cmp_eq_u32_e32 vcc_lo, 5, v0
	;; [unrolled: 5-line block ×12, first 2 shown]
	v_cndmask_b32_e32 v120, v120, v59, vcc_lo
	v_cmp_eq_u32_e32 vcc_lo, 26, v0
	s_delay_alu instid0(VALU_DEP_2) | instskip(SKIP_1) | instid1(VALU_DEP_1)
	v_cndmask_b32_e32 v120, v120, v60, vcc_lo
	s_wait_dscnt 0x0
	v_mul_f32_e32 v124, v120, v121
	s_cbranch_execz .LBB90_165
	s_branch .LBB90_166
.LBB90_164:
                                        ; implicit-def: $vgpr124
.LBB90_165:
	ds_load_b32 v124, v123
.LBB90_166:
	s_and_saveexec_b32 s5, s1
	s_cbranch_execz .LBB90_176
; %bb.167:
	v_dual_add_nc_u32 v120, -16, v0 :: v_dual_add_nc_u32 v121, -15, v0
	s_delay_alu instid0(VALU_DEP_1)
	v_cmp_lt_u32_e32 vcc_lo, 6, v120
	v_mov_b32_e32 v120, 15
	s_and_saveexec_b32 s1, vcc_lo
	s_cbranch_execz .LBB90_171
; %bb.168:
	v_and_b32_e32 v120, -8, v121
	s_mov_b32 s6, 0
	s_mov_b64 s[2:3], 22
	s_movk_i32 s7, 0xac
	s_delay_alu instid0(VALU_DEP_1)
	v_sub_nc_u32_e32 v122, 0, v120
.LBB90_169:                             ; =>This Inner Loop Header: Depth=1
	s_add_co_i32 m0, s2, -7
	v_movrels_b32_e32 v125, v34
	v_mov_b32_e32 v120, s7
	s_add_co_i32 m0, s2, -6
	s_add_co_i32 s7, s7, 32
	v_movrels_b32_e32 v134, v34
	ds_load_2addr_b32 v[126:127], v120 offset1:1
	ds_load_2addr_b32 v[128:129], v120 offset0:2 offset1:3
	s_add_co_i32 m0, s2, -5
	s_wait_dscnt 0x1
	v_fmac_f32_e32 v124, v125, v126
	ds_load_2addr_b32 v[130:131], v120 offset0:4 offset1:5
	ds_load_2addr_b32 v[132:133], v120 offset0:6 offset1:7
	v_movrels_b32_e32 v120, v34
	s_add_co_i32 m0, s2, -4
	v_fmac_f32_e32 v124, v134, v127
	v_movrels_b32_e32 v125, v34
	s_add_co_i32 m0, s2, -3
	s_wait_dscnt 0x2
	s_delay_alu instid0(VALU_DEP_2) | instskip(SKIP_2) | instid1(VALU_DEP_2)
	v_fmac_f32_e32 v124, v120, v128
	v_movrels_b32_e32 v120, v34
	s_add_co_i32 m0, s2, -2
	v_fmac_f32_e32 v124, v125, v129
	v_movrels_b32_e32 v125, v34
	s_add_co_i32 m0, s2, -1
	s_wait_dscnt 0x1
	s_delay_alu instid0(VALU_DEP_2)
	v_fmac_f32_e32 v124, v120, v130
	v_movrels_b32_e32 v120, v34
	s_mov_b32 m0, s2
	s_add_nc_u64 s[2:3], s[2:3], 8
	v_movrels_b32_e32 v126, v34
	v_dual_fmac_f32 v124, v125, v131 :: v_dual_add_nc_u32 v125, s2, v122
	s_add_co_i32 s8, s2, -7
	s_wait_dscnt 0x0
	s_delay_alu instid0(VALU_DEP_1) | instskip(NEXT) | instid1(VALU_DEP_2)
	v_fmac_f32_e32 v124, v120, v132
	v_cmp_eq_u32_e32 vcc_lo, 22, v125
	s_delay_alu instid0(VALU_DEP_2) | instskip(SKIP_1) | instid1(SALU_CYCLE_1)
	v_dual_mov_b32 v120, s8 :: v_dual_fmac_f32 v124, v126, v133
	s_or_b32 s6, vcc_lo, s6
	s_and_not1_b32 exec_lo, exec_lo, s6
	s_cbranch_execnz .LBB90_169
; %bb.170:
	s_or_b32 exec_lo, exec_lo, s6
.LBB90_171:
	s_delay_alu instid0(SALU_CYCLE_1) | instskip(SKIP_3) | instid1(VALU_DEP_1)
	s_or_b32 exec_lo, exec_lo, s1
	v_and_b32_e32 v61, 7, v121
	s_mov_b32 s2, 0
	s_mov_b32 s1, exec_lo
	v_cmpx_ne_u32_e32 0, v61
	s_cbranch_execz .LBB90_175
; %bb.172:
	v_lshl_add_u32 v62, v120, 2, 0x70
	v_mov_b32_e32 v121, 0
.LBB90_173:                             ; =>This Inner Loop Header: Depth=1
	v_cmp_eq_u32_e32 vcc_lo, 1, v120
	ds_load_b32 v64, v62
	v_dual_add_nc_u32 v61, -1, v61 :: v_dual_add_nc_u32 v62, 4, v62
	v_cndmask_b32_e32 v63, v34, v35, vcc_lo
	v_cmp_eq_u32_e32 vcc_lo, 2, v120
	s_delay_alu instid0(VALU_DEP_2) | instskip(SKIP_1) | instid1(VALU_DEP_2)
	v_cndmask_b32_e32 v63, v63, v36, vcc_lo
	v_cmp_eq_u32_e32 vcc_lo, 3, v120
	v_cndmask_b32_e32 v63, v63, v37, vcc_lo
	v_cmp_eq_u32_e32 vcc_lo, 4, v120
	s_delay_alu instid0(VALU_DEP_2) | instskip(SKIP_1) | instid1(VALU_DEP_2)
	v_cndmask_b32_e32 v63, v63, v38, vcc_lo
	v_cmp_eq_u32_e32 vcc_lo, 5, v120
	;; [unrolled: 5-line block ×12, first 2 shown]
	v_cndmask_b32_e32 v63, v63, v59, vcc_lo
	v_cmp_eq_u32_e32 vcc_lo, 26, v120
	v_add_nc_u64_e32 v[120:121], 1, v[120:121]
	s_delay_alu instid0(VALU_DEP_3) | instskip(SKIP_2) | instid1(VALU_DEP_2)
	v_cndmask_b32_e32 v63, v63, v60, vcc_lo
	v_cmp_eq_u32_e32 vcc_lo, 0, v61
	s_wait_dscnt 0x0
	v_fmac_f32_e32 v124, v63, v64
	s_or_b32 s2, vcc_lo, s2
	s_delay_alu instid0(SALU_CYCLE_1)
	s_and_not1_b32 exec_lo, exec_lo, s2
	s_cbranch_execnz .LBB90_173
; %bb.174:
	s_or_b32 exec_lo, exec_lo, s2
.LBB90_175:
	s_delay_alu instid0(SALU_CYCLE_1)
	s_or_b32 exec_lo, exec_lo, s1
.LBB90_176:
	s_delay_alu instid0(SALU_CYCLE_1)
	s_or_b32 exec_lo, exec_lo, s5
	v_mov_b32_e32 v48, 0
	ds_load_b32 v48, v48 offset:56
	s_wait_dscnt 0x0
	v_mul_f32_e32 v48, v124, v48
.LBB90_177:
	s_or_b32 exec_lo, exec_lo, s4
	v_cmp_lt_u32_e64 s1, 13, v0
	ds_store_b32 v123, v47
	s_wait_dscnt 0x0
	s_barrier_signal -1
	s_barrier_wait -1
	s_and_saveexec_b32 s4, s1
	s_cbranch_execz .LBB90_193
; %bb.178:
	s_and_not1_b32 vcc_lo, exec_lo, s27
	s_cbranch_vccnz .LBB90_180
; %bb.179:
	v_cmp_eq_u32_e32 vcc_lo, 1, v0
	ds_load_b32 v121, v123
	v_cndmask_b32_e32 v120, v34, v35, vcc_lo
	v_cmp_eq_u32_e32 vcc_lo, 2, v0
	s_delay_alu instid0(VALU_DEP_2) | instskip(SKIP_1) | instid1(VALU_DEP_2)
	v_cndmask_b32_e32 v120, v120, v36, vcc_lo
	v_cmp_eq_u32_e32 vcc_lo, 3, v0
	v_cndmask_b32_e32 v120, v120, v37, vcc_lo
	v_cmp_eq_u32_e32 vcc_lo, 4, v0
	s_delay_alu instid0(VALU_DEP_2) | instskip(SKIP_1) | instid1(VALU_DEP_2)
	v_cndmask_b32_e32 v120, v120, v38, vcc_lo
	v_cmp_eq_u32_e32 vcc_lo, 5, v0
	v_cndmask_b32_e32 v120, v120, v39, vcc_lo
	v_cmp_eq_u32_e32 vcc_lo, 6, v0
	s_delay_alu instid0(VALU_DEP_2) | instskip(SKIP_1) | instid1(VALU_DEP_2)
	v_cndmask_b32_e32 v120, v120, v40, vcc_lo
	v_cmp_eq_u32_e32 vcc_lo, 7, v0
	v_cndmask_b32_e32 v120, v120, v41, vcc_lo
	v_cmp_eq_u32_e32 vcc_lo, 8, v0
	s_delay_alu instid0(VALU_DEP_2) | instskip(SKIP_1) | instid1(VALU_DEP_2)
	v_cndmask_b32_e32 v120, v120, v42, vcc_lo
	v_cmp_eq_u32_e32 vcc_lo, 9, v0
	v_cndmask_b32_e32 v120, v120, v43, vcc_lo
	v_cmp_eq_u32_e32 vcc_lo, 10, v0
	s_delay_alu instid0(VALU_DEP_2) | instskip(SKIP_1) | instid1(VALU_DEP_2)
	v_cndmask_b32_e32 v120, v120, v44, vcc_lo
	v_cmp_eq_u32_e32 vcc_lo, 11, v0
	v_cndmask_b32_e32 v120, v120, v45, vcc_lo
	v_cmp_eq_u32_e32 vcc_lo, 12, v0
	s_delay_alu instid0(VALU_DEP_2) | instskip(SKIP_1) | instid1(VALU_DEP_2)
	v_cndmask_b32_e32 v120, v120, v46, vcc_lo
	v_cmp_eq_u32_e32 vcc_lo, 13, v0
	v_cndmask_b32_e32 v120, v120, v47, vcc_lo
	v_cmp_eq_u32_e32 vcc_lo, 14, v0
	s_delay_alu instid0(VALU_DEP_2) | instskip(SKIP_1) | instid1(VALU_DEP_2)
	v_cndmask_b32_e32 v120, v120, v48, vcc_lo
	v_cmp_eq_u32_e32 vcc_lo, 15, v0
	v_cndmask_b32_e32 v120, v120, v49, vcc_lo
	v_cmp_eq_u32_e32 vcc_lo, 16, v0
	s_delay_alu instid0(VALU_DEP_2) | instskip(SKIP_1) | instid1(VALU_DEP_2)
	v_cndmask_b32_e32 v120, v120, v50, vcc_lo
	v_cmp_eq_u32_e32 vcc_lo, 17, v0
	v_cndmask_b32_e32 v120, v120, v51, vcc_lo
	v_cmp_eq_u32_e32 vcc_lo, 18, v0
	s_delay_alu instid0(VALU_DEP_2) | instskip(SKIP_1) | instid1(VALU_DEP_2)
	v_cndmask_b32_e32 v120, v120, v52, vcc_lo
	v_cmp_eq_u32_e32 vcc_lo, 19, v0
	v_cndmask_b32_e32 v120, v120, v53, vcc_lo
	v_cmp_eq_u32_e32 vcc_lo, 20, v0
	s_delay_alu instid0(VALU_DEP_2) | instskip(SKIP_1) | instid1(VALU_DEP_2)
	v_cndmask_b32_e32 v120, v120, v54, vcc_lo
	v_cmp_eq_u32_e32 vcc_lo, 21, v0
	v_cndmask_b32_e32 v120, v120, v55, vcc_lo
	v_cmp_eq_u32_e32 vcc_lo, 22, v0
	s_delay_alu instid0(VALU_DEP_2) | instskip(SKIP_1) | instid1(VALU_DEP_2)
	v_cndmask_b32_e32 v120, v120, v56, vcc_lo
	v_cmp_eq_u32_e32 vcc_lo, 23, v0
	v_cndmask_b32_e32 v120, v120, v57, vcc_lo
	v_cmp_eq_u32_e32 vcc_lo, 24, v0
	s_delay_alu instid0(VALU_DEP_2) | instskip(SKIP_1) | instid1(VALU_DEP_2)
	v_cndmask_b32_e32 v120, v120, v58, vcc_lo
	v_cmp_eq_u32_e32 vcc_lo, 25, v0
	v_cndmask_b32_e32 v120, v120, v59, vcc_lo
	v_cmp_eq_u32_e32 vcc_lo, 26, v0
	s_delay_alu instid0(VALU_DEP_2) | instskip(SKIP_1) | instid1(VALU_DEP_1)
	v_cndmask_b32_e32 v120, v120, v60, vcc_lo
	s_wait_dscnt 0x0
	v_mul_f32_e32 v124, v120, v121
	s_cbranch_execz .LBB90_181
	s_branch .LBB90_182
.LBB90_180:
                                        ; implicit-def: $vgpr124
.LBB90_181:
	ds_load_b32 v124, v123
.LBB90_182:
	s_and_saveexec_b32 s5, s0
	s_cbranch_execz .LBB90_192
; %bb.183:
	v_dual_add_nc_u32 v120, -15, v0 :: v_dual_add_nc_u32 v121, -14, v0
	s_delay_alu instid0(VALU_DEP_1)
	v_cmp_lt_u32_e32 vcc_lo, 6, v120
	v_mov_b32_e32 v120, 14
	s_and_saveexec_b32 s0, vcc_lo
	s_cbranch_execz .LBB90_187
; %bb.184:
	v_and_b32_e32 v120, -8, v121
	s_mov_b32 s6, 0
	s_mov_b64 s[2:3], 21
	s_movk_i32 s7, 0xa8
	s_delay_alu instid0(VALU_DEP_1)
	v_sub_nc_u32_e32 v122, 0, v120
.LBB90_185:                             ; =>This Inner Loop Header: Depth=1
	s_add_co_i32 m0, s2, -7
	v_movrels_b32_e32 v125, v34
	v_mov_b32_e32 v120, s7
	s_add_co_i32 m0, s2, -6
	s_add_co_i32 s7, s7, 32
	v_movrels_b32_e32 v134, v34
	s_add_co_i32 m0, s2, -5
	ds_load_2addr_b64 v[126:129], v120 offset1:1
	ds_load_2addr_b64 v[130:133], v120 offset0:2 offset1:3
	v_movrels_b32_e32 v120, v34
	s_add_co_i32 m0, s2, -4
	s_wait_dscnt 0x1
	v_fmac_f32_e32 v124, v125, v126
	v_movrels_b32_e32 v125, v34
	s_add_co_i32 m0, s2, -3
	s_delay_alu instid0(VALU_DEP_2) | instskip(NEXT) | instid1(VALU_DEP_1)
	v_fmac_f32_e32 v124, v134, v127
	v_fmac_f32_e32 v124, v120, v128
	v_movrels_b32_e32 v120, v34
	s_add_co_i32 m0, s2, -2
	s_delay_alu instid0(VALU_DEP_2) | instskip(SKIP_3) | instid1(VALU_DEP_2)
	v_fmac_f32_e32 v124, v125, v129
	v_movrels_b32_e32 v125, v34
	s_add_co_i32 m0, s2, -1
	s_wait_dscnt 0x0
	v_fmac_f32_e32 v124, v120, v130
	v_movrels_b32_e32 v120, v34
	s_mov_b32 m0, s2
	s_add_nc_u64 s[2:3], s[2:3], 8
	v_movrels_b32_e32 v126, v34
	v_dual_fmac_f32 v124, v125, v131 :: v_dual_add_nc_u32 v125, s2, v122
	s_add_co_i32 s8, s2, -7
	s_delay_alu instid0(VALU_DEP_1) | instskip(NEXT) | instid1(VALU_DEP_2)
	v_fmac_f32_e32 v124, v120, v132
	v_cmp_eq_u32_e32 vcc_lo, 21, v125
	s_delay_alu instid0(VALU_DEP_2) | instskip(SKIP_1) | instid1(SALU_CYCLE_1)
	v_dual_mov_b32 v120, s8 :: v_dual_fmac_f32 v124, v126, v133
	s_or_b32 s6, vcc_lo, s6
	s_and_not1_b32 exec_lo, exec_lo, s6
	s_cbranch_execnz .LBB90_185
; %bb.186:
	s_or_b32 exec_lo, exec_lo, s6
.LBB90_187:
	s_delay_alu instid0(SALU_CYCLE_1) | instskip(SKIP_3) | instid1(VALU_DEP_1)
	s_or_b32 exec_lo, exec_lo, s0
	v_and_b32_e32 v61, 7, v121
	s_mov_b32 s2, 0
	s_mov_b32 s0, exec_lo
	v_cmpx_ne_u32_e32 0, v61
	s_cbranch_execz .LBB90_191
; %bb.188:
	v_lshl_add_u32 v62, v120, 2, 0x70
	v_mov_b32_e32 v121, 0
.LBB90_189:                             ; =>This Inner Loop Header: Depth=1
	v_cmp_eq_u32_e32 vcc_lo, 1, v120
	ds_load_b32 v64, v62
	v_dual_add_nc_u32 v61, -1, v61 :: v_dual_add_nc_u32 v62, 4, v62
	v_cndmask_b32_e32 v63, v34, v35, vcc_lo
	v_cmp_eq_u32_e32 vcc_lo, 2, v120
	s_delay_alu instid0(VALU_DEP_2) | instskip(SKIP_1) | instid1(VALU_DEP_2)
	v_cndmask_b32_e32 v63, v63, v36, vcc_lo
	v_cmp_eq_u32_e32 vcc_lo, 3, v120
	v_cndmask_b32_e32 v63, v63, v37, vcc_lo
	v_cmp_eq_u32_e32 vcc_lo, 4, v120
	s_delay_alu instid0(VALU_DEP_2) | instskip(SKIP_1) | instid1(VALU_DEP_2)
	v_cndmask_b32_e32 v63, v63, v38, vcc_lo
	v_cmp_eq_u32_e32 vcc_lo, 5, v120
	;; [unrolled: 5-line block ×12, first 2 shown]
	v_cndmask_b32_e32 v63, v63, v59, vcc_lo
	v_cmp_eq_u32_e32 vcc_lo, 26, v120
	v_add_nc_u64_e32 v[120:121], 1, v[120:121]
	s_delay_alu instid0(VALU_DEP_3) | instskip(SKIP_2) | instid1(VALU_DEP_2)
	v_cndmask_b32_e32 v63, v63, v60, vcc_lo
	v_cmp_eq_u32_e32 vcc_lo, 0, v61
	s_wait_dscnt 0x0
	v_fmac_f32_e32 v124, v63, v64
	s_or_b32 s2, vcc_lo, s2
	s_delay_alu instid0(SALU_CYCLE_1)
	s_and_not1_b32 exec_lo, exec_lo, s2
	s_cbranch_execnz .LBB90_189
; %bb.190:
	s_or_b32 exec_lo, exec_lo, s2
.LBB90_191:
	s_delay_alu instid0(SALU_CYCLE_1)
	s_or_b32 exec_lo, exec_lo, s0
.LBB90_192:
	s_delay_alu instid0(SALU_CYCLE_1)
	s_or_b32 exec_lo, exec_lo, s5
	v_mov_b32_e32 v47, 0
	ds_load_b32 v47, v47 offset:52
	s_wait_dscnt 0x0
	v_mul_f32_e32 v47, v124, v47
.LBB90_193:
	s_or_b32 exec_lo, exec_lo, s4
	v_cmp_lt_u32_e64 s0, 12, v0
	ds_store_b32 v123, v46
	s_wait_dscnt 0x0
	s_barrier_signal -1
	s_barrier_wait -1
	s_and_saveexec_b32 s4, s0
	s_cbranch_execz .LBB90_209
; %bb.194:
	s_and_not1_b32 vcc_lo, exec_lo, s27
	s_cbranch_vccnz .LBB90_196
; %bb.195:
	v_cmp_eq_u32_e32 vcc_lo, 1, v0
	ds_load_b32 v121, v123
	v_cndmask_b32_e32 v120, v34, v35, vcc_lo
	v_cmp_eq_u32_e32 vcc_lo, 2, v0
	s_delay_alu instid0(VALU_DEP_2) | instskip(SKIP_1) | instid1(VALU_DEP_2)
	v_cndmask_b32_e32 v120, v120, v36, vcc_lo
	v_cmp_eq_u32_e32 vcc_lo, 3, v0
	v_cndmask_b32_e32 v120, v120, v37, vcc_lo
	v_cmp_eq_u32_e32 vcc_lo, 4, v0
	s_delay_alu instid0(VALU_DEP_2) | instskip(SKIP_1) | instid1(VALU_DEP_2)
	v_cndmask_b32_e32 v120, v120, v38, vcc_lo
	v_cmp_eq_u32_e32 vcc_lo, 5, v0
	;; [unrolled: 5-line block ×12, first 2 shown]
	v_cndmask_b32_e32 v120, v120, v59, vcc_lo
	v_cmp_eq_u32_e32 vcc_lo, 26, v0
	s_delay_alu instid0(VALU_DEP_2) | instskip(SKIP_1) | instid1(VALU_DEP_1)
	v_cndmask_b32_e32 v120, v120, v60, vcc_lo
	s_wait_dscnt 0x0
	v_mul_f32_e32 v124, v120, v121
	s_cbranch_execz .LBB90_197
	s_branch .LBB90_198
.LBB90_196:
                                        ; implicit-def: $vgpr124
.LBB90_197:
	ds_load_b32 v124, v123
.LBB90_198:
	s_and_saveexec_b32 s5, s1
	s_cbranch_execz .LBB90_208
; %bb.199:
	v_dual_add_nc_u32 v120, -14, v0 :: v_dual_add_nc_u32 v121, -13, v0
	s_delay_alu instid0(VALU_DEP_1)
	v_cmp_lt_u32_e32 vcc_lo, 6, v120
	v_mov_b32_e32 v120, 13
	s_and_saveexec_b32 s1, vcc_lo
	s_cbranch_execz .LBB90_203
; %bb.200:
	v_and_b32_e32 v120, -8, v121
	s_mov_b32 s6, 0
	s_mov_b64 s[2:3], 20
	s_movk_i32 s7, 0xa4
	s_delay_alu instid0(VALU_DEP_1)
	v_sub_nc_u32_e32 v122, 0, v120
.LBB90_201:                             ; =>This Inner Loop Header: Depth=1
	s_add_co_i32 m0, s2, -7
	v_movrels_b32_e32 v125, v34
	v_mov_b32_e32 v120, s7
	s_add_co_i32 m0, s2, -6
	s_add_co_i32 s7, s7, 32
	v_movrels_b32_e32 v134, v34
	ds_load_2addr_b32 v[126:127], v120 offset1:1
	ds_load_2addr_b32 v[128:129], v120 offset0:2 offset1:3
	s_add_co_i32 m0, s2, -5
	s_wait_dscnt 0x1
	v_fmac_f32_e32 v124, v125, v126
	ds_load_2addr_b32 v[130:131], v120 offset0:4 offset1:5
	ds_load_2addr_b32 v[132:133], v120 offset0:6 offset1:7
	v_movrels_b32_e32 v120, v34
	s_add_co_i32 m0, s2, -4
	v_fmac_f32_e32 v124, v134, v127
	v_movrels_b32_e32 v125, v34
	s_add_co_i32 m0, s2, -3
	s_wait_dscnt 0x2
	s_delay_alu instid0(VALU_DEP_2) | instskip(SKIP_2) | instid1(VALU_DEP_2)
	v_fmac_f32_e32 v124, v120, v128
	v_movrels_b32_e32 v120, v34
	s_add_co_i32 m0, s2, -2
	v_fmac_f32_e32 v124, v125, v129
	v_movrels_b32_e32 v125, v34
	s_add_co_i32 m0, s2, -1
	s_wait_dscnt 0x1
	s_delay_alu instid0(VALU_DEP_2)
	v_fmac_f32_e32 v124, v120, v130
	v_movrels_b32_e32 v120, v34
	s_mov_b32 m0, s2
	s_add_nc_u64 s[2:3], s[2:3], 8
	v_movrels_b32_e32 v126, v34
	v_dual_fmac_f32 v124, v125, v131 :: v_dual_add_nc_u32 v125, s2, v122
	s_add_co_i32 s8, s2, -7
	s_wait_dscnt 0x0
	s_delay_alu instid0(VALU_DEP_1) | instskip(NEXT) | instid1(VALU_DEP_2)
	v_fmac_f32_e32 v124, v120, v132
	v_cmp_eq_u32_e32 vcc_lo, 20, v125
	s_delay_alu instid0(VALU_DEP_2) | instskip(SKIP_1) | instid1(SALU_CYCLE_1)
	v_dual_mov_b32 v120, s8 :: v_dual_fmac_f32 v124, v126, v133
	s_or_b32 s6, vcc_lo, s6
	s_and_not1_b32 exec_lo, exec_lo, s6
	s_cbranch_execnz .LBB90_201
; %bb.202:
	s_or_b32 exec_lo, exec_lo, s6
.LBB90_203:
	s_delay_alu instid0(SALU_CYCLE_1) | instskip(SKIP_3) | instid1(VALU_DEP_1)
	s_or_b32 exec_lo, exec_lo, s1
	v_and_b32_e32 v61, 7, v121
	s_mov_b32 s2, 0
	s_mov_b32 s1, exec_lo
	v_cmpx_ne_u32_e32 0, v61
	s_cbranch_execz .LBB90_207
; %bb.204:
	v_lshl_add_u32 v62, v120, 2, 0x70
	v_mov_b32_e32 v121, 0
.LBB90_205:                             ; =>This Inner Loop Header: Depth=1
	v_cmp_eq_u32_e32 vcc_lo, 1, v120
	ds_load_b32 v64, v62
	v_dual_add_nc_u32 v61, -1, v61 :: v_dual_add_nc_u32 v62, 4, v62
	v_cndmask_b32_e32 v63, v34, v35, vcc_lo
	v_cmp_eq_u32_e32 vcc_lo, 2, v120
	s_delay_alu instid0(VALU_DEP_2) | instskip(SKIP_1) | instid1(VALU_DEP_2)
	v_cndmask_b32_e32 v63, v63, v36, vcc_lo
	v_cmp_eq_u32_e32 vcc_lo, 3, v120
	v_cndmask_b32_e32 v63, v63, v37, vcc_lo
	v_cmp_eq_u32_e32 vcc_lo, 4, v120
	s_delay_alu instid0(VALU_DEP_2) | instskip(SKIP_1) | instid1(VALU_DEP_2)
	v_cndmask_b32_e32 v63, v63, v38, vcc_lo
	v_cmp_eq_u32_e32 vcc_lo, 5, v120
	;; [unrolled: 5-line block ×12, first 2 shown]
	v_cndmask_b32_e32 v63, v63, v59, vcc_lo
	v_cmp_eq_u32_e32 vcc_lo, 26, v120
	v_add_nc_u64_e32 v[120:121], 1, v[120:121]
	s_delay_alu instid0(VALU_DEP_3) | instskip(SKIP_2) | instid1(VALU_DEP_2)
	v_cndmask_b32_e32 v63, v63, v60, vcc_lo
	v_cmp_eq_u32_e32 vcc_lo, 0, v61
	s_wait_dscnt 0x0
	v_fmac_f32_e32 v124, v63, v64
	s_or_b32 s2, vcc_lo, s2
	s_delay_alu instid0(SALU_CYCLE_1)
	s_and_not1_b32 exec_lo, exec_lo, s2
	s_cbranch_execnz .LBB90_205
; %bb.206:
	s_or_b32 exec_lo, exec_lo, s2
.LBB90_207:
	s_delay_alu instid0(SALU_CYCLE_1)
	s_or_b32 exec_lo, exec_lo, s1
.LBB90_208:
	s_delay_alu instid0(SALU_CYCLE_1)
	s_or_b32 exec_lo, exec_lo, s5
	v_mov_b32_e32 v46, 0
	ds_load_b32 v46, v46 offset:48
	s_wait_dscnt 0x0
	v_mul_f32_e32 v46, v124, v46
.LBB90_209:
	s_or_b32 exec_lo, exec_lo, s4
	v_cmp_lt_u32_e64 s1, 11, v0
	ds_store_b32 v123, v45
	s_wait_dscnt 0x0
	s_barrier_signal -1
	s_barrier_wait -1
	s_and_saveexec_b32 s4, s1
	s_cbranch_execz .LBB90_225
; %bb.210:
	s_and_not1_b32 vcc_lo, exec_lo, s27
	s_cbranch_vccnz .LBB90_212
; %bb.211:
	v_cmp_eq_u32_e32 vcc_lo, 1, v0
	ds_load_b32 v121, v123
	v_cndmask_b32_e32 v120, v34, v35, vcc_lo
	v_cmp_eq_u32_e32 vcc_lo, 2, v0
	s_delay_alu instid0(VALU_DEP_2) | instskip(SKIP_1) | instid1(VALU_DEP_2)
	v_cndmask_b32_e32 v120, v120, v36, vcc_lo
	v_cmp_eq_u32_e32 vcc_lo, 3, v0
	v_cndmask_b32_e32 v120, v120, v37, vcc_lo
	v_cmp_eq_u32_e32 vcc_lo, 4, v0
	s_delay_alu instid0(VALU_DEP_2) | instskip(SKIP_1) | instid1(VALU_DEP_2)
	v_cndmask_b32_e32 v120, v120, v38, vcc_lo
	v_cmp_eq_u32_e32 vcc_lo, 5, v0
	;; [unrolled: 5-line block ×12, first 2 shown]
	v_cndmask_b32_e32 v120, v120, v59, vcc_lo
	v_cmp_eq_u32_e32 vcc_lo, 26, v0
	s_delay_alu instid0(VALU_DEP_2) | instskip(SKIP_1) | instid1(VALU_DEP_1)
	v_cndmask_b32_e32 v120, v120, v60, vcc_lo
	s_wait_dscnt 0x0
	v_mul_f32_e32 v124, v120, v121
	s_cbranch_execz .LBB90_213
	s_branch .LBB90_214
.LBB90_212:
                                        ; implicit-def: $vgpr124
.LBB90_213:
	ds_load_b32 v124, v123
.LBB90_214:
	s_and_saveexec_b32 s5, s0
	s_cbranch_execz .LBB90_224
; %bb.215:
	v_dual_add_nc_u32 v120, -13, v0 :: v_dual_add_nc_u32 v121, -12, v0
	s_delay_alu instid0(VALU_DEP_1)
	v_cmp_lt_u32_e32 vcc_lo, 6, v120
	v_mov_b32_e32 v120, 12
	s_and_saveexec_b32 s0, vcc_lo
	s_cbranch_execz .LBB90_219
; %bb.216:
	v_and_b32_e32 v120, -8, v121
	s_mov_b32 s6, 0
	s_mov_b64 s[2:3], 19
	s_movk_i32 s7, 0xa0
	s_delay_alu instid0(VALU_DEP_1)
	v_sub_nc_u32_e32 v122, 0, v120
.LBB90_217:                             ; =>This Inner Loop Header: Depth=1
	s_add_co_i32 m0, s2, -7
	v_movrels_b32_e32 v125, v34
	v_mov_b32_e32 v120, s7
	s_add_co_i32 m0, s2, -6
	s_add_co_i32 s7, s7, 32
	v_movrels_b32_e32 v134, v34
	s_add_co_i32 m0, s2, -5
	ds_load_b128 v[126:129], v120
	ds_load_b128 v[130:133], v120 offset:16
	v_movrels_b32_e32 v120, v34
	s_add_co_i32 m0, s2, -4
	s_wait_dscnt 0x1
	v_fmac_f32_e32 v124, v125, v126
	v_movrels_b32_e32 v125, v34
	s_add_co_i32 m0, s2, -3
	s_delay_alu instid0(VALU_DEP_2) | instskip(NEXT) | instid1(VALU_DEP_1)
	v_fmac_f32_e32 v124, v134, v127
	v_fmac_f32_e32 v124, v120, v128
	v_movrels_b32_e32 v120, v34
	s_add_co_i32 m0, s2, -2
	s_delay_alu instid0(VALU_DEP_2) | instskip(SKIP_3) | instid1(VALU_DEP_2)
	v_fmac_f32_e32 v124, v125, v129
	v_movrels_b32_e32 v125, v34
	s_add_co_i32 m0, s2, -1
	s_wait_dscnt 0x0
	v_fmac_f32_e32 v124, v120, v130
	v_movrels_b32_e32 v120, v34
	s_mov_b32 m0, s2
	s_add_nc_u64 s[2:3], s[2:3], 8
	v_movrels_b32_e32 v126, v34
	v_dual_fmac_f32 v124, v125, v131 :: v_dual_add_nc_u32 v125, s2, v122
	s_add_co_i32 s8, s2, -7
	s_delay_alu instid0(VALU_DEP_1) | instskip(NEXT) | instid1(VALU_DEP_2)
	v_fmac_f32_e32 v124, v120, v132
	v_cmp_eq_u32_e32 vcc_lo, 19, v125
	s_delay_alu instid0(VALU_DEP_2) | instskip(SKIP_1) | instid1(SALU_CYCLE_1)
	v_dual_mov_b32 v120, s8 :: v_dual_fmac_f32 v124, v126, v133
	s_or_b32 s6, vcc_lo, s6
	s_and_not1_b32 exec_lo, exec_lo, s6
	s_cbranch_execnz .LBB90_217
; %bb.218:
	s_or_b32 exec_lo, exec_lo, s6
.LBB90_219:
	s_delay_alu instid0(SALU_CYCLE_1) | instskip(SKIP_3) | instid1(VALU_DEP_1)
	s_or_b32 exec_lo, exec_lo, s0
	v_and_b32_e32 v61, 7, v121
	s_mov_b32 s2, 0
	s_mov_b32 s0, exec_lo
	v_cmpx_ne_u32_e32 0, v61
	s_cbranch_execz .LBB90_223
; %bb.220:
	v_lshl_add_u32 v62, v120, 2, 0x70
	v_mov_b32_e32 v121, 0
.LBB90_221:                             ; =>This Inner Loop Header: Depth=1
	v_cmp_eq_u32_e32 vcc_lo, 1, v120
	ds_load_b32 v64, v62
	v_dual_add_nc_u32 v61, -1, v61 :: v_dual_add_nc_u32 v62, 4, v62
	v_cndmask_b32_e32 v63, v34, v35, vcc_lo
	v_cmp_eq_u32_e32 vcc_lo, 2, v120
	s_delay_alu instid0(VALU_DEP_2) | instskip(SKIP_1) | instid1(VALU_DEP_2)
	v_cndmask_b32_e32 v63, v63, v36, vcc_lo
	v_cmp_eq_u32_e32 vcc_lo, 3, v120
	v_cndmask_b32_e32 v63, v63, v37, vcc_lo
	v_cmp_eq_u32_e32 vcc_lo, 4, v120
	s_delay_alu instid0(VALU_DEP_2) | instskip(SKIP_1) | instid1(VALU_DEP_2)
	v_cndmask_b32_e32 v63, v63, v38, vcc_lo
	v_cmp_eq_u32_e32 vcc_lo, 5, v120
	;; [unrolled: 5-line block ×12, first 2 shown]
	v_cndmask_b32_e32 v63, v63, v59, vcc_lo
	v_cmp_eq_u32_e32 vcc_lo, 26, v120
	v_add_nc_u64_e32 v[120:121], 1, v[120:121]
	s_delay_alu instid0(VALU_DEP_3) | instskip(SKIP_2) | instid1(VALU_DEP_2)
	v_cndmask_b32_e32 v63, v63, v60, vcc_lo
	v_cmp_eq_u32_e32 vcc_lo, 0, v61
	s_wait_dscnt 0x0
	v_fmac_f32_e32 v124, v63, v64
	s_or_b32 s2, vcc_lo, s2
	s_delay_alu instid0(SALU_CYCLE_1)
	s_and_not1_b32 exec_lo, exec_lo, s2
	s_cbranch_execnz .LBB90_221
; %bb.222:
	s_or_b32 exec_lo, exec_lo, s2
.LBB90_223:
	s_delay_alu instid0(SALU_CYCLE_1)
	s_or_b32 exec_lo, exec_lo, s0
.LBB90_224:
	s_delay_alu instid0(SALU_CYCLE_1)
	s_or_b32 exec_lo, exec_lo, s5
	v_mov_b32_e32 v45, 0
	ds_load_b32 v45, v45 offset:44
	s_wait_dscnt 0x0
	v_mul_f32_e32 v45, v124, v45
.LBB90_225:
	s_or_b32 exec_lo, exec_lo, s4
	v_cmp_lt_u32_e64 s0, 10, v0
	ds_store_b32 v123, v44
	s_wait_dscnt 0x0
	s_barrier_signal -1
	s_barrier_wait -1
	s_and_saveexec_b32 s4, s0
	s_cbranch_execz .LBB90_241
; %bb.226:
	s_and_not1_b32 vcc_lo, exec_lo, s27
	s_cbranch_vccnz .LBB90_228
; %bb.227:
	v_cmp_eq_u32_e32 vcc_lo, 1, v0
	ds_load_b32 v121, v123
	v_cndmask_b32_e32 v120, v34, v35, vcc_lo
	v_cmp_eq_u32_e32 vcc_lo, 2, v0
	s_delay_alu instid0(VALU_DEP_2) | instskip(SKIP_1) | instid1(VALU_DEP_2)
	v_cndmask_b32_e32 v120, v120, v36, vcc_lo
	v_cmp_eq_u32_e32 vcc_lo, 3, v0
	v_cndmask_b32_e32 v120, v120, v37, vcc_lo
	v_cmp_eq_u32_e32 vcc_lo, 4, v0
	s_delay_alu instid0(VALU_DEP_2) | instskip(SKIP_1) | instid1(VALU_DEP_2)
	v_cndmask_b32_e32 v120, v120, v38, vcc_lo
	v_cmp_eq_u32_e32 vcc_lo, 5, v0
	;; [unrolled: 5-line block ×12, first 2 shown]
	v_cndmask_b32_e32 v120, v120, v59, vcc_lo
	v_cmp_eq_u32_e32 vcc_lo, 26, v0
	s_delay_alu instid0(VALU_DEP_2) | instskip(SKIP_1) | instid1(VALU_DEP_1)
	v_cndmask_b32_e32 v120, v120, v60, vcc_lo
	s_wait_dscnt 0x0
	v_mul_f32_e32 v124, v120, v121
	s_cbranch_execz .LBB90_229
	s_branch .LBB90_230
.LBB90_228:
                                        ; implicit-def: $vgpr124
.LBB90_229:
	ds_load_b32 v124, v123
.LBB90_230:
	s_and_saveexec_b32 s5, s1
	s_cbranch_execz .LBB90_240
; %bb.231:
	v_dual_add_nc_u32 v120, -12, v0 :: v_dual_add_nc_u32 v121, -11, v0
	s_delay_alu instid0(VALU_DEP_1)
	v_cmp_lt_u32_e32 vcc_lo, 6, v120
	v_mov_b32_e32 v120, 11
	s_and_saveexec_b32 s1, vcc_lo
	s_cbranch_execz .LBB90_235
; %bb.232:
	v_and_b32_e32 v120, -8, v121
	s_mov_b32 s6, 0
	s_mov_b64 s[2:3], 18
	s_movk_i32 s7, 0x9c
	s_delay_alu instid0(VALU_DEP_1)
	v_sub_nc_u32_e32 v122, 0, v120
.LBB90_233:                             ; =>This Inner Loop Header: Depth=1
	s_add_co_i32 m0, s2, -7
	v_movrels_b32_e32 v125, v34
	v_mov_b32_e32 v120, s7
	s_add_co_i32 m0, s2, -6
	s_add_co_i32 s7, s7, 32
	v_movrels_b32_e32 v134, v34
	ds_load_2addr_b32 v[126:127], v120 offset1:1
	ds_load_2addr_b32 v[128:129], v120 offset0:2 offset1:3
	s_add_co_i32 m0, s2, -5
	s_wait_dscnt 0x1
	v_fmac_f32_e32 v124, v125, v126
	ds_load_2addr_b32 v[130:131], v120 offset0:4 offset1:5
	ds_load_2addr_b32 v[132:133], v120 offset0:6 offset1:7
	v_movrels_b32_e32 v120, v34
	s_add_co_i32 m0, s2, -4
	v_fmac_f32_e32 v124, v134, v127
	v_movrels_b32_e32 v125, v34
	s_add_co_i32 m0, s2, -3
	s_wait_dscnt 0x2
	s_delay_alu instid0(VALU_DEP_2) | instskip(SKIP_2) | instid1(VALU_DEP_2)
	v_fmac_f32_e32 v124, v120, v128
	v_movrels_b32_e32 v120, v34
	s_add_co_i32 m0, s2, -2
	v_fmac_f32_e32 v124, v125, v129
	v_movrels_b32_e32 v125, v34
	s_add_co_i32 m0, s2, -1
	s_wait_dscnt 0x1
	s_delay_alu instid0(VALU_DEP_2)
	v_fmac_f32_e32 v124, v120, v130
	v_movrels_b32_e32 v120, v34
	s_mov_b32 m0, s2
	s_add_nc_u64 s[2:3], s[2:3], 8
	v_movrels_b32_e32 v126, v34
	v_dual_fmac_f32 v124, v125, v131 :: v_dual_add_nc_u32 v125, s2, v122
	s_add_co_i32 s8, s2, -7
	s_wait_dscnt 0x0
	s_delay_alu instid0(VALU_DEP_1) | instskip(NEXT) | instid1(VALU_DEP_2)
	v_fmac_f32_e32 v124, v120, v132
	v_cmp_eq_u32_e32 vcc_lo, 18, v125
	s_delay_alu instid0(VALU_DEP_2) | instskip(SKIP_1) | instid1(SALU_CYCLE_1)
	v_dual_mov_b32 v120, s8 :: v_dual_fmac_f32 v124, v126, v133
	s_or_b32 s6, vcc_lo, s6
	s_and_not1_b32 exec_lo, exec_lo, s6
	s_cbranch_execnz .LBB90_233
; %bb.234:
	s_or_b32 exec_lo, exec_lo, s6
.LBB90_235:
	s_delay_alu instid0(SALU_CYCLE_1) | instskip(SKIP_3) | instid1(VALU_DEP_1)
	s_or_b32 exec_lo, exec_lo, s1
	v_and_b32_e32 v61, 7, v121
	s_mov_b32 s2, 0
	s_mov_b32 s1, exec_lo
	v_cmpx_ne_u32_e32 0, v61
	s_cbranch_execz .LBB90_239
; %bb.236:
	v_lshl_add_u32 v62, v120, 2, 0x70
	v_mov_b32_e32 v121, 0
.LBB90_237:                             ; =>This Inner Loop Header: Depth=1
	v_cmp_eq_u32_e32 vcc_lo, 1, v120
	ds_load_b32 v64, v62
	v_dual_add_nc_u32 v61, -1, v61 :: v_dual_add_nc_u32 v62, 4, v62
	v_cndmask_b32_e32 v63, v34, v35, vcc_lo
	v_cmp_eq_u32_e32 vcc_lo, 2, v120
	s_delay_alu instid0(VALU_DEP_2) | instskip(SKIP_1) | instid1(VALU_DEP_2)
	v_cndmask_b32_e32 v63, v63, v36, vcc_lo
	v_cmp_eq_u32_e32 vcc_lo, 3, v120
	v_cndmask_b32_e32 v63, v63, v37, vcc_lo
	v_cmp_eq_u32_e32 vcc_lo, 4, v120
	s_delay_alu instid0(VALU_DEP_2) | instskip(SKIP_1) | instid1(VALU_DEP_2)
	v_cndmask_b32_e32 v63, v63, v38, vcc_lo
	v_cmp_eq_u32_e32 vcc_lo, 5, v120
	;; [unrolled: 5-line block ×12, first 2 shown]
	v_cndmask_b32_e32 v63, v63, v59, vcc_lo
	v_cmp_eq_u32_e32 vcc_lo, 26, v120
	v_add_nc_u64_e32 v[120:121], 1, v[120:121]
	s_delay_alu instid0(VALU_DEP_3) | instskip(SKIP_2) | instid1(VALU_DEP_2)
	v_cndmask_b32_e32 v63, v63, v60, vcc_lo
	v_cmp_eq_u32_e32 vcc_lo, 0, v61
	s_wait_dscnt 0x0
	v_fmac_f32_e32 v124, v63, v64
	s_or_b32 s2, vcc_lo, s2
	s_delay_alu instid0(SALU_CYCLE_1)
	s_and_not1_b32 exec_lo, exec_lo, s2
	s_cbranch_execnz .LBB90_237
; %bb.238:
	s_or_b32 exec_lo, exec_lo, s2
.LBB90_239:
	s_delay_alu instid0(SALU_CYCLE_1)
	s_or_b32 exec_lo, exec_lo, s1
.LBB90_240:
	s_delay_alu instid0(SALU_CYCLE_1)
	s_or_b32 exec_lo, exec_lo, s5
	v_mov_b32_e32 v44, 0
	ds_load_b32 v44, v44 offset:40
	s_wait_dscnt 0x0
	v_mul_f32_e32 v44, v124, v44
.LBB90_241:
	s_or_b32 exec_lo, exec_lo, s4
	v_cmp_lt_u32_e64 s1, 9, v0
	ds_store_b32 v123, v43
	s_wait_dscnt 0x0
	s_barrier_signal -1
	s_barrier_wait -1
	s_and_saveexec_b32 s4, s1
	s_cbranch_execz .LBB90_257
; %bb.242:
	s_and_not1_b32 vcc_lo, exec_lo, s27
	s_cbranch_vccnz .LBB90_244
; %bb.243:
	v_cmp_eq_u32_e32 vcc_lo, 1, v0
	ds_load_b32 v121, v123
	v_cndmask_b32_e32 v120, v34, v35, vcc_lo
	v_cmp_eq_u32_e32 vcc_lo, 2, v0
	s_delay_alu instid0(VALU_DEP_2) | instskip(SKIP_1) | instid1(VALU_DEP_2)
	v_cndmask_b32_e32 v120, v120, v36, vcc_lo
	v_cmp_eq_u32_e32 vcc_lo, 3, v0
	v_cndmask_b32_e32 v120, v120, v37, vcc_lo
	v_cmp_eq_u32_e32 vcc_lo, 4, v0
	s_delay_alu instid0(VALU_DEP_2) | instskip(SKIP_1) | instid1(VALU_DEP_2)
	v_cndmask_b32_e32 v120, v120, v38, vcc_lo
	v_cmp_eq_u32_e32 vcc_lo, 5, v0
	;; [unrolled: 5-line block ×12, first 2 shown]
	v_cndmask_b32_e32 v120, v120, v59, vcc_lo
	v_cmp_eq_u32_e32 vcc_lo, 26, v0
	s_delay_alu instid0(VALU_DEP_2) | instskip(SKIP_1) | instid1(VALU_DEP_1)
	v_cndmask_b32_e32 v120, v120, v60, vcc_lo
	s_wait_dscnt 0x0
	v_mul_f32_e32 v124, v120, v121
	s_cbranch_execz .LBB90_245
	s_branch .LBB90_246
.LBB90_244:
                                        ; implicit-def: $vgpr124
.LBB90_245:
	ds_load_b32 v124, v123
.LBB90_246:
	s_and_saveexec_b32 s5, s0
	s_cbranch_execz .LBB90_256
; %bb.247:
	v_dual_add_nc_u32 v120, -11, v0 :: v_dual_add_nc_u32 v121, -10, v0
	s_delay_alu instid0(VALU_DEP_1)
	v_cmp_lt_u32_e32 vcc_lo, 6, v120
	v_mov_b32_e32 v120, 10
	s_and_saveexec_b32 s0, vcc_lo
	s_cbranch_execz .LBB90_251
; %bb.248:
	v_and_b32_e32 v120, -8, v121
	s_mov_b32 s6, 0
	s_mov_b64 s[2:3], 17
	s_movk_i32 s7, 0x98
	s_delay_alu instid0(VALU_DEP_1)
	v_sub_nc_u32_e32 v122, 0, v120
.LBB90_249:                             ; =>This Inner Loop Header: Depth=1
	s_add_co_i32 m0, s2, -7
	v_movrels_b32_e32 v125, v34
	v_mov_b32_e32 v120, s7
	s_add_co_i32 m0, s2, -6
	s_add_co_i32 s7, s7, 32
	v_movrels_b32_e32 v134, v34
	s_add_co_i32 m0, s2, -5
	ds_load_2addr_b64 v[126:129], v120 offset1:1
	ds_load_2addr_b64 v[130:133], v120 offset0:2 offset1:3
	v_movrels_b32_e32 v120, v34
	s_add_co_i32 m0, s2, -4
	s_wait_dscnt 0x1
	v_fmac_f32_e32 v124, v125, v126
	v_movrels_b32_e32 v125, v34
	s_add_co_i32 m0, s2, -3
	s_delay_alu instid0(VALU_DEP_2) | instskip(NEXT) | instid1(VALU_DEP_1)
	v_fmac_f32_e32 v124, v134, v127
	v_fmac_f32_e32 v124, v120, v128
	v_movrels_b32_e32 v120, v34
	s_add_co_i32 m0, s2, -2
	s_delay_alu instid0(VALU_DEP_2) | instskip(SKIP_3) | instid1(VALU_DEP_2)
	v_fmac_f32_e32 v124, v125, v129
	v_movrels_b32_e32 v125, v34
	s_add_co_i32 m0, s2, -1
	s_wait_dscnt 0x0
	v_fmac_f32_e32 v124, v120, v130
	v_movrels_b32_e32 v120, v34
	s_mov_b32 m0, s2
	s_add_nc_u64 s[2:3], s[2:3], 8
	v_movrels_b32_e32 v126, v34
	v_dual_fmac_f32 v124, v125, v131 :: v_dual_add_nc_u32 v125, s2, v122
	s_add_co_i32 s8, s2, -7
	s_delay_alu instid0(VALU_DEP_1) | instskip(NEXT) | instid1(VALU_DEP_2)
	v_fmac_f32_e32 v124, v120, v132
	v_cmp_eq_u32_e32 vcc_lo, 17, v125
	s_delay_alu instid0(VALU_DEP_2) | instskip(SKIP_1) | instid1(SALU_CYCLE_1)
	v_dual_mov_b32 v120, s8 :: v_dual_fmac_f32 v124, v126, v133
	s_or_b32 s6, vcc_lo, s6
	s_and_not1_b32 exec_lo, exec_lo, s6
	s_cbranch_execnz .LBB90_249
; %bb.250:
	s_or_b32 exec_lo, exec_lo, s6
.LBB90_251:
	s_delay_alu instid0(SALU_CYCLE_1) | instskip(SKIP_3) | instid1(VALU_DEP_1)
	s_or_b32 exec_lo, exec_lo, s0
	v_and_b32_e32 v61, 7, v121
	s_mov_b32 s2, 0
	s_mov_b32 s0, exec_lo
	v_cmpx_ne_u32_e32 0, v61
	s_cbranch_execz .LBB90_255
; %bb.252:
	v_lshl_add_u32 v62, v120, 2, 0x70
	v_mov_b32_e32 v121, 0
.LBB90_253:                             ; =>This Inner Loop Header: Depth=1
	v_cmp_eq_u32_e32 vcc_lo, 1, v120
	ds_load_b32 v64, v62
	v_dual_add_nc_u32 v61, -1, v61 :: v_dual_add_nc_u32 v62, 4, v62
	v_cndmask_b32_e32 v63, v34, v35, vcc_lo
	v_cmp_eq_u32_e32 vcc_lo, 2, v120
	s_delay_alu instid0(VALU_DEP_2) | instskip(SKIP_1) | instid1(VALU_DEP_2)
	v_cndmask_b32_e32 v63, v63, v36, vcc_lo
	v_cmp_eq_u32_e32 vcc_lo, 3, v120
	v_cndmask_b32_e32 v63, v63, v37, vcc_lo
	v_cmp_eq_u32_e32 vcc_lo, 4, v120
	s_delay_alu instid0(VALU_DEP_2) | instskip(SKIP_1) | instid1(VALU_DEP_2)
	v_cndmask_b32_e32 v63, v63, v38, vcc_lo
	v_cmp_eq_u32_e32 vcc_lo, 5, v120
	;; [unrolled: 5-line block ×12, first 2 shown]
	v_cndmask_b32_e32 v63, v63, v59, vcc_lo
	v_cmp_eq_u32_e32 vcc_lo, 26, v120
	v_add_nc_u64_e32 v[120:121], 1, v[120:121]
	s_delay_alu instid0(VALU_DEP_3) | instskip(SKIP_2) | instid1(VALU_DEP_2)
	v_cndmask_b32_e32 v63, v63, v60, vcc_lo
	v_cmp_eq_u32_e32 vcc_lo, 0, v61
	s_wait_dscnt 0x0
	v_fmac_f32_e32 v124, v63, v64
	s_or_b32 s2, vcc_lo, s2
	s_delay_alu instid0(SALU_CYCLE_1)
	s_and_not1_b32 exec_lo, exec_lo, s2
	s_cbranch_execnz .LBB90_253
; %bb.254:
	s_or_b32 exec_lo, exec_lo, s2
.LBB90_255:
	s_delay_alu instid0(SALU_CYCLE_1)
	s_or_b32 exec_lo, exec_lo, s0
.LBB90_256:
	s_delay_alu instid0(SALU_CYCLE_1)
	s_or_b32 exec_lo, exec_lo, s5
	v_mov_b32_e32 v43, 0
	ds_load_b32 v43, v43 offset:36
	s_wait_dscnt 0x0
	v_mul_f32_e32 v43, v124, v43
.LBB90_257:
	s_or_b32 exec_lo, exec_lo, s4
	v_cmp_lt_u32_e64 s0, 8, v0
	ds_store_b32 v123, v42
	s_wait_dscnt 0x0
	s_barrier_signal -1
	s_barrier_wait -1
	s_and_saveexec_b32 s4, s0
	s_cbranch_execz .LBB90_273
; %bb.258:
	s_and_not1_b32 vcc_lo, exec_lo, s27
	s_cbranch_vccnz .LBB90_260
; %bb.259:
	v_cmp_eq_u32_e32 vcc_lo, 1, v0
	ds_load_b32 v121, v123
	v_cndmask_b32_e32 v120, v34, v35, vcc_lo
	v_cmp_eq_u32_e32 vcc_lo, 2, v0
	s_delay_alu instid0(VALU_DEP_2) | instskip(SKIP_1) | instid1(VALU_DEP_2)
	v_cndmask_b32_e32 v120, v120, v36, vcc_lo
	v_cmp_eq_u32_e32 vcc_lo, 3, v0
	v_cndmask_b32_e32 v120, v120, v37, vcc_lo
	v_cmp_eq_u32_e32 vcc_lo, 4, v0
	s_delay_alu instid0(VALU_DEP_2) | instskip(SKIP_1) | instid1(VALU_DEP_2)
	v_cndmask_b32_e32 v120, v120, v38, vcc_lo
	v_cmp_eq_u32_e32 vcc_lo, 5, v0
	;; [unrolled: 5-line block ×12, first 2 shown]
	v_cndmask_b32_e32 v120, v120, v59, vcc_lo
	v_cmp_eq_u32_e32 vcc_lo, 26, v0
	s_delay_alu instid0(VALU_DEP_2) | instskip(SKIP_1) | instid1(VALU_DEP_1)
	v_cndmask_b32_e32 v120, v120, v60, vcc_lo
	s_wait_dscnt 0x0
	v_mul_f32_e32 v124, v120, v121
	s_cbranch_execz .LBB90_261
	s_branch .LBB90_262
.LBB90_260:
                                        ; implicit-def: $vgpr124
.LBB90_261:
	ds_load_b32 v124, v123
.LBB90_262:
	s_and_saveexec_b32 s5, s1
	s_cbranch_execz .LBB90_272
; %bb.263:
	v_dual_add_nc_u32 v120, -10, v0 :: v_dual_add_nc_u32 v121, -9, v0
	s_delay_alu instid0(VALU_DEP_1)
	v_cmp_lt_u32_e32 vcc_lo, 6, v120
	v_mov_b32_e32 v120, 9
	s_and_saveexec_b32 s1, vcc_lo
	s_cbranch_execz .LBB90_267
; %bb.264:
	v_and_b32_e32 v120, -8, v121
	s_mov_b32 s6, 0
	s_mov_b64 s[2:3], 16
	s_movk_i32 s7, 0x94
	s_delay_alu instid0(VALU_DEP_1)
	v_sub_nc_u32_e32 v122, 0, v120
.LBB90_265:                             ; =>This Inner Loop Header: Depth=1
	s_add_co_i32 m0, s2, -7
	v_movrels_b32_e32 v125, v34
	v_mov_b32_e32 v120, s7
	s_add_co_i32 m0, s2, -6
	s_add_co_i32 s7, s7, 32
	v_movrels_b32_e32 v134, v34
	ds_load_2addr_b32 v[126:127], v120 offset1:1
	ds_load_2addr_b32 v[128:129], v120 offset0:2 offset1:3
	s_add_co_i32 m0, s2, -5
	s_wait_dscnt 0x1
	v_fmac_f32_e32 v124, v125, v126
	ds_load_2addr_b32 v[130:131], v120 offset0:4 offset1:5
	ds_load_2addr_b32 v[132:133], v120 offset0:6 offset1:7
	v_movrels_b32_e32 v120, v34
	s_add_co_i32 m0, s2, -4
	v_fmac_f32_e32 v124, v134, v127
	v_movrels_b32_e32 v125, v34
	s_add_co_i32 m0, s2, -3
	s_wait_dscnt 0x2
	s_delay_alu instid0(VALU_DEP_2) | instskip(SKIP_2) | instid1(VALU_DEP_2)
	v_fmac_f32_e32 v124, v120, v128
	v_movrels_b32_e32 v120, v34
	s_add_co_i32 m0, s2, -2
	v_fmac_f32_e32 v124, v125, v129
	v_movrels_b32_e32 v125, v34
	s_add_co_i32 m0, s2, -1
	s_wait_dscnt 0x1
	s_delay_alu instid0(VALU_DEP_2)
	v_fmac_f32_e32 v124, v120, v130
	v_movrels_b32_e32 v120, v34
	s_mov_b32 m0, s2
	s_add_nc_u64 s[2:3], s[2:3], 8
	v_movrels_b32_e32 v126, v34
	v_dual_fmac_f32 v124, v125, v131 :: v_dual_add_nc_u32 v125, s2, v122
	s_add_co_i32 s8, s2, -7
	s_wait_dscnt 0x0
	s_delay_alu instid0(VALU_DEP_1) | instskip(NEXT) | instid1(VALU_DEP_2)
	v_fmac_f32_e32 v124, v120, v132
	v_cmp_eq_u32_e32 vcc_lo, 16, v125
	s_delay_alu instid0(VALU_DEP_2) | instskip(SKIP_1) | instid1(SALU_CYCLE_1)
	v_dual_mov_b32 v120, s8 :: v_dual_fmac_f32 v124, v126, v133
	s_or_b32 s6, vcc_lo, s6
	s_and_not1_b32 exec_lo, exec_lo, s6
	s_cbranch_execnz .LBB90_265
; %bb.266:
	s_or_b32 exec_lo, exec_lo, s6
.LBB90_267:
	s_delay_alu instid0(SALU_CYCLE_1) | instskip(SKIP_3) | instid1(VALU_DEP_1)
	s_or_b32 exec_lo, exec_lo, s1
	v_and_b32_e32 v61, 7, v121
	s_mov_b32 s2, 0
	s_mov_b32 s1, exec_lo
	v_cmpx_ne_u32_e32 0, v61
	s_cbranch_execz .LBB90_271
; %bb.268:
	v_lshl_add_u32 v62, v120, 2, 0x70
	v_mov_b32_e32 v121, 0
.LBB90_269:                             ; =>This Inner Loop Header: Depth=1
	v_cmp_eq_u32_e32 vcc_lo, 1, v120
	ds_load_b32 v64, v62
	v_dual_add_nc_u32 v61, -1, v61 :: v_dual_add_nc_u32 v62, 4, v62
	v_cndmask_b32_e32 v63, v34, v35, vcc_lo
	v_cmp_eq_u32_e32 vcc_lo, 2, v120
	s_delay_alu instid0(VALU_DEP_2) | instskip(SKIP_1) | instid1(VALU_DEP_2)
	v_cndmask_b32_e32 v63, v63, v36, vcc_lo
	v_cmp_eq_u32_e32 vcc_lo, 3, v120
	v_cndmask_b32_e32 v63, v63, v37, vcc_lo
	v_cmp_eq_u32_e32 vcc_lo, 4, v120
	s_delay_alu instid0(VALU_DEP_2) | instskip(SKIP_1) | instid1(VALU_DEP_2)
	v_cndmask_b32_e32 v63, v63, v38, vcc_lo
	v_cmp_eq_u32_e32 vcc_lo, 5, v120
	;; [unrolled: 5-line block ×12, first 2 shown]
	v_cndmask_b32_e32 v63, v63, v59, vcc_lo
	v_cmp_eq_u32_e32 vcc_lo, 26, v120
	v_add_nc_u64_e32 v[120:121], 1, v[120:121]
	s_delay_alu instid0(VALU_DEP_3) | instskip(SKIP_2) | instid1(VALU_DEP_2)
	v_cndmask_b32_e32 v63, v63, v60, vcc_lo
	v_cmp_eq_u32_e32 vcc_lo, 0, v61
	s_wait_dscnt 0x0
	v_fmac_f32_e32 v124, v63, v64
	s_or_b32 s2, vcc_lo, s2
	s_delay_alu instid0(SALU_CYCLE_1)
	s_and_not1_b32 exec_lo, exec_lo, s2
	s_cbranch_execnz .LBB90_269
; %bb.270:
	s_or_b32 exec_lo, exec_lo, s2
.LBB90_271:
	s_delay_alu instid0(SALU_CYCLE_1)
	s_or_b32 exec_lo, exec_lo, s1
.LBB90_272:
	s_delay_alu instid0(SALU_CYCLE_1)
	s_or_b32 exec_lo, exec_lo, s5
	v_mov_b32_e32 v42, 0
	ds_load_b32 v42, v42 offset:32
	s_wait_dscnt 0x0
	v_mul_f32_e32 v42, v124, v42
.LBB90_273:
	s_or_b32 exec_lo, exec_lo, s4
	v_cmp_lt_u32_e64 s1, 7, v0
	ds_store_b32 v123, v41
	s_wait_dscnt 0x0
	s_barrier_signal -1
	s_barrier_wait -1
	s_and_saveexec_b32 s4, s1
	s_cbranch_execz .LBB90_289
; %bb.274:
	s_and_not1_b32 vcc_lo, exec_lo, s27
	s_cbranch_vccnz .LBB90_276
; %bb.275:
	v_cmp_eq_u32_e32 vcc_lo, 1, v0
	ds_load_b32 v121, v123
	v_cndmask_b32_e32 v120, v34, v35, vcc_lo
	v_cmp_eq_u32_e32 vcc_lo, 2, v0
	s_delay_alu instid0(VALU_DEP_2) | instskip(SKIP_1) | instid1(VALU_DEP_2)
	v_cndmask_b32_e32 v120, v120, v36, vcc_lo
	v_cmp_eq_u32_e32 vcc_lo, 3, v0
	v_cndmask_b32_e32 v120, v120, v37, vcc_lo
	v_cmp_eq_u32_e32 vcc_lo, 4, v0
	s_delay_alu instid0(VALU_DEP_2) | instskip(SKIP_1) | instid1(VALU_DEP_2)
	v_cndmask_b32_e32 v120, v120, v38, vcc_lo
	v_cmp_eq_u32_e32 vcc_lo, 5, v0
	;; [unrolled: 5-line block ×12, first 2 shown]
	v_cndmask_b32_e32 v120, v120, v59, vcc_lo
	v_cmp_eq_u32_e32 vcc_lo, 26, v0
	s_delay_alu instid0(VALU_DEP_2) | instskip(SKIP_1) | instid1(VALU_DEP_1)
	v_cndmask_b32_e32 v120, v120, v60, vcc_lo
	s_wait_dscnt 0x0
	v_mul_f32_e32 v124, v120, v121
	s_cbranch_execz .LBB90_277
	s_branch .LBB90_278
.LBB90_276:
                                        ; implicit-def: $vgpr124
.LBB90_277:
	ds_load_b32 v124, v123
.LBB90_278:
	s_and_saveexec_b32 s5, s0
	s_cbranch_execz .LBB90_288
; %bb.279:
	v_add_nc_u32_e32 v120, -9, v0
	s_delay_alu instid0(VALU_DEP_1)
	v_cmp_lt_u32_e32 vcc_lo, 6, v120
	v_mov_b32_e32 v120, 8
	s_and_saveexec_b32 s0, vcc_lo
	s_cbranch_execz .LBB90_283
; %bb.280:
	v_and_b32_e32 v120, 24, v0
	s_mov_b32 s6, 0
	s_mov_b64 s[2:3], 15
	s_movk_i32 s7, 0x90
	s_delay_alu instid0(VALU_DEP_1)
	v_sub_nc_u32_e32 v122, 0, v120
.LBB90_281:                             ; =>This Inner Loop Header: Depth=1
	s_add_co_i32 m0, s2, -7
	v_movrels_b32_e32 v121, v34
	v_mov_b32_e32 v120, s7
	s_add_co_i32 m0, s2, -6
	s_add_co_i32 s7, s7, 32
	v_movrels_b32_e32 v125, v34
	s_add_co_i32 m0, s2, -5
	ds_load_b128 v[126:129], v120
	ds_load_b128 v[130:133], v120 offset:16
	v_movrels_b32_e32 v120, v34
	s_add_co_i32 m0, s2, -4
	s_wait_dscnt 0x1
	v_fmac_f32_e32 v124, v121, v126
	v_movrels_b32_e32 v121, v34
	s_add_co_i32 m0, s2, -3
	s_delay_alu instid0(VALU_DEP_2) | instskip(NEXT) | instid1(VALU_DEP_1)
	v_fmac_f32_e32 v124, v125, v127
	v_fmac_f32_e32 v124, v120, v128
	v_movrels_b32_e32 v120, v34
	s_add_co_i32 m0, s2, -2
	s_delay_alu instid0(VALU_DEP_2) | instskip(SKIP_3) | instid1(VALU_DEP_2)
	v_fmac_f32_e32 v124, v121, v129
	v_movrels_b32_e32 v121, v34
	s_add_co_i32 m0, s2, -1
	s_wait_dscnt 0x0
	v_fmac_f32_e32 v124, v120, v130
	v_movrels_b32_e32 v120, v34
	s_mov_b32 m0, s2
	s_add_nc_u64 s[2:3], s[2:3], 8
	v_movrels_b32_e32 v125, v34
	v_dual_fmac_f32 v124, v121, v131 :: v_dual_add_nc_u32 v121, s2, v122
	s_add_co_i32 s8, s2, -7
	s_delay_alu instid0(VALU_DEP_1) | instskip(NEXT) | instid1(VALU_DEP_2)
	v_fmac_f32_e32 v124, v120, v132
	v_cmp_eq_u32_e32 vcc_lo, 7, v121
	s_delay_alu instid0(VALU_DEP_2) | instskip(SKIP_1) | instid1(SALU_CYCLE_1)
	v_dual_mov_b32 v120, s8 :: v_dual_fmac_f32 v124, v125, v133
	s_or_b32 s6, vcc_lo, s6
	s_and_not1_b32 exec_lo, exec_lo, s6
	s_cbranch_execnz .LBB90_281
; %bb.282:
	s_or_b32 exec_lo, exec_lo, s6
.LBB90_283:
	s_delay_alu instid0(SALU_CYCLE_1) | instskip(SKIP_3) | instid1(VALU_DEP_1)
	s_or_b32 exec_lo, exec_lo, s0
	v_and_b32_e32 v61, 7, v0
	s_mov_b32 s2, 0
	s_mov_b32 s0, exec_lo
	v_cmpx_ne_u32_e32 0, v61
	s_cbranch_execz .LBB90_287
; %bb.284:
	v_lshl_add_u32 v62, v120, 2, 0x70
	v_mov_b32_e32 v121, 0
.LBB90_285:                             ; =>This Inner Loop Header: Depth=1
	v_cmp_eq_u32_e32 vcc_lo, 1, v120
	ds_load_b32 v64, v62
	v_dual_add_nc_u32 v61, -1, v61 :: v_dual_add_nc_u32 v62, 4, v62
	v_cndmask_b32_e32 v63, v34, v35, vcc_lo
	v_cmp_eq_u32_e32 vcc_lo, 2, v120
	s_delay_alu instid0(VALU_DEP_2) | instskip(SKIP_1) | instid1(VALU_DEP_2)
	v_cndmask_b32_e32 v63, v63, v36, vcc_lo
	v_cmp_eq_u32_e32 vcc_lo, 3, v120
	v_cndmask_b32_e32 v63, v63, v37, vcc_lo
	v_cmp_eq_u32_e32 vcc_lo, 4, v120
	s_delay_alu instid0(VALU_DEP_2) | instskip(SKIP_1) | instid1(VALU_DEP_2)
	v_cndmask_b32_e32 v63, v63, v38, vcc_lo
	v_cmp_eq_u32_e32 vcc_lo, 5, v120
	;; [unrolled: 5-line block ×12, first 2 shown]
	v_cndmask_b32_e32 v63, v63, v59, vcc_lo
	v_cmp_eq_u32_e32 vcc_lo, 26, v120
	v_add_nc_u64_e32 v[120:121], 1, v[120:121]
	s_delay_alu instid0(VALU_DEP_3) | instskip(SKIP_2) | instid1(VALU_DEP_2)
	v_cndmask_b32_e32 v63, v63, v60, vcc_lo
	v_cmp_eq_u32_e32 vcc_lo, 0, v61
	s_wait_dscnt 0x0
	v_fmac_f32_e32 v124, v63, v64
	s_or_b32 s2, vcc_lo, s2
	s_delay_alu instid0(SALU_CYCLE_1)
	s_and_not1_b32 exec_lo, exec_lo, s2
	s_cbranch_execnz .LBB90_285
; %bb.286:
	s_or_b32 exec_lo, exec_lo, s2
.LBB90_287:
	s_delay_alu instid0(SALU_CYCLE_1)
	s_or_b32 exec_lo, exec_lo, s0
.LBB90_288:
	s_delay_alu instid0(SALU_CYCLE_1)
	s_or_b32 exec_lo, exec_lo, s5
	v_mov_b32_e32 v41, 0
	ds_load_b32 v41, v41 offset:28
	s_wait_dscnt 0x0
	v_mul_f32_e32 v41, v124, v41
.LBB90_289:
	s_or_b32 exec_lo, exec_lo, s4
	v_cmp_lt_u32_e64 s0, 6, v0
	ds_store_b32 v123, v40
	s_wait_dscnt 0x0
	s_barrier_signal -1
	s_barrier_wait -1
	s_and_saveexec_b32 s4, s0
	s_cbranch_execz .LBB90_305
; %bb.290:
	s_and_not1_b32 vcc_lo, exec_lo, s27
	s_cbranch_vccnz .LBB90_292
; %bb.291:
	v_cmp_eq_u32_e32 vcc_lo, 1, v0
	ds_load_b32 v121, v123
	v_cndmask_b32_e32 v120, v34, v35, vcc_lo
	v_cmp_eq_u32_e32 vcc_lo, 2, v0
	s_delay_alu instid0(VALU_DEP_2) | instskip(SKIP_1) | instid1(VALU_DEP_2)
	v_cndmask_b32_e32 v120, v120, v36, vcc_lo
	v_cmp_eq_u32_e32 vcc_lo, 3, v0
	v_cndmask_b32_e32 v120, v120, v37, vcc_lo
	v_cmp_eq_u32_e32 vcc_lo, 4, v0
	s_delay_alu instid0(VALU_DEP_2) | instskip(SKIP_1) | instid1(VALU_DEP_2)
	v_cndmask_b32_e32 v120, v120, v38, vcc_lo
	v_cmp_eq_u32_e32 vcc_lo, 5, v0
	v_cndmask_b32_e32 v120, v120, v39, vcc_lo
	v_cmp_eq_u32_e32 vcc_lo, 6, v0
	s_delay_alu instid0(VALU_DEP_2) | instskip(SKIP_1) | instid1(VALU_DEP_2)
	v_cndmask_b32_e32 v120, v120, v40, vcc_lo
	v_cmp_eq_u32_e32 vcc_lo, 7, v0
	v_cndmask_b32_e32 v120, v120, v41, vcc_lo
	v_cmp_eq_u32_e32 vcc_lo, 8, v0
	s_delay_alu instid0(VALU_DEP_2) | instskip(SKIP_1) | instid1(VALU_DEP_2)
	v_cndmask_b32_e32 v120, v120, v42, vcc_lo
	v_cmp_eq_u32_e32 vcc_lo, 9, v0
	v_cndmask_b32_e32 v120, v120, v43, vcc_lo
	v_cmp_eq_u32_e32 vcc_lo, 10, v0
	s_delay_alu instid0(VALU_DEP_2) | instskip(SKIP_1) | instid1(VALU_DEP_2)
	v_cndmask_b32_e32 v120, v120, v44, vcc_lo
	v_cmp_eq_u32_e32 vcc_lo, 11, v0
	v_cndmask_b32_e32 v120, v120, v45, vcc_lo
	v_cmp_eq_u32_e32 vcc_lo, 12, v0
	s_delay_alu instid0(VALU_DEP_2) | instskip(SKIP_1) | instid1(VALU_DEP_2)
	v_cndmask_b32_e32 v120, v120, v46, vcc_lo
	v_cmp_eq_u32_e32 vcc_lo, 13, v0
	v_cndmask_b32_e32 v120, v120, v47, vcc_lo
	v_cmp_eq_u32_e32 vcc_lo, 14, v0
	s_delay_alu instid0(VALU_DEP_2) | instskip(SKIP_1) | instid1(VALU_DEP_2)
	v_cndmask_b32_e32 v120, v120, v48, vcc_lo
	v_cmp_eq_u32_e32 vcc_lo, 15, v0
	v_cndmask_b32_e32 v120, v120, v49, vcc_lo
	v_cmp_eq_u32_e32 vcc_lo, 16, v0
	s_delay_alu instid0(VALU_DEP_2) | instskip(SKIP_1) | instid1(VALU_DEP_2)
	v_cndmask_b32_e32 v120, v120, v50, vcc_lo
	v_cmp_eq_u32_e32 vcc_lo, 17, v0
	v_cndmask_b32_e32 v120, v120, v51, vcc_lo
	v_cmp_eq_u32_e32 vcc_lo, 18, v0
	s_delay_alu instid0(VALU_DEP_2) | instskip(SKIP_1) | instid1(VALU_DEP_2)
	v_cndmask_b32_e32 v120, v120, v52, vcc_lo
	v_cmp_eq_u32_e32 vcc_lo, 19, v0
	v_cndmask_b32_e32 v120, v120, v53, vcc_lo
	v_cmp_eq_u32_e32 vcc_lo, 20, v0
	s_delay_alu instid0(VALU_DEP_2) | instskip(SKIP_1) | instid1(VALU_DEP_2)
	v_cndmask_b32_e32 v120, v120, v54, vcc_lo
	v_cmp_eq_u32_e32 vcc_lo, 21, v0
	v_cndmask_b32_e32 v120, v120, v55, vcc_lo
	v_cmp_eq_u32_e32 vcc_lo, 22, v0
	s_delay_alu instid0(VALU_DEP_2) | instskip(SKIP_1) | instid1(VALU_DEP_2)
	v_cndmask_b32_e32 v120, v120, v56, vcc_lo
	v_cmp_eq_u32_e32 vcc_lo, 23, v0
	v_cndmask_b32_e32 v120, v120, v57, vcc_lo
	v_cmp_eq_u32_e32 vcc_lo, 24, v0
	s_delay_alu instid0(VALU_DEP_2) | instskip(SKIP_1) | instid1(VALU_DEP_2)
	v_cndmask_b32_e32 v120, v120, v58, vcc_lo
	v_cmp_eq_u32_e32 vcc_lo, 25, v0
	v_cndmask_b32_e32 v120, v120, v59, vcc_lo
	v_cmp_eq_u32_e32 vcc_lo, 26, v0
	s_delay_alu instid0(VALU_DEP_2) | instskip(SKIP_1) | instid1(VALU_DEP_1)
	v_cndmask_b32_e32 v120, v120, v60, vcc_lo
	s_wait_dscnt 0x0
	v_mul_f32_e32 v124, v120, v121
	s_cbranch_execz .LBB90_293
	s_branch .LBB90_294
.LBB90_292:
                                        ; implicit-def: $vgpr124
.LBB90_293:
	ds_load_b32 v124, v123
.LBB90_294:
	s_and_saveexec_b32 s5, s1
	s_cbranch_execz .LBB90_304
; %bb.295:
	v_dual_add_nc_u32 v120, -8, v0 :: v_dual_add_nc_u32 v121, -7, v0
	s_delay_alu instid0(VALU_DEP_1)
	v_cmp_lt_u32_e32 vcc_lo, 6, v120
	v_mov_b32_e32 v120, 7
	s_and_saveexec_b32 s1, vcc_lo
	s_cbranch_execz .LBB90_299
; %bb.296:
	v_and_b32_e32 v120, -8, v121
	s_mov_b32 s6, 0
	s_mov_b64 s[2:3], 14
	s_movk_i32 s7, 0x8c
	s_delay_alu instid0(VALU_DEP_1)
	v_sub_nc_u32_e32 v122, 0, v120
.LBB90_297:                             ; =>This Inner Loop Header: Depth=1
	s_add_co_i32 m0, s2, -7
	v_movrels_b32_e32 v125, v34
	v_mov_b32_e32 v120, s7
	s_add_co_i32 m0, s2, -6
	s_add_co_i32 s7, s7, 32
	v_movrels_b32_e32 v134, v34
	ds_load_2addr_b32 v[126:127], v120 offset1:1
	ds_load_2addr_b32 v[128:129], v120 offset0:2 offset1:3
	s_add_co_i32 m0, s2, -5
	s_wait_dscnt 0x1
	v_fmac_f32_e32 v124, v125, v126
	ds_load_2addr_b32 v[130:131], v120 offset0:4 offset1:5
	ds_load_2addr_b32 v[132:133], v120 offset0:6 offset1:7
	v_movrels_b32_e32 v120, v34
	s_add_co_i32 m0, s2, -4
	v_fmac_f32_e32 v124, v134, v127
	v_movrels_b32_e32 v125, v34
	s_add_co_i32 m0, s2, -3
	s_wait_dscnt 0x2
	s_delay_alu instid0(VALU_DEP_2) | instskip(SKIP_2) | instid1(VALU_DEP_2)
	v_fmac_f32_e32 v124, v120, v128
	v_movrels_b32_e32 v120, v34
	s_add_co_i32 m0, s2, -2
	v_fmac_f32_e32 v124, v125, v129
	v_movrels_b32_e32 v125, v34
	s_add_co_i32 m0, s2, -1
	s_wait_dscnt 0x1
	s_delay_alu instid0(VALU_DEP_2)
	v_fmac_f32_e32 v124, v120, v130
	v_movrels_b32_e32 v120, v34
	s_mov_b32 m0, s2
	s_add_nc_u64 s[2:3], s[2:3], 8
	v_movrels_b32_e32 v126, v34
	v_dual_fmac_f32 v124, v125, v131 :: v_dual_add_nc_u32 v125, s2, v122
	s_add_co_i32 s8, s2, -7
	s_wait_dscnt 0x0
	s_delay_alu instid0(VALU_DEP_1) | instskip(NEXT) | instid1(VALU_DEP_2)
	v_fmac_f32_e32 v124, v120, v132
	v_cmp_eq_u32_e32 vcc_lo, 14, v125
	s_delay_alu instid0(VALU_DEP_2) | instskip(SKIP_1) | instid1(SALU_CYCLE_1)
	v_dual_mov_b32 v120, s8 :: v_dual_fmac_f32 v124, v126, v133
	s_or_b32 s6, vcc_lo, s6
	s_and_not1_b32 exec_lo, exec_lo, s6
	s_cbranch_execnz .LBB90_297
; %bb.298:
	s_or_b32 exec_lo, exec_lo, s6
.LBB90_299:
	s_delay_alu instid0(SALU_CYCLE_1) | instskip(SKIP_3) | instid1(VALU_DEP_1)
	s_or_b32 exec_lo, exec_lo, s1
	v_and_b32_e32 v61, 7, v121
	s_mov_b32 s2, 0
	s_mov_b32 s1, exec_lo
	v_cmpx_ne_u32_e32 0, v61
	s_cbranch_execz .LBB90_303
; %bb.300:
	v_lshl_add_u32 v62, v120, 2, 0x70
	v_mov_b32_e32 v121, 0
.LBB90_301:                             ; =>This Inner Loop Header: Depth=1
	v_cmp_eq_u32_e32 vcc_lo, 1, v120
	ds_load_b32 v64, v62
	v_dual_add_nc_u32 v61, -1, v61 :: v_dual_add_nc_u32 v62, 4, v62
	v_cndmask_b32_e32 v63, v34, v35, vcc_lo
	v_cmp_eq_u32_e32 vcc_lo, 2, v120
	s_delay_alu instid0(VALU_DEP_2) | instskip(SKIP_1) | instid1(VALU_DEP_2)
	v_cndmask_b32_e32 v63, v63, v36, vcc_lo
	v_cmp_eq_u32_e32 vcc_lo, 3, v120
	v_cndmask_b32_e32 v63, v63, v37, vcc_lo
	v_cmp_eq_u32_e32 vcc_lo, 4, v120
	s_delay_alu instid0(VALU_DEP_2) | instskip(SKIP_1) | instid1(VALU_DEP_2)
	v_cndmask_b32_e32 v63, v63, v38, vcc_lo
	v_cmp_eq_u32_e32 vcc_lo, 5, v120
	;; [unrolled: 5-line block ×12, first 2 shown]
	v_cndmask_b32_e32 v63, v63, v59, vcc_lo
	v_cmp_eq_u32_e32 vcc_lo, 26, v120
	v_add_nc_u64_e32 v[120:121], 1, v[120:121]
	s_delay_alu instid0(VALU_DEP_3) | instskip(SKIP_2) | instid1(VALU_DEP_2)
	v_cndmask_b32_e32 v63, v63, v60, vcc_lo
	v_cmp_eq_u32_e32 vcc_lo, 0, v61
	s_wait_dscnt 0x0
	v_fmac_f32_e32 v124, v63, v64
	s_or_b32 s2, vcc_lo, s2
	s_delay_alu instid0(SALU_CYCLE_1)
	s_and_not1_b32 exec_lo, exec_lo, s2
	s_cbranch_execnz .LBB90_301
; %bb.302:
	s_or_b32 exec_lo, exec_lo, s2
.LBB90_303:
	s_delay_alu instid0(SALU_CYCLE_1)
	s_or_b32 exec_lo, exec_lo, s1
.LBB90_304:
	s_delay_alu instid0(SALU_CYCLE_1)
	s_or_b32 exec_lo, exec_lo, s5
	v_mov_b32_e32 v40, 0
	ds_load_b32 v40, v40 offset:24
	s_wait_dscnt 0x0
	v_mul_f32_e32 v40, v124, v40
.LBB90_305:
	s_or_b32 exec_lo, exec_lo, s4
	v_cmp_lt_u32_e64 s1, 5, v0
	ds_store_b32 v123, v39
	s_wait_dscnt 0x0
	s_barrier_signal -1
	s_barrier_wait -1
	s_and_saveexec_b32 s4, s1
	s_cbranch_execz .LBB90_321
; %bb.306:
	s_and_not1_b32 vcc_lo, exec_lo, s27
	s_cbranch_vccnz .LBB90_308
; %bb.307:
	v_cmp_eq_u32_e32 vcc_lo, 1, v0
	ds_load_b32 v121, v123
	v_cndmask_b32_e32 v120, v34, v35, vcc_lo
	v_cmp_eq_u32_e32 vcc_lo, 2, v0
	s_delay_alu instid0(VALU_DEP_2) | instskip(SKIP_1) | instid1(VALU_DEP_2)
	v_cndmask_b32_e32 v120, v120, v36, vcc_lo
	v_cmp_eq_u32_e32 vcc_lo, 3, v0
	v_cndmask_b32_e32 v120, v120, v37, vcc_lo
	v_cmp_eq_u32_e32 vcc_lo, 4, v0
	s_delay_alu instid0(VALU_DEP_2) | instskip(SKIP_1) | instid1(VALU_DEP_2)
	v_cndmask_b32_e32 v120, v120, v38, vcc_lo
	v_cmp_eq_u32_e32 vcc_lo, 5, v0
	;; [unrolled: 5-line block ×12, first 2 shown]
	v_cndmask_b32_e32 v120, v120, v59, vcc_lo
	v_cmp_eq_u32_e32 vcc_lo, 26, v0
	s_delay_alu instid0(VALU_DEP_2) | instskip(SKIP_1) | instid1(VALU_DEP_1)
	v_cndmask_b32_e32 v120, v120, v60, vcc_lo
	s_wait_dscnt 0x0
	v_mul_f32_e32 v124, v120, v121
	s_cbranch_execz .LBB90_309
	s_branch .LBB90_310
.LBB90_308:
                                        ; implicit-def: $vgpr124
.LBB90_309:
	ds_load_b32 v124, v123
.LBB90_310:
	s_and_saveexec_b32 s5, s0
	s_cbranch_execz .LBB90_320
; %bb.311:
	v_dual_add_nc_u32 v122, -7, v0 :: v_dual_add_nc_u32 v121, -6, v0
	v_mov_b32_e32 v120, 6
	s_mov_b32 s0, exec_lo
	s_delay_alu instid0(VALU_DEP_2)
	v_cmpx_lt_u32_e32 6, v122
	s_cbranch_execz .LBB90_315
; %bb.312:
	v_and_b32_e32 v120, -8, v121
	s_mov_b32 s6, 0
	s_mov_b64 s[2:3], 13
	s_movk_i32 s7, 0x88
	s_delay_alu instid0(VALU_DEP_1)
	v_sub_nc_u32_e32 v122, 0, v120
.LBB90_313:                             ; =>This Inner Loop Header: Depth=1
	s_add_co_i32 m0, s2, -7
	v_movrels_b32_e32 v125, v34
	v_mov_b32_e32 v120, s7
	s_add_co_i32 m0, s2, -6
	s_add_co_i32 s7, s7, 32
	v_movrels_b32_e32 v134, v34
	s_add_co_i32 m0, s2, -5
	ds_load_2addr_b64 v[126:129], v120 offset1:1
	ds_load_2addr_b64 v[130:133], v120 offset0:2 offset1:3
	v_movrels_b32_e32 v120, v34
	s_add_co_i32 m0, s2, -4
	s_wait_dscnt 0x1
	v_fmac_f32_e32 v124, v125, v126
	v_movrels_b32_e32 v125, v34
	s_add_co_i32 m0, s2, -3
	s_delay_alu instid0(VALU_DEP_2) | instskip(NEXT) | instid1(VALU_DEP_1)
	v_fmac_f32_e32 v124, v134, v127
	v_fmac_f32_e32 v124, v120, v128
	v_movrels_b32_e32 v120, v34
	s_add_co_i32 m0, s2, -2
	s_delay_alu instid0(VALU_DEP_2) | instskip(SKIP_3) | instid1(VALU_DEP_2)
	v_fmac_f32_e32 v124, v125, v129
	v_movrels_b32_e32 v125, v34
	s_add_co_i32 m0, s2, -1
	s_wait_dscnt 0x0
	v_fmac_f32_e32 v124, v120, v130
	v_movrels_b32_e32 v120, v34
	s_mov_b32 m0, s2
	s_add_nc_u64 s[2:3], s[2:3], 8
	v_movrels_b32_e32 v126, v34
	v_dual_fmac_f32 v124, v125, v131 :: v_dual_add_nc_u32 v125, s2, v122
	s_add_co_i32 s8, s2, -7
	s_delay_alu instid0(VALU_DEP_1) | instskip(NEXT) | instid1(VALU_DEP_2)
	v_fmac_f32_e32 v124, v120, v132
	v_cmp_eq_u32_e32 vcc_lo, 13, v125
	s_delay_alu instid0(VALU_DEP_2) | instskip(SKIP_1) | instid1(SALU_CYCLE_1)
	v_dual_mov_b32 v120, s8 :: v_dual_fmac_f32 v124, v126, v133
	s_or_b32 s6, vcc_lo, s6
	s_and_not1_b32 exec_lo, exec_lo, s6
	s_cbranch_execnz .LBB90_313
; %bb.314:
	s_or_b32 exec_lo, exec_lo, s6
.LBB90_315:
	s_delay_alu instid0(SALU_CYCLE_1) | instskip(SKIP_3) | instid1(VALU_DEP_1)
	s_or_b32 exec_lo, exec_lo, s0
	v_and_b32_e32 v61, 7, v121
	s_mov_b32 s2, 0
	s_mov_b32 s0, exec_lo
	v_cmpx_ne_u32_e32 0, v61
	s_cbranch_execz .LBB90_319
; %bb.316:
	v_lshl_add_u32 v62, v120, 2, 0x70
	v_mov_b32_e32 v121, 0
.LBB90_317:                             ; =>This Inner Loop Header: Depth=1
	v_cmp_eq_u32_e32 vcc_lo, 1, v120
	ds_load_b32 v64, v62
	v_dual_add_nc_u32 v61, -1, v61 :: v_dual_add_nc_u32 v62, 4, v62
	v_cndmask_b32_e32 v63, v34, v35, vcc_lo
	v_cmp_eq_u32_e32 vcc_lo, 2, v120
	s_delay_alu instid0(VALU_DEP_2) | instskip(SKIP_1) | instid1(VALU_DEP_2)
	v_cndmask_b32_e32 v63, v63, v36, vcc_lo
	v_cmp_eq_u32_e32 vcc_lo, 3, v120
	v_cndmask_b32_e32 v63, v63, v37, vcc_lo
	v_cmp_eq_u32_e32 vcc_lo, 4, v120
	s_delay_alu instid0(VALU_DEP_2) | instskip(SKIP_1) | instid1(VALU_DEP_2)
	v_cndmask_b32_e32 v63, v63, v38, vcc_lo
	v_cmp_eq_u32_e32 vcc_lo, 5, v120
	;; [unrolled: 5-line block ×12, first 2 shown]
	v_cndmask_b32_e32 v63, v63, v59, vcc_lo
	v_cmp_eq_u32_e32 vcc_lo, 26, v120
	v_add_nc_u64_e32 v[120:121], 1, v[120:121]
	s_delay_alu instid0(VALU_DEP_3) | instskip(SKIP_2) | instid1(VALU_DEP_2)
	v_cndmask_b32_e32 v63, v63, v60, vcc_lo
	v_cmp_eq_u32_e32 vcc_lo, 0, v61
	s_wait_dscnt 0x0
	v_fmac_f32_e32 v124, v63, v64
	s_or_b32 s2, vcc_lo, s2
	s_delay_alu instid0(SALU_CYCLE_1)
	s_and_not1_b32 exec_lo, exec_lo, s2
	s_cbranch_execnz .LBB90_317
; %bb.318:
	s_or_b32 exec_lo, exec_lo, s2
.LBB90_319:
	s_delay_alu instid0(SALU_CYCLE_1)
	s_or_b32 exec_lo, exec_lo, s0
.LBB90_320:
	s_delay_alu instid0(SALU_CYCLE_1)
	s_or_b32 exec_lo, exec_lo, s5
	v_mov_b32_e32 v39, 0
	ds_load_b32 v39, v39 offset:20
	s_wait_dscnt 0x0
	v_mul_f32_e32 v39, v124, v39
.LBB90_321:
	s_or_b32 exec_lo, exec_lo, s4
	v_cmp_lt_u32_e64 s0, 4, v0
	ds_store_b32 v123, v38
	s_wait_dscnt 0x0
	s_barrier_signal -1
	s_barrier_wait -1
	s_and_saveexec_b32 s4, s0
	s_cbranch_execz .LBB90_337
; %bb.322:
	s_and_not1_b32 vcc_lo, exec_lo, s27
	s_cbranch_vccnz .LBB90_324
; %bb.323:
	v_cmp_eq_u32_e32 vcc_lo, 1, v0
	ds_load_b32 v121, v123
	v_cndmask_b32_e32 v120, v34, v35, vcc_lo
	v_cmp_eq_u32_e32 vcc_lo, 2, v0
	s_delay_alu instid0(VALU_DEP_2) | instskip(SKIP_1) | instid1(VALU_DEP_2)
	v_cndmask_b32_e32 v120, v120, v36, vcc_lo
	v_cmp_eq_u32_e32 vcc_lo, 3, v0
	v_cndmask_b32_e32 v120, v120, v37, vcc_lo
	v_cmp_eq_u32_e32 vcc_lo, 4, v0
	s_delay_alu instid0(VALU_DEP_2) | instskip(SKIP_1) | instid1(VALU_DEP_2)
	v_cndmask_b32_e32 v120, v120, v38, vcc_lo
	v_cmp_eq_u32_e32 vcc_lo, 5, v0
	;; [unrolled: 5-line block ×12, first 2 shown]
	v_cndmask_b32_e32 v120, v120, v59, vcc_lo
	v_cmp_eq_u32_e32 vcc_lo, 26, v0
	s_delay_alu instid0(VALU_DEP_2) | instskip(SKIP_1) | instid1(VALU_DEP_1)
	v_cndmask_b32_e32 v120, v120, v60, vcc_lo
	s_wait_dscnt 0x0
	v_mul_f32_e32 v124, v120, v121
	s_cbranch_execz .LBB90_325
	s_branch .LBB90_326
.LBB90_324:
                                        ; implicit-def: $vgpr124
.LBB90_325:
	ds_load_b32 v124, v123
.LBB90_326:
	s_and_saveexec_b32 s5, s1
	s_cbranch_execz .LBB90_336
; %bb.327:
	v_dual_add_nc_u32 v120, -6, v0 :: v_dual_add_nc_u32 v121, -5, v0
	s_delay_alu instid0(VALU_DEP_1)
	v_cmp_lt_u32_e32 vcc_lo, 6, v120
	v_mov_b32_e32 v120, 5
	s_and_saveexec_b32 s1, vcc_lo
	s_cbranch_execz .LBB90_331
; %bb.328:
	v_and_b32_e32 v120, -8, v121
	s_mov_b32 s6, 0
	s_mov_b64 s[2:3], 12
	s_movk_i32 s7, 0x84
	s_delay_alu instid0(VALU_DEP_1)
	v_sub_nc_u32_e32 v122, 0, v120
.LBB90_329:                             ; =>This Inner Loop Header: Depth=1
	s_add_co_i32 m0, s2, -7
	v_movrels_b32_e32 v125, v34
	v_mov_b32_e32 v120, s7
	s_add_co_i32 m0, s2, -6
	s_add_co_i32 s7, s7, 32
	v_movrels_b32_e32 v134, v34
	ds_load_2addr_b32 v[126:127], v120 offset1:1
	ds_load_2addr_b32 v[128:129], v120 offset0:2 offset1:3
	s_add_co_i32 m0, s2, -5
	s_wait_dscnt 0x1
	v_fmac_f32_e32 v124, v125, v126
	ds_load_2addr_b32 v[130:131], v120 offset0:4 offset1:5
	ds_load_2addr_b32 v[132:133], v120 offset0:6 offset1:7
	v_movrels_b32_e32 v120, v34
	s_add_co_i32 m0, s2, -4
	v_fmac_f32_e32 v124, v134, v127
	v_movrels_b32_e32 v125, v34
	s_add_co_i32 m0, s2, -3
	s_wait_dscnt 0x2
	s_delay_alu instid0(VALU_DEP_2) | instskip(SKIP_2) | instid1(VALU_DEP_2)
	v_fmac_f32_e32 v124, v120, v128
	v_movrels_b32_e32 v120, v34
	s_add_co_i32 m0, s2, -2
	v_fmac_f32_e32 v124, v125, v129
	v_movrels_b32_e32 v125, v34
	s_add_co_i32 m0, s2, -1
	s_wait_dscnt 0x1
	s_delay_alu instid0(VALU_DEP_2)
	v_fmac_f32_e32 v124, v120, v130
	v_movrels_b32_e32 v120, v34
	s_mov_b32 m0, s2
	s_add_nc_u64 s[2:3], s[2:3], 8
	v_movrels_b32_e32 v126, v34
	v_dual_fmac_f32 v124, v125, v131 :: v_dual_add_nc_u32 v125, s2, v122
	s_add_co_i32 s8, s2, -7
	s_wait_dscnt 0x0
	s_delay_alu instid0(VALU_DEP_1) | instskip(NEXT) | instid1(VALU_DEP_2)
	v_fmac_f32_e32 v124, v120, v132
	v_cmp_eq_u32_e32 vcc_lo, 12, v125
	s_delay_alu instid0(VALU_DEP_2) | instskip(SKIP_1) | instid1(SALU_CYCLE_1)
	v_dual_mov_b32 v120, s8 :: v_dual_fmac_f32 v124, v126, v133
	s_or_b32 s6, vcc_lo, s6
	s_and_not1_b32 exec_lo, exec_lo, s6
	s_cbranch_execnz .LBB90_329
; %bb.330:
	s_or_b32 exec_lo, exec_lo, s6
.LBB90_331:
	s_delay_alu instid0(SALU_CYCLE_1) | instskip(SKIP_3) | instid1(VALU_DEP_1)
	s_or_b32 exec_lo, exec_lo, s1
	v_and_b32_e32 v61, 7, v121
	s_mov_b32 s2, 0
	s_mov_b32 s1, exec_lo
	v_cmpx_ne_u32_e32 0, v61
	s_cbranch_execz .LBB90_335
; %bb.332:
	v_lshl_add_u32 v62, v120, 2, 0x70
	v_mov_b32_e32 v121, 0
.LBB90_333:                             ; =>This Inner Loop Header: Depth=1
	v_cmp_eq_u32_e32 vcc_lo, 1, v120
	ds_load_b32 v64, v62
	v_dual_add_nc_u32 v61, -1, v61 :: v_dual_add_nc_u32 v62, 4, v62
	v_cndmask_b32_e32 v63, v34, v35, vcc_lo
	v_cmp_eq_u32_e32 vcc_lo, 2, v120
	s_delay_alu instid0(VALU_DEP_2) | instskip(SKIP_1) | instid1(VALU_DEP_2)
	v_cndmask_b32_e32 v63, v63, v36, vcc_lo
	v_cmp_eq_u32_e32 vcc_lo, 3, v120
	v_cndmask_b32_e32 v63, v63, v37, vcc_lo
	v_cmp_eq_u32_e32 vcc_lo, 4, v120
	s_delay_alu instid0(VALU_DEP_2) | instskip(SKIP_1) | instid1(VALU_DEP_2)
	v_cndmask_b32_e32 v63, v63, v38, vcc_lo
	v_cmp_eq_u32_e32 vcc_lo, 5, v120
	;; [unrolled: 5-line block ×12, first 2 shown]
	v_cndmask_b32_e32 v63, v63, v59, vcc_lo
	v_cmp_eq_u32_e32 vcc_lo, 26, v120
	v_add_nc_u64_e32 v[120:121], 1, v[120:121]
	s_delay_alu instid0(VALU_DEP_3) | instskip(SKIP_2) | instid1(VALU_DEP_2)
	v_cndmask_b32_e32 v63, v63, v60, vcc_lo
	v_cmp_eq_u32_e32 vcc_lo, 0, v61
	s_wait_dscnt 0x0
	v_fmac_f32_e32 v124, v63, v64
	s_or_b32 s2, vcc_lo, s2
	s_delay_alu instid0(SALU_CYCLE_1)
	s_and_not1_b32 exec_lo, exec_lo, s2
	s_cbranch_execnz .LBB90_333
; %bb.334:
	s_or_b32 exec_lo, exec_lo, s2
.LBB90_335:
	s_delay_alu instid0(SALU_CYCLE_1)
	s_or_b32 exec_lo, exec_lo, s1
.LBB90_336:
	s_delay_alu instid0(SALU_CYCLE_1)
	s_or_b32 exec_lo, exec_lo, s5
	v_mov_b32_e32 v38, 0
	ds_load_b32 v38, v38 offset:16
	s_wait_dscnt 0x0
	v_mul_f32_e32 v38, v124, v38
.LBB90_337:
	s_or_b32 exec_lo, exec_lo, s4
	v_cmp_lt_u32_e64 s1, 3, v0
	ds_store_b32 v123, v37
	s_wait_dscnt 0x0
	s_barrier_signal -1
	s_barrier_wait -1
	s_and_saveexec_b32 s4, s1
	s_cbranch_execz .LBB90_353
; %bb.338:
	s_and_not1_b32 vcc_lo, exec_lo, s27
	s_cbranch_vccnz .LBB90_340
; %bb.339:
	v_cmp_eq_u32_e32 vcc_lo, 1, v0
	ds_load_b32 v121, v123
	v_cndmask_b32_e32 v120, v34, v35, vcc_lo
	v_cmp_eq_u32_e32 vcc_lo, 2, v0
	s_delay_alu instid0(VALU_DEP_2) | instskip(SKIP_1) | instid1(VALU_DEP_2)
	v_cndmask_b32_e32 v120, v120, v36, vcc_lo
	v_cmp_eq_u32_e32 vcc_lo, 3, v0
	v_cndmask_b32_e32 v120, v120, v37, vcc_lo
	v_cmp_eq_u32_e32 vcc_lo, 4, v0
	s_delay_alu instid0(VALU_DEP_2) | instskip(SKIP_1) | instid1(VALU_DEP_2)
	v_cndmask_b32_e32 v120, v120, v38, vcc_lo
	v_cmp_eq_u32_e32 vcc_lo, 5, v0
	v_cndmask_b32_e32 v120, v120, v39, vcc_lo
	v_cmp_eq_u32_e32 vcc_lo, 6, v0
	s_delay_alu instid0(VALU_DEP_2) | instskip(SKIP_1) | instid1(VALU_DEP_2)
	v_cndmask_b32_e32 v120, v120, v40, vcc_lo
	v_cmp_eq_u32_e32 vcc_lo, 7, v0
	v_cndmask_b32_e32 v120, v120, v41, vcc_lo
	v_cmp_eq_u32_e32 vcc_lo, 8, v0
	s_delay_alu instid0(VALU_DEP_2) | instskip(SKIP_1) | instid1(VALU_DEP_2)
	v_cndmask_b32_e32 v120, v120, v42, vcc_lo
	v_cmp_eq_u32_e32 vcc_lo, 9, v0
	v_cndmask_b32_e32 v120, v120, v43, vcc_lo
	v_cmp_eq_u32_e32 vcc_lo, 10, v0
	s_delay_alu instid0(VALU_DEP_2) | instskip(SKIP_1) | instid1(VALU_DEP_2)
	v_cndmask_b32_e32 v120, v120, v44, vcc_lo
	v_cmp_eq_u32_e32 vcc_lo, 11, v0
	v_cndmask_b32_e32 v120, v120, v45, vcc_lo
	v_cmp_eq_u32_e32 vcc_lo, 12, v0
	s_delay_alu instid0(VALU_DEP_2) | instskip(SKIP_1) | instid1(VALU_DEP_2)
	v_cndmask_b32_e32 v120, v120, v46, vcc_lo
	v_cmp_eq_u32_e32 vcc_lo, 13, v0
	v_cndmask_b32_e32 v120, v120, v47, vcc_lo
	v_cmp_eq_u32_e32 vcc_lo, 14, v0
	s_delay_alu instid0(VALU_DEP_2) | instskip(SKIP_1) | instid1(VALU_DEP_2)
	v_cndmask_b32_e32 v120, v120, v48, vcc_lo
	v_cmp_eq_u32_e32 vcc_lo, 15, v0
	v_cndmask_b32_e32 v120, v120, v49, vcc_lo
	v_cmp_eq_u32_e32 vcc_lo, 16, v0
	s_delay_alu instid0(VALU_DEP_2) | instskip(SKIP_1) | instid1(VALU_DEP_2)
	v_cndmask_b32_e32 v120, v120, v50, vcc_lo
	v_cmp_eq_u32_e32 vcc_lo, 17, v0
	v_cndmask_b32_e32 v120, v120, v51, vcc_lo
	v_cmp_eq_u32_e32 vcc_lo, 18, v0
	s_delay_alu instid0(VALU_DEP_2) | instskip(SKIP_1) | instid1(VALU_DEP_2)
	v_cndmask_b32_e32 v120, v120, v52, vcc_lo
	v_cmp_eq_u32_e32 vcc_lo, 19, v0
	v_cndmask_b32_e32 v120, v120, v53, vcc_lo
	v_cmp_eq_u32_e32 vcc_lo, 20, v0
	s_delay_alu instid0(VALU_DEP_2) | instskip(SKIP_1) | instid1(VALU_DEP_2)
	v_cndmask_b32_e32 v120, v120, v54, vcc_lo
	v_cmp_eq_u32_e32 vcc_lo, 21, v0
	v_cndmask_b32_e32 v120, v120, v55, vcc_lo
	v_cmp_eq_u32_e32 vcc_lo, 22, v0
	s_delay_alu instid0(VALU_DEP_2) | instskip(SKIP_1) | instid1(VALU_DEP_2)
	v_cndmask_b32_e32 v120, v120, v56, vcc_lo
	v_cmp_eq_u32_e32 vcc_lo, 23, v0
	v_cndmask_b32_e32 v120, v120, v57, vcc_lo
	v_cmp_eq_u32_e32 vcc_lo, 24, v0
	s_delay_alu instid0(VALU_DEP_2) | instskip(SKIP_1) | instid1(VALU_DEP_2)
	v_cndmask_b32_e32 v120, v120, v58, vcc_lo
	v_cmp_eq_u32_e32 vcc_lo, 25, v0
	v_cndmask_b32_e32 v120, v120, v59, vcc_lo
	v_cmp_eq_u32_e32 vcc_lo, 26, v0
	s_delay_alu instid0(VALU_DEP_2) | instskip(SKIP_1) | instid1(VALU_DEP_1)
	v_cndmask_b32_e32 v120, v120, v60, vcc_lo
	s_wait_dscnt 0x0
	v_mul_f32_e32 v124, v120, v121
	s_cbranch_execz .LBB90_341
	s_branch .LBB90_342
.LBB90_340:
                                        ; implicit-def: $vgpr124
.LBB90_341:
	ds_load_b32 v124, v123
.LBB90_342:
	s_and_saveexec_b32 s5, s0
	s_cbranch_execz .LBB90_352
; %bb.343:
	v_dual_add_nc_u32 v120, -5, v0 :: v_dual_add_nc_u32 v121, -4, v0
	s_delay_alu instid0(VALU_DEP_1)
	v_cmp_lt_u32_e32 vcc_lo, 6, v120
	v_mov_b32_e32 v120, 4
	s_and_saveexec_b32 s0, vcc_lo
	s_cbranch_execz .LBB90_347
; %bb.344:
	v_and_b32_e32 v120, -8, v121
	s_mov_b32 s6, 0
	s_mov_b64 s[2:3], 5
	s_movk_i32 s7, 0x80
	s_delay_alu instid0(VALU_DEP_1)
	v_sub_nc_u32_e32 v122, 0, v120
.LBB90_345:                             ; =>This Inner Loop Header: Depth=1
	s_add_co_i32 m0, s2, -1
	v_movrels_b32_e32 v125, v34
	v_mov_b32_e32 v120, s7
	s_mov_b32 m0, s2
	s_add_co_i32 s7, s7, 32
	v_movrels_b32_e32 v134, v34
	s_add_co_i32 m0, s2, 1
	ds_load_b128 v[126:129], v120
	ds_load_b128 v[130:133], v120 offset:16
	v_movrels_b32_e32 v120, v34
	s_add_co_i32 m0, s2, 2
	s_wait_dscnt 0x1
	v_fmac_f32_e32 v124, v125, v126
	v_movrels_b32_e32 v125, v34
	s_add_co_i32 m0, s2, 3
	s_delay_alu instid0(VALU_DEP_2) | instskip(NEXT) | instid1(VALU_DEP_1)
	v_fmac_f32_e32 v124, v134, v127
	v_fmac_f32_e32 v124, v120, v128
	v_movrels_b32_e32 v120, v34
	s_add_co_i32 m0, s2, 4
	s_delay_alu instid0(VALU_DEP_2) | instskip(SKIP_3) | instid1(VALU_DEP_2)
	v_fmac_f32_e32 v124, v125, v129
	v_movrels_b32_e32 v125, v34
	s_add_co_i32 m0, s2, 5
	s_wait_dscnt 0x0
	v_fmac_f32_e32 v124, v120, v130
	v_movrels_b32_e32 v120, v34
	s_add_co_i32 m0, s2, 6
	s_add_nc_u64 s[2:3], s[2:3], 8
	v_movrels_b32_e32 v126, v34
	v_dual_fmac_f32 v124, v125, v131 :: v_dual_add_nc_u32 v125, s2, v122
	s_add_co_i32 s8, s2, -1
	s_delay_alu instid0(VALU_DEP_1) | instskip(NEXT) | instid1(VALU_DEP_2)
	v_fmac_f32_e32 v124, v120, v132
	v_cmp_eq_u32_e32 vcc_lo, 5, v125
	s_delay_alu instid0(VALU_DEP_2) | instskip(SKIP_1) | instid1(SALU_CYCLE_1)
	v_dual_mov_b32 v120, s8 :: v_dual_fmac_f32 v124, v126, v133
	s_or_b32 s6, vcc_lo, s6
	s_and_not1_b32 exec_lo, exec_lo, s6
	s_cbranch_execnz .LBB90_345
; %bb.346:
	s_or_b32 exec_lo, exec_lo, s6
.LBB90_347:
	s_delay_alu instid0(SALU_CYCLE_1) | instskip(SKIP_3) | instid1(VALU_DEP_1)
	s_or_b32 exec_lo, exec_lo, s0
	v_and_b32_e32 v61, 7, v121
	s_mov_b32 s2, 0
	s_mov_b32 s0, exec_lo
	v_cmpx_ne_u32_e32 0, v61
	s_cbranch_execz .LBB90_351
; %bb.348:
	v_lshl_add_u32 v62, v120, 2, 0x70
	v_mov_b32_e32 v121, 0
.LBB90_349:                             ; =>This Inner Loop Header: Depth=1
	v_cmp_eq_u32_e32 vcc_lo, 1, v120
	ds_load_b32 v64, v62
	v_dual_add_nc_u32 v61, -1, v61 :: v_dual_add_nc_u32 v62, 4, v62
	v_cndmask_b32_e32 v63, v34, v35, vcc_lo
	v_cmp_eq_u32_e32 vcc_lo, 2, v120
	s_delay_alu instid0(VALU_DEP_2) | instskip(SKIP_1) | instid1(VALU_DEP_2)
	v_cndmask_b32_e32 v63, v63, v36, vcc_lo
	v_cmp_eq_u32_e32 vcc_lo, 3, v120
	v_cndmask_b32_e32 v63, v63, v37, vcc_lo
	v_cmp_eq_u32_e32 vcc_lo, 4, v120
	s_delay_alu instid0(VALU_DEP_2) | instskip(SKIP_1) | instid1(VALU_DEP_2)
	v_cndmask_b32_e32 v63, v63, v38, vcc_lo
	v_cmp_eq_u32_e32 vcc_lo, 5, v120
	;; [unrolled: 5-line block ×12, first 2 shown]
	v_cndmask_b32_e32 v63, v63, v59, vcc_lo
	v_cmp_eq_u32_e32 vcc_lo, 26, v120
	v_add_nc_u64_e32 v[120:121], 1, v[120:121]
	s_delay_alu instid0(VALU_DEP_3) | instskip(SKIP_2) | instid1(VALU_DEP_2)
	v_cndmask_b32_e32 v63, v63, v60, vcc_lo
	v_cmp_eq_u32_e32 vcc_lo, 0, v61
	s_wait_dscnt 0x0
	v_fmac_f32_e32 v124, v63, v64
	s_or_b32 s2, vcc_lo, s2
	s_delay_alu instid0(SALU_CYCLE_1)
	s_and_not1_b32 exec_lo, exec_lo, s2
	s_cbranch_execnz .LBB90_349
; %bb.350:
	s_or_b32 exec_lo, exec_lo, s2
.LBB90_351:
	s_delay_alu instid0(SALU_CYCLE_1)
	s_or_b32 exec_lo, exec_lo, s0
.LBB90_352:
	s_delay_alu instid0(SALU_CYCLE_1)
	s_or_b32 exec_lo, exec_lo, s5
	v_mov_b32_e32 v37, 0
	ds_load_b32 v37, v37 offset:12
	s_wait_dscnt 0x0
	v_mul_f32_e32 v37, v124, v37
.LBB90_353:
	s_or_b32 exec_lo, exec_lo, s4
	v_cmp_lt_u32_e64 s0, 2, v0
	ds_store_b32 v123, v36
	s_wait_dscnt 0x0
	s_barrier_signal -1
	s_barrier_wait -1
	s_and_saveexec_b32 s4, s0
	s_cbranch_execz .LBB90_369
; %bb.354:
	s_and_not1_b32 vcc_lo, exec_lo, s27
	s_cbranch_vccnz .LBB90_356
; %bb.355:
	v_cmp_eq_u32_e32 vcc_lo, 1, v0
	ds_load_b32 v121, v123
	v_cndmask_b32_e32 v120, v34, v35, vcc_lo
	v_cmp_eq_u32_e32 vcc_lo, 2, v0
	s_delay_alu instid0(VALU_DEP_2) | instskip(SKIP_1) | instid1(VALU_DEP_2)
	v_cndmask_b32_e32 v120, v120, v36, vcc_lo
	v_cmp_eq_u32_e32 vcc_lo, 3, v0
	v_cndmask_b32_e32 v120, v120, v37, vcc_lo
	v_cmp_eq_u32_e32 vcc_lo, 4, v0
	s_delay_alu instid0(VALU_DEP_2) | instskip(SKIP_1) | instid1(VALU_DEP_2)
	v_cndmask_b32_e32 v120, v120, v38, vcc_lo
	v_cmp_eq_u32_e32 vcc_lo, 5, v0
	;; [unrolled: 5-line block ×12, first 2 shown]
	v_cndmask_b32_e32 v120, v120, v59, vcc_lo
	v_cmp_eq_u32_e32 vcc_lo, 26, v0
	s_delay_alu instid0(VALU_DEP_2) | instskip(SKIP_1) | instid1(VALU_DEP_1)
	v_cndmask_b32_e32 v120, v120, v60, vcc_lo
	s_wait_dscnt 0x0
	v_mul_f32_e32 v124, v120, v121
	s_cbranch_execz .LBB90_357
	s_branch .LBB90_358
.LBB90_356:
                                        ; implicit-def: $vgpr124
.LBB90_357:
	ds_load_b32 v124, v123
.LBB90_358:
	s_and_saveexec_b32 s5, s1
	s_cbranch_execz .LBB90_368
; %bb.359:
	v_dual_add_nc_u32 v120, -4, v0 :: v_dual_add_nc_u32 v121, -3, v0
	s_delay_alu instid0(VALU_DEP_1)
	v_cmp_lt_u32_e32 vcc_lo, 6, v120
	v_mov_b32_e32 v120, 3
	s_and_saveexec_b32 s1, vcc_lo
	s_cbranch_execz .LBB90_363
; %bb.360:
	v_and_b32_e32 v120, -8, v121
	s_mov_b32 s6, 0
	s_mov_b64 s[2:3], 10
	s_movk_i32 s7, 0x7c
	s_delay_alu instid0(VALU_DEP_1)
	v_sub_nc_u32_e32 v122, 0, v120
.LBB90_361:                             ; =>This Inner Loop Header: Depth=1
	s_add_co_i32 m0, s2, -7
	v_movrels_b32_e32 v125, v34
	v_mov_b32_e32 v120, s7
	s_add_co_i32 m0, s2, -6
	s_add_co_i32 s7, s7, 32
	v_movrels_b32_e32 v134, v34
	ds_load_2addr_b32 v[126:127], v120 offset1:1
	ds_load_2addr_b32 v[128:129], v120 offset0:2 offset1:3
	s_add_co_i32 m0, s2, -5
	s_wait_dscnt 0x1
	v_fmac_f32_e32 v124, v125, v126
	ds_load_2addr_b32 v[130:131], v120 offset0:4 offset1:5
	ds_load_2addr_b32 v[132:133], v120 offset0:6 offset1:7
	v_movrels_b32_e32 v120, v34
	s_add_co_i32 m0, s2, -4
	v_fmac_f32_e32 v124, v134, v127
	v_movrels_b32_e32 v125, v34
	s_add_co_i32 m0, s2, -3
	s_wait_dscnt 0x2
	s_delay_alu instid0(VALU_DEP_2) | instskip(SKIP_2) | instid1(VALU_DEP_2)
	v_fmac_f32_e32 v124, v120, v128
	v_movrels_b32_e32 v120, v34
	s_add_co_i32 m0, s2, -2
	v_fmac_f32_e32 v124, v125, v129
	v_movrels_b32_e32 v125, v34
	s_add_co_i32 m0, s2, -1
	s_wait_dscnt 0x1
	s_delay_alu instid0(VALU_DEP_2)
	v_fmac_f32_e32 v124, v120, v130
	v_movrels_b32_e32 v120, v34
	s_mov_b32 m0, s2
	s_add_nc_u64 s[2:3], s[2:3], 8
	v_movrels_b32_e32 v126, v34
	v_dual_fmac_f32 v124, v125, v131 :: v_dual_add_nc_u32 v125, s2, v122
	s_add_co_i32 s8, s2, -7
	s_wait_dscnt 0x0
	s_delay_alu instid0(VALU_DEP_1) | instskip(NEXT) | instid1(VALU_DEP_2)
	v_fmac_f32_e32 v124, v120, v132
	v_cmp_eq_u32_e32 vcc_lo, 10, v125
	s_delay_alu instid0(VALU_DEP_2) | instskip(SKIP_1) | instid1(SALU_CYCLE_1)
	v_dual_mov_b32 v120, s8 :: v_dual_fmac_f32 v124, v126, v133
	s_or_b32 s6, vcc_lo, s6
	s_and_not1_b32 exec_lo, exec_lo, s6
	s_cbranch_execnz .LBB90_361
; %bb.362:
	s_or_b32 exec_lo, exec_lo, s6
.LBB90_363:
	s_delay_alu instid0(SALU_CYCLE_1) | instskip(SKIP_3) | instid1(VALU_DEP_1)
	s_or_b32 exec_lo, exec_lo, s1
	v_and_b32_e32 v61, 7, v121
	s_mov_b32 s2, 0
	s_mov_b32 s1, exec_lo
	v_cmpx_ne_u32_e32 0, v61
	s_cbranch_execz .LBB90_367
; %bb.364:
	v_lshl_add_u32 v62, v120, 2, 0x70
	v_mov_b32_e32 v121, 0
.LBB90_365:                             ; =>This Inner Loop Header: Depth=1
	v_cmp_eq_u32_e32 vcc_lo, 1, v120
	ds_load_b32 v64, v62
	v_dual_add_nc_u32 v61, -1, v61 :: v_dual_add_nc_u32 v62, 4, v62
	v_cndmask_b32_e32 v63, v34, v35, vcc_lo
	v_cmp_eq_u32_e32 vcc_lo, 2, v120
	s_delay_alu instid0(VALU_DEP_2) | instskip(SKIP_1) | instid1(VALU_DEP_2)
	v_cndmask_b32_e32 v63, v63, v36, vcc_lo
	v_cmp_eq_u32_e32 vcc_lo, 3, v120
	v_cndmask_b32_e32 v63, v63, v37, vcc_lo
	v_cmp_eq_u32_e32 vcc_lo, 4, v120
	s_delay_alu instid0(VALU_DEP_2) | instskip(SKIP_1) | instid1(VALU_DEP_2)
	v_cndmask_b32_e32 v63, v63, v38, vcc_lo
	v_cmp_eq_u32_e32 vcc_lo, 5, v120
	;; [unrolled: 5-line block ×12, first 2 shown]
	v_cndmask_b32_e32 v63, v63, v59, vcc_lo
	v_cmp_eq_u32_e32 vcc_lo, 26, v120
	v_add_nc_u64_e32 v[120:121], 1, v[120:121]
	s_delay_alu instid0(VALU_DEP_3) | instskip(SKIP_2) | instid1(VALU_DEP_2)
	v_cndmask_b32_e32 v63, v63, v60, vcc_lo
	v_cmp_eq_u32_e32 vcc_lo, 0, v61
	s_wait_dscnt 0x0
	v_fmac_f32_e32 v124, v63, v64
	s_or_b32 s2, vcc_lo, s2
	s_delay_alu instid0(SALU_CYCLE_1)
	s_and_not1_b32 exec_lo, exec_lo, s2
	s_cbranch_execnz .LBB90_365
; %bb.366:
	s_or_b32 exec_lo, exec_lo, s2
.LBB90_367:
	s_delay_alu instid0(SALU_CYCLE_1)
	s_or_b32 exec_lo, exec_lo, s1
.LBB90_368:
	s_delay_alu instid0(SALU_CYCLE_1)
	s_or_b32 exec_lo, exec_lo, s5
	v_mov_b32_e32 v36, 0
	ds_load_b32 v36, v36 offset:8
	s_wait_dscnt 0x0
	v_mul_f32_e32 v36, v124, v36
.LBB90_369:
	s_or_b32 exec_lo, exec_lo, s4
	v_cmp_lt_u32_e64 s1, 1, v0
	ds_store_b32 v123, v35
	s_wait_dscnt 0x0
	s_barrier_signal -1
	s_barrier_wait -1
	s_and_saveexec_b32 s4, s1
	s_cbranch_execz .LBB90_385
; %bb.370:
	s_and_not1_b32 vcc_lo, exec_lo, s27
	s_cbranch_vccnz .LBB90_372
; %bb.371:
	v_cmp_eq_u32_e32 vcc_lo, 1, v0
	ds_load_b32 v121, v123
	v_cndmask_b32_e32 v120, v34, v35, vcc_lo
	v_cmp_eq_u32_e32 vcc_lo, 2, v0
	s_delay_alu instid0(VALU_DEP_2) | instskip(SKIP_1) | instid1(VALU_DEP_2)
	v_cndmask_b32_e32 v120, v120, v36, vcc_lo
	v_cmp_eq_u32_e32 vcc_lo, 3, v0
	v_cndmask_b32_e32 v120, v120, v37, vcc_lo
	v_cmp_eq_u32_e32 vcc_lo, 4, v0
	s_delay_alu instid0(VALU_DEP_2) | instskip(SKIP_1) | instid1(VALU_DEP_2)
	v_cndmask_b32_e32 v120, v120, v38, vcc_lo
	v_cmp_eq_u32_e32 vcc_lo, 5, v0
	v_cndmask_b32_e32 v120, v120, v39, vcc_lo
	v_cmp_eq_u32_e32 vcc_lo, 6, v0
	s_delay_alu instid0(VALU_DEP_2) | instskip(SKIP_1) | instid1(VALU_DEP_2)
	v_cndmask_b32_e32 v120, v120, v40, vcc_lo
	v_cmp_eq_u32_e32 vcc_lo, 7, v0
	v_cndmask_b32_e32 v120, v120, v41, vcc_lo
	v_cmp_eq_u32_e32 vcc_lo, 8, v0
	s_delay_alu instid0(VALU_DEP_2) | instskip(SKIP_1) | instid1(VALU_DEP_2)
	v_cndmask_b32_e32 v120, v120, v42, vcc_lo
	v_cmp_eq_u32_e32 vcc_lo, 9, v0
	v_cndmask_b32_e32 v120, v120, v43, vcc_lo
	v_cmp_eq_u32_e32 vcc_lo, 10, v0
	s_delay_alu instid0(VALU_DEP_2) | instskip(SKIP_1) | instid1(VALU_DEP_2)
	v_cndmask_b32_e32 v120, v120, v44, vcc_lo
	v_cmp_eq_u32_e32 vcc_lo, 11, v0
	v_cndmask_b32_e32 v120, v120, v45, vcc_lo
	v_cmp_eq_u32_e32 vcc_lo, 12, v0
	s_delay_alu instid0(VALU_DEP_2) | instskip(SKIP_1) | instid1(VALU_DEP_2)
	v_cndmask_b32_e32 v120, v120, v46, vcc_lo
	v_cmp_eq_u32_e32 vcc_lo, 13, v0
	v_cndmask_b32_e32 v120, v120, v47, vcc_lo
	v_cmp_eq_u32_e32 vcc_lo, 14, v0
	s_delay_alu instid0(VALU_DEP_2) | instskip(SKIP_1) | instid1(VALU_DEP_2)
	v_cndmask_b32_e32 v120, v120, v48, vcc_lo
	v_cmp_eq_u32_e32 vcc_lo, 15, v0
	v_cndmask_b32_e32 v120, v120, v49, vcc_lo
	v_cmp_eq_u32_e32 vcc_lo, 16, v0
	s_delay_alu instid0(VALU_DEP_2) | instskip(SKIP_1) | instid1(VALU_DEP_2)
	v_cndmask_b32_e32 v120, v120, v50, vcc_lo
	v_cmp_eq_u32_e32 vcc_lo, 17, v0
	v_cndmask_b32_e32 v120, v120, v51, vcc_lo
	v_cmp_eq_u32_e32 vcc_lo, 18, v0
	s_delay_alu instid0(VALU_DEP_2) | instskip(SKIP_1) | instid1(VALU_DEP_2)
	v_cndmask_b32_e32 v120, v120, v52, vcc_lo
	v_cmp_eq_u32_e32 vcc_lo, 19, v0
	v_cndmask_b32_e32 v120, v120, v53, vcc_lo
	v_cmp_eq_u32_e32 vcc_lo, 20, v0
	s_delay_alu instid0(VALU_DEP_2) | instskip(SKIP_1) | instid1(VALU_DEP_2)
	v_cndmask_b32_e32 v120, v120, v54, vcc_lo
	v_cmp_eq_u32_e32 vcc_lo, 21, v0
	v_cndmask_b32_e32 v120, v120, v55, vcc_lo
	v_cmp_eq_u32_e32 vcc_lo, 22, v0
	s_delay_alu instid0(VALU_DEP_2) | instskip(SKIP_1) | instid1(VALU_DEP_2)
	v_cndmask_b32_e32 v120, v120, v56, vcc_lo
	v_cmp_eq_u32_e32 vcc_lo, 23, v0
	v_cndmask_b32_e32 v120, v120, v57, vcc_lo
	v_cmp_eq_u32_e32 vcc_lo, 24, v0
	s_delay_alu instid0(VALU_DEP_2) | instskip(SKIP_1) | instid1(VALU_DEP_2)
	v_cndmask_b32_e32 v120, v120, v58, vcc_lo
	v_cmp_eq_u32_e32 vcc_lo, 25, v0
	v_cndmask_b32_e32 v120, v120, v59, vcc_lo
	v_cmp_eq_u32_e32 vcc_lo, 26, v0
	s_delay_alu instid0(VALU_DEP_2) | instskip(SKIP_1) | instid1(VALU_DEP_1)
	v_cndmask_b32_e32 v120, v120, v60, vcc_lo
	s_wait_dscnt 0x0
	v_mul_f32_e32 v124, v120, v121
	s_cbranch_execz .LBB90_373
	s_branch .LBB90_374
.LBB90_372:
                                        ; implicit-def: $vgpr124
.LBB90_373:
	ds_load_b32 v124, v123
.LBB90_374:
	s_and_saveexec_b32 s5, s0
	s_cbranch_execz .LBB90_384
; %bb.375:
	v_dual_add_nc_u32 v120, -3, v0 :: v_dual_add_nc_u32 v121, -2, v0
	s_delay_alu instid0(VALU_DEP_1)
	v_cmp_lt_u32_e32 vcc_lo, 6, v120
	v_mov_b32_e32 v120, 2
	s_and_saveexec_b32 s0, vcc_lo
	s_cbranch_execz .LBB90_379
; %bb.376:
	v_and_b32_e32 v120, -8, v121
	s_mov_b32 s6, 0
	s_mov_b64 s[2:3], 9
	s_movk_i32 s7, 0x78
	s_delay_alu instid0(VALU_DEP_1)
	v_sub_nc_u32_e32 v122, 0, v120
.LBB90_377:                             ; =>This Inner Loop Header: Depth=1
	s_add_co_i32 m0, s2, -7
	v_movrels_b32_e32 v125, v34
	v_mov_b32_e32 v120, s7
	s_add_co_i32 m0, s2, -6
	s_add_co_i32 s7, s7, 32
	v_movrels_b32_e32 v134, v34
	s_add_co_i32 m0, s2, -5
	ds_load_2addr_b64 v[126:129], v120 offset1:1
	ds_load_2addr_b64 v[130:133], v120 offset0:2 offset1:3
	v_movrels_b32_e32 v120, v34
	s_add_co_i32 m0, s2, -4
	s_wait_dscnt 0x1
	v_fmac_f32_e32 v124, v125, v126
	v_movrels_b32_e32 v125, v34
	s_add_co_i32 m0, s2, -3
	s_delay_alu instid0(VALU_DEP_2) | instskip(NEXT) | instid1(VALU_DEP_1)
	v_fmac_f32_e32 v124, v134, v127
	v_fmac_f32_e32 v124, v120, v128
	v_movrels_b32_e32 v120, v34
	s_add_co_i32 m0, s2, -2
	s_delay_alu instid0(VALU_DEP_2) | instskip(SKIP_3) | instid1(VALU_DEP_2)
	v_fmac_f32_e32 v124, v125, v129
	v_movrels_b32_e32 v125, v34
	s_add_co_i32 m0, s2, -1
	s_wait_dscnt 0x0
	v_fmac_f32_e32 v124, v120, v130
	v_movrels_b32_e32 v120, v34
	s_mov_b32 m0, s2
	s_add_nc_u64 s[2:3], s[2:3], 8
	v_movrels_b32_e32 v126, v34
	v_dual_fmac_f32 v124, v125, v131 :: v_dual_add_nc_u32 v125, s2, v122
	s_add_co_i32 s8, s2, -7
	s_delay_alu instid0(VALU_DEP_1) | instskip(NEXT) | instid1(VALU_DEP_2)
	v_fmac_f32_e32 v124, v120, v132
	v_cmp_eq_u32_e32 vcc_lo, 9, v125
	s_delay_alu instid0(VALU_DEP_2) | instskip(SKIP_1) | instid1(SALU_CYCLE_1)
	v_dual_mov_b32 v120, s8 :: v_dual_fmac_f32 v124, v126, v133
	s_or_b32 s6, vcc_lo, s6
	s_and_not1_b32 exec_lo, exec_lo, s6
	s_cbranch_execnz .LBB90_377
; %bb.378:
	s_or_b32 exec_lo, exec_lo, s6
.LBB90_379:
	s_delay_alu instid0(SALU_CYCLE_1) | instskip(SKIP_3) | instid1(VALU_DEP_1)
	s_or_b32 exec_lo, exec_lo, s0
	v_and_b32_e32 v61, 7, v121
	s_mov_b32 s2, 0
	s_mov_b32 s0, exec_lo
	v_cmpx_ne_u32_e32 0, v61
	s_cbranch_execz .LBB90_383
; %bb.380:
	v_lshl_add_u32 v62, v120, 2, 0x70
	v_mov_b32_e32 v121, 0
.LBB90_381:                             ; =>This Inner Loop Header: Depth=1
	v_cmp_eq_u32_e32 vcc_lo, 1, v120
	ds_load_b32 v64, v62
	v_dual_add_nc_u32 v61, -1, v61 :: v_dual_add_nc_u32 v62, 4, v62
	v_cndmask_b32_e32 v63, v34, v35, vcc_lo
	v_cmp_eq_u32_e32 vcc_lo, 2, v120
	s_delay_alu instid0(VALU_DEP_2) | instskip(SKIP_1) | instid1(VALU_DEP_2)
	v_cndmask_b32_e32 v63, v63, v36, vcc_lo
	v_cmp_eq_u32_e32 vcc_lo, 3, v120
	v_cndmask_b32_e32 v63, v63, v37, vcc_lo
	v_cmp_eq_u32_e32 vcc_lo, 4, v120
	s_delay_alu instid0(VALU_DEP_2) | instskip(SKIP_1) | instid1(VALU_DEP_2)
	v_cndmask_b32_e32 v63, v63, v38, vcc_lo
	v_cmp_eq_u32_e32 vcc_lo, 5, v120
	;; [unrolled: 5-line block ×12, first 2 shown]
	v_cndmask_b32_e32 v63, v63, v59, vcc_lo
	v_cmp_eq_u32_e32 vcc_lo, 26, v120
	v_add_nc_u64_e32 v[120:121], 1, v[120:121]
	s_delay_alu instid0(VALU_DEP_3) | instskip(SKIP_2) | instid1(VALU_DEP_2)
	v_cndmask_b32_e32 v63, v63, v60, vcc_lo
	v_cmp_eq_u32_e32 vcc_lo, 0, v61
	s_wait_dscnt 0x0
	v_fmac_f32_e32 v124, v63, v64
	s_or_b32 s2, vcc_lo, s2
	s_delay_alu instid0(SALU_CYCLE_1)
	s_and_not1_b32 exec_lo, exec_lo, s2
	s_cbranch_execnz .LBB90_381
; %bb.382:
	s_or_b32 exec_lo, exec_lo, s2
.LBB90_383:
	s_delay_alu instid0(SALU_CYCLE_1)
	s_or_b32 exec_lo, exec_lo, s0
.LBB90_384:
	s_delay_alu instid0(SALU_CYCLE_1)
	s_or_b32 exec_lo, exec_lo, s5
	v_mov_b32_e32 v35, 0
	ds_load_b32 v35, v35 offset:4
	s_wait_dscnt 0x0
	v_mul_f32_e32 v35, v124, v35
.LBB90_385:
	s_or_b32 exec_lo, exec_lo, s4
	s_mov_b32 s2, 0
	s_mov_b32 s3, exec_lo
	ds_store_b32 v123, v34
	s_wait_dscnt 0x0
	s_barrier_signal -1
	s_barrier_wait -1
	v_cmpx_ne_u32_e32 0, v0
	s_cbranch_execz .LBB90_401
; %bb.386:
	s_and_not1_b32 vcc_lo, exec_lo, s27
	s_cbranch_vccnz .LBB90_388
; %bb.387:
	v_cmp_eq_u32_e32 vcc_lo, 1, v0
	ds_load_b32 v121, v123
	v_cndmask_b32_e32 v120, v34, v35, vcc_lo
	v_cmp_eq_u32_e32 vcc_lo, 2, v0
	s_delay_alu instid0(VALU_DEP_2) | instskip(SKIP_1) | instid1(VALU_DEP_2)
	v_cndmask_b32_e32 v120, v120, v36, vcc_lo
	v_cmp_eq_u32_e32 vcc_lo, 3, v0
	v_cndmask_b32_e32 v120, v120, v37, vcc_lo
	v_cmp_eq_u32_e32 vcc_lo, 4, v0
	s_delay_alu instid0(VALU_DEP_2) | instskip(SKIP_1) | instid1(VALU_DEP_2)
	v_cndmask_b32_e32 v120, v120, v38, vcc_lo
	v_cmp_eq_u32_e32 vcc_lo, 5, v0
	;; [unrolled: 5-line block ×12, first 2 shown]
	v_cndmask_b32_e32 v120, v120, v59, vcc_lo
	v_cmp_eq_u32_e32 vcc_lo, 26, v0
	s_delay_alu instid0(VALU_DEP_2) | instskip(SKIP_1) | instid1(VALU_DEP_1)
	v_cndmask_b32_e32 v120, v120, v60, vcc_lo
	s_wait_dscnt 0x0
	v_mul_f32_e32 v124, v120, v121
	s_cbranch_execz .LBB90_389
	s_branch .LBB90_390
.LBB90_388:
                                        ; implicit-def: $vgpr124
.LBB90_389:
	ds_load_b32 v124, v123
.LBB90_390:
	s_and_saveexec_b32 s4, s1
	s_cbranch_execz .LBB90_400
; %bb.391:
	v_dual_add_nc_u32 v120, -2, v0 :: v_dual_add_nc_u32 v121, -1, v0
	s_delay_alu instid0(VALU_DEP_1)
	v_cmp_lt_u32_e32 vcc_lo, 6, v120
	v_mov_b32_e32 v120, 1
	s_and_saveexec_b32 s5, vcc_lo
	s_cbranch_execz .LBB90_395
; %bb.392:
	v_and_b32_e32 v120, -8, v121
	s_mov_b32 s6, 0
	s_mov_b64 s[0:1], 8
	s_movk_i32 s7, 0x74
	s_delay_alu instid0(VALU_DEP_1)
	v_sub_nc_u32_e32 v122, 0, v120
.LBB90_393:                             ; =>This Inner Loop Header: Depth=1
	s_add_co_i32 m0, s0, -7
	v_movrels_b32_e32 v125, v34
	v_mov_b32_e32 v120, s7
	s_add_co_i32 m0, s0, -6
	s_add_co_i32 s7, s7, 32
	v_movrels_b32_e32 v134, v34
	ds_load_2addr_b32 v[126:127], v120 offset1:1
	ds_load_2addr_b32 v[128:129], v120 offset0:2 offset1:3
	s_add_co_i32 m0, s0, -5
	s_wait_dscnt 0x1
	v_fmac_f32_e32 v124, v125, v126
	ds_load_2addr_b32 v[130:131], v120 offset0:4 offset1:5
	ds_load_2addr_b32 v[132:133], v120 offset0:6 offset1:7
	v_movrels_b32_e32 v120, v34
	s_add_co_i32 m0, s0, -4
	v_fmac_f32_e32 v124, v134, v127
	v_movrels_b32_e32 v125, v34
	s_add_co_i32 m0, s0, -3
	s_wait_dscnt 0x2
	s_delay_alu instid0(VALU_DEP_2) | instskip(SKIP_2) | instid1(VALU_DEP_2)
	v_fmac_f32_e32 v124, v120, v128
	v_movrels_b32_e32 v120, v34
	s_add_co_i32 m0, s0, -2
	v_fmac_f32_e32 v124, v125, v129
	v_movrels_b32_e32 v125, v34
	s_add_co_i32 m0, s0, -1
	s_wait_dscnt 0x1
	s_delay_alu instid0(VALU_DEP_2)
	v_fmac_f32_e32 v124, v120, v130
	v_movrels_b32_e32 v120, v34
	s_mov_b32 m0, s0
	s_add_nc_u64 s[0:1], s[0:1], 8
	v_movrels_b32_e32 v126, v34
	v_dual_fmac_f32 v124, v125, v131 :: v_dual_add_nc_u32 v125, s0, v122
	s_add_co_i32 s8, s0, -7
	s_wait_dscnt 0x0
	s_delay_alu instid0(VALU_DEP_1) | instskip(NEXT) | instid1(VALU_DEP_2)
	v_fmac_f32_e32 v124, v120, v132
	v_cmp_eq_u32_e32 vcc_lo, 8, v125
	s_delay_alu instid0(VALU_DEP_2) | instskip(SKIP_1) | instid1(SALU_CYCLE_1)
	v_dual_mov_b32 v120, s8 :: v_dual_fmac_f32 v124, v126, v133
	s_or_b32 s6, vcc_lo, s6
	s_and_not1_b32 exec_lo, exec_lo, s6
	s_cbranch_execnz .LBB90_393
; %bb.394:
	s_or_b32 exec_lo, exec_lo, s6
.LBB90_395:
	s_delay_alu instid0(SALU_CYCLE_1) | instskip(SKIP_3) | instid1(VALU_DEP_1)
	s_or_b32 exec_lo, exec_lo, s5
	v_and_b32_e32 v61, 7, v121
	s_mov_b32 s1, 0
	s_mov_b32 s0, exec_lo
	v_cmpx_ne_u32_e32 0, v61
	s_cbranch_execz .LBB90_399
; %bb.396:
	v_lshl_add_u32 v62, v120, 2, 0x70
	v_mov_b32_e32 v121, 0
.LBB90_397:                             ; =>This Inner Loop Header: Depth=1
	v_cmp_eq_u32_e32 vcc_lo, 1, v120
	ds_load_b32 v64, v62
	v_dual_add_nc_u32 v61, -1, v61 :: v_dual_add_nc_u32 v62, 4, v62
	v_cndmask_b32_e32 v63, v34, v35, vcc_lo
	v_cmp_eq_u32_e32 vcc_lo, 2, v120
	s_delay_alu instid0(VALU_DEP_2) | instskip(SKIP_1) | instid1(VALU_DEP_2)
	v_cndmask_b32_e32 v63, v63, v36, vcc_lo
	v_cmp_eq_u32_e32 vcc_lo, 3, v120
	v_cndmask_b32_e32 v63, v63, v37, vcc_lo
	v_cmp_eq_u32_e32 vcc_lo, 4, v120
	s_delay_alu instid0(VALU_DEP_2) | instskip(SKIP_1) | instid1(VALU_DEP_2)
	v_cndmask_b32_e32 v63, v63, v38, vcc_lo
	v_cmp_eq_u32_e32 vcc_lo, 5, v120
	;; [unrolled: 5-line block ×12, first 2 shown]
	v_cndmask_b32_e32 v63, v63, v59, vcc_lo
	v_cmp_eq_u32_e32 vcc_lo, 26, v120
	v_add_nc_u64_e32 v[120:121], 1, v[120:121]
	s_delay_alu instid0(VALU_DEP_3) | instskip(SKIP_2) | instid1(VALU_DEP_2)
	v_cndmask_b32_e32 v63, v63, v60, vcc_lo
	v_cmp_eq_u32_e32 vcc_lo, 0, v61
	s_wait_dscnt 0x0
	v_fmac_f32_e32 v124, v63, v64
	s_or_b32 s1, vcc_lo, s1
	s_delay_alu instid0(SALU_CYCLE_1)
	s_and_not1_b32 exec_lo, exec_lo, s1
	s_cbranch_execnz .LBB90_397
; %bb.398:
	s_or_b32 exec_lo, exec_lo, s1
.LBB90_399:
	s_delay_alu instid0(SALU_CYCLE_1)
	s_or_b32 exec_lo, exec_lo, s0
.LBB90_400:
	s_delay_alu instid0(SALU_CYCLE_1)
	s_or_b32 exec_lo, exec_lo, s4
	v_mov_b32_e32 v34, 0
	ds_load_b32 v34, v34
	s_wait_dscnt 0x0
	v_mul_f32_e32 v34, v124, v34
.LBB90_401:
	s_or_b32 exec_lo, exec_lo, s3
	s_delay_alu instid0(SALU_CYCLE_1)
	s_and_b32 vcc_lo, exec_lo, s2
	s_cbranch_vccz .LBB90_665
.LBB90_402:
	v_cmp_eq_u32_e64 s0, 0, v0
	s_wait_loadcnt_dscnt 0x1a1b
	ds_store_b32 v123, v3
	s_wait_loadcnt_dscnt 0x0
	s_barrier_signal -1
	s_barrier_wait -1
	s_and_saveexec_b32 s1, s0
	s_cbranch_execz .LBB90_408
; %bb.403:
	s_and_b32 vcc_lo, exec_lo, s27
	s_cbranch_vccz .LBB90_405
; %bb.404:
	v_cmp_eq_u32_e32 vcc_lo, 1, v0
	ds_load_b32 v29, v123
	v_cndmask_b32_e32 v3, v2, v3, vcc_lo
	v_cmp_eq_u32_e32 vcc_lo, 2, v0
	s_delay_alu instid0(VALU_DEP_2) | instskip(SKIP_1) | instid1(VALU_DEP_2)
	v_cndmask_b32_e32 v3, v3, v4, vcc_lo
	v_cmp_eq_u32_e32 vcc_lo, 3, v0
	v_cndmask_b32_e32 v3, v3, v5, vcc_lo
	v_cmp_eq_u32_e32 vcc_lo, 4, v0
	s_delay_alu instid0(VALU_DEP_2) | instskip(SKIP_1) | instid1(VALU_DEP_2)
	v_cndmask_b32_e32 v3, v3, v6, vcc_lo
	v_cmp_eq_u32_e32 vcc_lo, 5, v0
	;; [unrolled: 5-line block ×12, first 2 shown]
	v_cndmask_b32_e32 v3, v3, v27, vcc_lo
	v_cmp_eq_u32_e32 vcc_lo, 26, v0
	s_delay_alu instid0(VALU_DEP_2) | instskip(SKIP_1) | instid1(VALU_DEP_1)
	v_cndmask_b32_e32 v3, v3, v28, vcc_lo
	s_wait_dscnt 0x0
	v_mul_f32_e32 v3, v3, v29
	s_cbranch_execz .LBB90_406
	s_branch .LBB90_407
.LBB90_405:
                                        ; implicit-def: $vgpr3
.LBB90_406:
	ds_load_b32 v3, v123
.LBB90_407:
	v_mov_b32_e32 v29, 0
	ds_load_b32 v29, v29 offset:4
	s_wait_dscnt 0x0
	v_mul_f32_e32 v3, v3, v29
.LBB90_408:
	s_or_b32 exec_lo, exec_lo, s1
	v_cndmask_b32_e64 v34, 0, 1, s27
	s_mov_b32 s1, exec_lo
	ds_store_b32 v123, v4
	s_wait_dscnt 0x0
	s_barrier_signal -1
	s_barrier_wait -1
	v_cmpx_gt_u32_e32 2, v0
	s_cbranch_execz .LBB90_414
; %bb.409:
	s_and_not1_b32 vcc_lo, exec_lo, s27
	s_cbranch_vccnz .LBB90_411
; %bb.410:
	v_cmp_eq_u32_e32 vcc_lo, 1, v0
	v_cndmask_b32_e32 v29, v2, v3, vcc_lo
	v_cmp_eq_u32_e32 vcc_lo, 2, v0
	s_delay_alu instid0(VALU_DEP_2) | instskip(SKIP_4) | instid1(VALU_DEP_2)
	v_cndmask_b32_e32 v4, v29, v4, vcc_lo
	v_cmp_eq_u32_e32 vcc_lo, 3, v0
	ds_load_b32 v29, v123
	v_cndmask_b32_e32 v4, v4, v5, vcc_lo
	v_cmp_eq_u32_e32 vcc_lo, 4, v0
	v_cndmask_b32_e32 v4, v4, v6, vcc_lo
	v_cmp_eq_u32_e32 vcc_lo, 5, v0
	s_delay_alu instid0(VALU_DEP_2) | instskip(SKIP_1) | instid1(VALU_DEP_2)
	v_cndmask_b32_e32 v4, v4, v7, vcc_lo
	v_cmp_eq_u32_e32 vcc_lo, 6, v0
	v_cndmask_b32_e32 v4, v4, v8, vcc_lo
	v_cmp_eq_u32_e32 vcc_lo, 7, v0
	s_delay_alu instid0(VALU_DEP_2) | instskip(SKIP_1) | instid1(VALU_DEP_2)
	;; [unrolled: 5-line block ×11, first 2 shown]
	v_cndmask_b32_e32 v4, v4, v27, vcc_lo
	v_cmp_eq_u32_e32 vcc_lo, 26, v0
	v_cndmask_b32_e32 v4, v4, v28, vcc_lo
	s_wait_dscnt 0x0
	s_delay_alu instid0(VALU_DEP_1)
	v_mul_f32_e32 v4, v4, v29
	s_cbranch_execz .LBB90_412
	s_branch .LBB90_413
.LBB90_411:
                                        ; implicit-def: $vgpr4
.LBB90_412:
	ds_load_b32 v4, v123
.LBB90_413:
	v_mov_b32_e32 v29, 0
	ds_load_2addr_b32 v[30:31], v29 offset0:2 offset1:29
	s_wait_dscnt 0x0
	v_fma_f32 v29, v3, v31, v4
	s_delay_alu instid0(VALU_DEP_1) | instskip(NEXT) | instid1(VALU_DEP_1)
	v_cndmask_b32_e64 v4, v4, v29, s0
	v_mul_f32_e32 v4, v4, v30
.LBB90_414:
	s_or_b32 exec_lo, exec_lo, s1
	v_add_nc_u32_e32 v35, 1, v0
	v_cmp_gt_u32_e64 s1, 3, v0
	ds_store_b32 v123, v5
	s_wait_dscnt 0x0
	s_barrier_signal -1
	s_barrier_wait -1
	s_and_saveexec_b32 s2, s1
	s_cbranch_execz .LBB90_422
; %bb.415:
	v_cmp_ne_u32_e32 vcc_lo, 1, v34
	s_cbranch_vccnz .LBB90_417
; %bb.416:
	v_cmp_eq_u32_e32 vcc_lo, 1, v0
	ds_load_b32 v30, v123
	v_cndmask_b32_e32 v29, v2, v3, vcc_lo
	v_cmp_eq_u32_e32 vcc_lo, 2, v0
	s_delay_alu instid0(VALU_DEP_2) | instskip(SKIP_1) | instid1(VALU_DEP_2)
	v_cndmask_b32_e32 v29, v29, v4, vcc_lo
	v_cmp_eq_u32_e32 vcc_lo, 3, v0
	v_cndmask_b32_e32 v29, v29, v5, vcc_lo
	v_cmp_eq_u32_e32 vcc_lo, 4, v0
	s_delay_alu instid0(VALU_DEP_2) | instskip(SKIP_1) | instid1(VALU_DEP_2)
	v_cndmask_b32_e32 v29, v29, v6, vcc_lo
	v_cmp_eq_u32_e32 vcc_lo, 5, v0
	;; [unrolled: 5-line block ×12, first 2 shown]
	v_cndmask_b32_e32 v29, v29, v27, vcc_lo
	v_cmp_eq_u32_e32 vcc_lo, 26, v0
	s_delay_alu instid0(VALU_DEP_2) | instskip(SKIP_1) | instid1(VALU_DEP_1)
	v_cndmask_b32_e32 v29, v29, v28, vcc_lo
	s_wait_dscnt 0x0
	v_mul_f32_e32 v29, v29, v30
	s_cbranch_execz .LBB90_418
	s_branch .LBB90_419
.LBB90_417:
                                        ; implicit-def: $vgpr29
.LBB90_418:
	ds_load_b32 v29, v123
.LBB90_419:
	s_mov_b32 s3, exec_lo
	v_cmpx_ne_u32_e32 2, v0
	s_cbranch_execz .LBB90_421
; %bb.420:
	v_cmp_eq_u32_e32 vcc_lo, 1, v35
	v_dual_mov_b32 v31, 0 :: v_dual_cndmask_b32 v30, v2, v3
	v_cmp_eq_u32_e32 vcc_lo, 2, v35
	ds_load_b32 v31, v31 offset:120
	v_cndmask_b32_e32 v30, v30, v4, vcc_lo
	v_cmp_eq_u32_e32 vcc_lo, 3, v35
	s_delay_alu instid0(VALU_DEP_2) | instskip(SKIP_4) | instid1(VALU_DEP_2)
	v_cndmask_b32_e32 v5, v30, v5, vcc_lo
	v_cmp_eq_u32_e32 vcc_lo, 4, v35
	ds_load_b32 v30, v123 offset:4
	v_cndmask_b32_e32 v5, v5, v6, vcc_lo
	v_cmp_eq_u32_e32 vcc_lo, 5, v35
	v_cndmask_b32_e32 v5, v5, v7, vcc_lo
	v_cmp_eq_u32_e32 vcc_lo, 6, v35
	s_delay_alu instid0(VALU_DEP_2) | instskip(SKIP_1) | instid1(VALU_DEP_2)
	v_cndmask_b32_e32 v5, v5, v8, vcc_lo
	v_cmp_eq_u32_e32 vcc_lo, 7, v35
	v_cndmask_b32_e32 v5, v5, v9, vcc_lo
	v_cmp_eq_u32_e32 vcc_lo, 8, v35
	s_delay_alu instid0(VALU_DEP_2) | instskip(SKIP_1) | instid1(VALU_DEP_2)
	;; [unrolled: 5-line block ×10, first 2 shown]
	v_cndmask_b32_e32 v5, v5, v26, vcc_lo
	v_cmp_eq_u32_e32 vcc_lo, 25, v35
	v_cndmask_b32_e32 v5, v5, v27, vcc_lo
	v_cmp_eq_u32_e32 vcc_lo, 26, v35
	s_delay_alu instid0(VALU_DEP_2) | instskip(SKIP_1) | instid1(VALU_DEP_1)
	v_cndmask_b32_e32 v5, v5, v28, vcc_lo
	s_wait_dscnt 0x0
	v_fmac_f32_e32 v29, v5, v30
	s_delay_alu instid0(VALU_DEP_1) | instskip(NEXT) | instid1(VALU_DEP_1)
	v_fma_f32 v5, v4, v31, v29
	v_cndmask_b32_e64 v29, v29, v5, s0
.LBB90_421:
	s_or_b32 exec_lo, exec_lo, s3
	v_mov_b32_e32 v5, 0
	ds_load_b32 v5, v5 offset:12
	s_wait_dscnt 0x0
	v_mul_f32_e32 v5, v29, v5
.LBB90_422:
	s_or_b32 exec_lo, exec_lo, s2
	s_delay_alu instid0(SALU_CYCLE_1)
	s_mov_b32 s2, exec_lo
	ds_store_b32 v123, v6
	s_wait_dscnt 0x0
	s_barrier_signal -1
	s_barrier_wait -1
	v_cmpx_gt_u32_e32 4, v0
	s_cbranch_execz .LBB90_432
; %bb.423:
	v_cmp_ne_u32_e32 vcc_lo, 1, v34
	s_cbranch_vccnz .LBB90_425
; %bb.424:
	v_cmp_eq_u32_e32 vcc_lo, 1, v0
	ds_load_b32 v30, v123
	v_cndmask_b32_e32 v29, v2, v3, vcc_lo
	v_cmp_eq_u32_e32 vcc_lo, 2, v0
	s_delay_alu instid0(VALU_DEP_2) | instskip(SKIP_1) | instid1(VALU_DEP_2)
	v_cndmask_b32_e32 v29, v29, v4, vcc_lo
	v_cmp_eq_u32_e32 vcc_lo, 3, v0
	v_cndmask_b32_e32 v29, v29, v5, vcc_lo
	v_cmp_eq_u32_e32 vcc_lo, 4, v0
	s_delay_alu instid0(VALU_DEP_2) | instskip(SKIP_1) | instid1(VALU_DEP_2)
	v_cndmask_b32_e32 v29, v29, v6, vcc_lo
	v_cmp_eq_u32_e32 vcc_lo, 5, v0
	;; [unrolled: 5-line block ×12, first 2 shown]
	v_cndmask_b32_e32 v29, v29, v27, vcc_lo
	v_cmp_eq_u32_e32 vcc_lo, 26, v0
	s_delay_alu instid0(VALU_DEP_2) | instskip(SKIP_1) | instid1(VALU_DEP_1)
	v_cndmask_b32_e32 v29, v29, v28, vcc_lo
	s_wait_dscnt 0x0
	v_mul_f32_e32 v29, v29, v30
	s_cbranch_execz .LBB90_426
	s_branch .LBB90_427
.LBB90_425:
                                        ; implicit-def: $vgpr29
.LBB90_426:
	ds_load_b32 v29, v123
.LBB90_427:
	s_mov_b32 s3, exec_lo
	v_cmpx_ne_u32_e32 3, v0
	s_cbranch_execz .LBB90_431
; %bb.428:
	v_mov_b64_e32 v[30:31], v[0:1]
	v_lshl_add_u32 v32, v0, 2, 0x74
	s_mov_b32 s4, 0
.LBB90_429:                             ; =>This Inner Loop Header: Depth=1
	s_delay_alu instid0(VALU_DEP_2)
	v_add_nc_u64_e32 v[30:31], 1, v[30:31]
	ds_load_b32 v36, v32
	v_add_nc_u32_e32 v32, 4, v32
	v_cmp_eq_u32_e32 vcc_lo, 1, v30
	v_cndmask_b32_e32 v33, v2, v3, vcc_lo
	v_cmp_eq_u32_e32 vcc_lo, 2, v30
	s_delay_alu instid0(VALU_DEP_2) | instskip(SKIP_1) | instid1(VALU_DEP_2)
	v_cndmask_b32_e32 v33, v33, v4, vcc_lo
	v_cmp_eq_u32_e32 vcc_lo, 3, v30
	v_cndmask_b32_e32 v33, v33, v5, vcc_lo
	v_cmp_eq_u32_e32 vcc_lo, 4, v30
	s_delay_alu instid0(VALU_DEP_2) | instskip(SKIP_1) | instid1(VALU_DEP_2)
	v_cndmask_b32_e32 v33, v33, v6, vcc_lo
	;; [unrolled: 5-line block ×12, first 2 shown]
	v_cmp_eq_u32_e32 vcc_lo, 25, v30
	v_cndmask_b32_e32 v33, v33, v27, vcc_lo
	v_cmp_eq_u32_e32 vcc_lo, 26, v30
	s_delay_alu instid0(VALU_DEP_2) | instskip(SKIP_2) | instid1(VALU_DEP_2)
	v_cndmask_b32_e32 v33, v33, v28, vcc_lo
	v_cmp_lt_u32_e32 vcc_lo, 2, v30
	s_wait_dscnt 0x0
	v_fmac_f32_e32 v29, v33, v36
	s_or_b32 s4, vcc_lo, s4
	s_delay_alu instid0(SALU_CYCLE_1)
	s_and_not1_b32 exec_lo, exec_lo, s4
	s_cbranch_execnz .LBB90_429
; %bb.430:
	s_or_b32 exec_lo, exec_lo, s4
.LBB90_431:
	s_delay_alu instid0(SALU_CYCLE_1)
	s_or_b32 exec_lo, exec_lo, s3
	v_mov_b32_e32 v6, 0
	ds_load_b32 v6, v6 offset:16
	s_wait_dscnt 0x0
	v_mul_f32_e32 v6, v29, v6
.LBB90_432:
	s_or_b32 exec_lo, exec_lo, s2
	v_cmp_gt_u32_e64 s2, 5, v0
	ds_store_b32 v123, v7
	s_wait_dscnt 0x0
	s_barrier_signal -1
	s_barrier_wait -1
	s_and_saveexec_b32 s3, s2
	s_cbranch_execz .LBB90_442
; %bb.433:
	v_cmp_ne_u32_e32 vcc_lo, 1, v34
	s_cbranch_vccnz .LBB90_435
; %bb.434:
	v_cmp_eq_u32_e32 vcc_lo, 1, v0
	ds_load_b32 v30, v123
	v_cndmask_b32_e32 v29, v2, v3, vcc_lo
	v_cmp_eq_u32_e32 vcc_lo, 2, v0
	s_delay_alu instid0(VALU_DEP_2) | instskip(SKIP_1) | instid1(VALU_DEP_2)
	v_cndmask_b32_e32 v29, v29, v4, vcc_lo
	v_cmp_eq_u32_e32 vcc_lo, 3, v0
	v_cndmask_b32_e32 v29, v29, v5, vcc_lo
	v_cmp_eq_u32_e32 vcc_lo, 4, v0
	s_delay_alu instid0(VALU_DEP_2) | instskip(SKIP_1) | instid1(VALU_DEP_2)
	v_cndmask_b32_e32 v29, v29, v6, vcc_lo
	v_cmp_eq_u32_e32 vcc_lo, 5, v0
	;; [unrolled: 5-line block ×12, first 2 shown]
	v_cndmask_b32_e32 v29, v29, v27, vcc_lo
	v_cmp_eq_u32_e32 vcc_lo, 26, v0
	s_delay_alu instid0(VALU_DEP_2) | instskip(SKIP_1) | instid1(VALU_DEP_1)
	v_cndmask_b32_e32 v29, v29, v28, vcc_lo
	s_wait_dscnt 0x0
	v_mul_f32_e32 v29, v29, v30
	s_cbranch_execz .LBB90_436
	s_branch .LBB90_437
.LBB90_435:
                                        ; implicit-def: $vgpr29
.LBB90_436:
	ds_load_b32 v29, v123
.LBB90_437:
	s_mov_b32 s4, exec_lo
	v_cmpx_ne_u32_e32 4, v0
	s_cbranch_execz .LBB90_441
; %bb.438:
	v_mov_b64_e32 v[30:31], v[0:1]
	v_lshl_add_u32 v32, v0, 2, 0x74
	s_mov_b32 s5, 0
.LBB90_439:                             ; =>This Inner Loop Header: Depth=1
	s_delay_alu instid0(VALU_DEP_2)
	v_add_nc_u64_e32 v[30:31], 1, v[30:31]
	ds_load_b32 v36, v32
	v_add_nc_u32_e32 v32, 4, v32
	v_cmp_eq_u32_e32 vcc_lo, 1, v30
	v_cndmask_b32_e32 v33, v2, v3, vcc_lo
	v_cmp_eq_u32_e32 vcc_lo, 2, v30
	s_delay_alu instid0(VALU_DEP_2) | instskip(SKIP_1) | instid1(VALU_DEP_2)
	v_cndmask_b32_e32 v33, v33, v4, vcc_lo
	v_cmp_eq_u32_e32 vcc_lo, 3, v30
	v_cndmask_b32_e32 v33, v33, v5, vcc_lo
	v_cmp_eq_u32_e32 vcc_lo, 4, v30
	s_delay_alu instid0(VALU_DEP_2) | instskip(SKIP_1) | instid1(VALU_DEP_2)
	v_cndmask_b32_e32 v33, v33, v6, vcc_lo
	;; [unrolled: 5-line block ×12, first 2 shown]
	v_cmp_eq_u32_e32 vcc_lo, 25, v30
	v_cndmask_b32_e32 v33, v33, v27, vcc_lo
	v_cmp_eq_u32_e32 vcc_lo, 26, v30
	s_delay_alu instid0(VALU_DEP_2) | instskip(SKIP_2) | instid1(VALU_DEP_2)
	v_cndmask_b32_e32 v33, v33, v28, vcc_lo
	v_cmp_lt_u32_e32 vcc_lo, 3, v30
	s_wait_dscnt 0x0
	v_fmac_f32_e32 v29, v33, v36
	s_or_b32 s5, vcc_lo, s5
	s_delay_alu instid0(SALU_CYCLE_1)
	s_and_not1_b32 exec_lo, exec_lo, s5
	s_cbranch_execnz .LBB90_439
; %bb.440:
	s_or_b32 exec_lo, exec_lo, s5
.LBB90_441:
	s_delay_alu instid0(SALU_CYCLE_1)
	s_or_b32 exec_lo, exec_lo, s4
	v_mov_b32_e32 v7, 0
	ds_load_b32 v7, v7 offset:20
	s_wait_dscnt 0x0
	v_mul_f32_e32 v7, v29, v7
.LBB90_442:
	s_or_b32 exec_lo, exec_lo, s3
	s_delay_alu instid0(SALU_CYCLE_1)
	s_mov_b32 s3, exec_lo
	ds_store_b32 v123, v8
	s_wait_dscnt 0x0
	s_barrier_signal -1
	s_barrier_wait -1
	v_cmpx_gt_u32_e32 6, v0
	s_cbranch_execz .LBB90_452
; %bb.443:
	v_cmp_ne_u32_e32 vcc_lo, 1, v34
	s_cbranch_vccnz .LBB90_445
; %bb.444:
	v_cmp_eq_u32_e32 vcc_lo, 1, v0
	ds_load_b32 v30, v123
	v_cndmask_b32_e32 v29, v2, v3, vcc_lo
	v_cmp_eq_u32_e32 vcc_lo, 2, v0
	s_delay_alu instid0(VALU_DEP_2) | instskip(SKIP_1) | instid1(VALU_DEP_2)
	v_cndmask_b32_e32 v29, v29, v4, vcc_lo
	v_cmp_eq_u32_e32 vcc_lo, 3, v0
	v_cndmask_b32_e32 v29, v29, v5, vcc_lo
	v_cmp_eq_u32_e32 vcc_lo, 4, v0
	s_delay_alu instid0(VALU_DEP_2) | instskip(SKIP_1) | instid1(VALU_DEP_2)
	v_cndmask_b32_e32 v29, v29, v6, vcc_lo
	v_cmp_eq_u32_e32 vcc_lo, 5, v0
	;; [unrolled: 5-line block ×12, first 2 shown]
	v_cndmask_b32_e32 v29, v29, v27, vcc_lo
	v_cmp_eq_u32_e32 vcc_lo, 26, v0
	s_delay_alu instid0(VALU_DEP_2) | instskip(SKIP_1) | instid1(VALU_DEP_1)
	v_cndmask_b32_e32 v29, v29, v28, vcc_lo
	s_wait_dscnt 0x0
	v_mul_f32_e32 v29, v29, v30
	s_cbranch_execz .LBB90_446
	s_branch .LBB90_447
.LBB90_445:
                                        ; implicit-def: $vgpr29
.LBB90_446:
	ds_load_b32 v29, v123
.LBB90_447:
	s_mov_b32 s4, exec_lo
	v_cmpx_ne_u32_e32 5, v0
	s_cbranch_execz .LBB90_451
; %bb.448:
	v_mov_b64_e32 v[30:31], v[0:1]
	v_lshl_add_u32 v32, v0, 2, 0x74
	s_mov_b32 s5, 0
.LBB90_449:                             ; =>This Inner Loop Header: Depth=1
	s_delay_alu instid0(VALU_DEP_2)
	v_add_nc_u64_e32 v[30:31], 1, v[30:31]
	ds_load_b32 v36, v32
	v_add_nc_u32_e32 v32, 4, v32
	v_cmp_eq_u32_e32 vcc_lo, 1, v30
	v_cndmask_b32_e32 v33, v2, v3, vcc_lo
	v_cmp_eq_u32_e32 vcc_lo, 2, v30
	s_delay_alu instid0(VALU_DEP_2) | instskip(SKIP_1) | instid1(VALU_DEP_2)
	v_cndmask_b32_e32 v33, v33, v4, vcc_lo
	v_cmp_eq_u32_e32 vcc_lo, 3, v30
	v_cndmask_b32_e32 v33, v33, v5, vcc_lo
	v_cmp_eq_u32_e32 vcc_lo, 4, v30
	s_delay_alu instid0(VALU_DEP_2) | instskip(SKIP_1) | instid1(VALU_DEP_2)
	v_cndmask_b32_e32 v33, v33, v6, vcc_lo
	;; [unrolled: 5-line block ×12, first 2 shown]
	v_cmp_eq_u32_e32 vcc_lo, 25, v30
	v_cndmask_b32_e32 v33, v33, v27, vcc_lo
	v_cmp_eq_u32_e32 vcc_lo, 26, v30
	s_delay_alu instid0(VALU_DEP_2) | instskip(SKIP_2) | instid1(VALU_DEP_2)
	v_cndmask_b32_e32 v33, v33, v28, vcc_lo
	v_cmp_lt_u32_e32 vcc_lo, 4, v30
	s_wait_dscnt 0x0
	v_fmac_f32_e32 v29, v33, v36
	s_or_b32 s5, vcc_lo, s5
	s_delay_alu instid0(SALU_CYCLE_1)
	s_and_not1_b32 exec_lo, exec_lo, s5
	s_cbranch_execnz .LBB90_449
; %bb.450:
	s_or_b32 exec_lo, exec_lo, s5
.LBB90_451:
	s_delay_alu instid0(SALU_CYCLE_1)
	s_or_b32 exec_lo, exec_lo, s4
	v_mov_b32_e32 v8, 0
	ds_load_b32 v8, v8 offset:24
	s_wait_dscnt 0x0
	v_mul_f32_e32 v8, v29, v8
.LBB90_452:
	s_or_b32 exec_lo, exec_lo, s3
	v_cmp_gt_u32_e64 s3, 7, v0
	ds_store_b32 v123, v9
	s_wait_dscnt 0x0
	s_barrier_signal -1
	s_barrier_wait -1
	s_and_saveexec_b32 s4, s3
	s_cbranch_execz .LBB90_462
; %bb.453:
	v_cmp_ne_u32_e32 vcc_lo, 1, v34
	s_cbranch_vccnz .LBB90_455
; %bb.454:
	v_cmp_eq_u32_e32 vcc_lo, 1, v0
	ds_load_b32 v30, v123
	v_cndmask_b32_e32 v29, v2, v3, vcc_lo
	v_cmp_eq_u32_e32 vcc_lo, 2, v0
	s_delay_alu instid0(VALU_DEP_2) | instskip(SKIP_1) | instid1(VALU_DEP_2)
	v_cndmask_b32_e32 v29, v29, v4, vcc_lo
	v_cmp_eq_u32_e32 vcc_lo, 3, v0
	v_cndmask_b32_e32 v29, v29, v5, vcc_lo
	v_cmp_eq_u32_e32 vcc_lo, 4, v0
	s_delay_alu instid0(VALU_DEP_2) | instskip(SKIP_1) | instid1(VALU_DEP_2)
	v_cndmask_b32_e32 v29, v29, v6, vcc_lo
	v_cmp_eq_u32_e32 vcc_lo, 5, v0
	;; [unrolled: 5-line block ×12, first 2 shown]
	v_cndmask_b32_e32 v29, v29, v27, vcc_lo
	v_cmp_eq_u32_e32 vcc_lo, 26, v0
	s_delay_alu instid0(VALU_DEP_2) | instskip(SKIP_1) | instid1(VALU_DEP_1)
	v_cndmask_b32_e32 v29, v29, v28, vcc_lo
	s_wait_dscnt 0x0
	v_mul_f32_e32 v29, v29, v30
	s_cbranch_execz .LBB90_456
	s_branch .LBB90_457
.LBB90_455:
                                        ; implicit-def: $vgpr29
.LBB90_456:
	ds_load_b32 v29, v123
.LBB90_457:
	s_mov_b32 s5, exec_lo
	v_cmpx_ne_u32_e32 6, v0
	s_cbranch_execz .LBB90_461
; %bb.458:
	v_mov_b64_e32 v[30:31], v[0:1]
	v_lshl_add_u32 v32, v0, 2, 0x74
	s_mov_b32 s6, 0
.LBB90_459:                             ; =>This Inner Loop Header: Depth=1
	s_delay_alu instid0(VALU_DEP_2)
	v_add_nc_u64_e32 v[30:31], 1, v[30:31]
	ds_load_b32 v36, v32
	v_add_nc_u32_e32 v32, 4, v32
	v_cmp_eq_u32_e32 vcc_lo, 1, v30
	v_cndmask_b32_e32 v33, v2, v3, vcc_lo
	v_cmp_eq_u32_e32 vcc_lo, 2, v30
	s_delay_alu instid0(VALU_DEP_2) | instskip(SKIP_1) | instid1(VALU_DEP_2)
	v_cndmask_b32_e32 v33, v33, v4, vcc_lo
	v_cmp_eq_u32_e32 vcc_lo, 3, v30
	v_cndmask_b32_e32 v33, v33, v5, vcc_lo
	v_cmp_eq_u32_e32 vcc_lo, 4, v30
	s_delay_alu instid0(VALU_DEP_2) | instskip(SKIP_1) | instid1(VALU_DEP_2)
	v_cndmask_b32_e32 v33, v33, v6, vcc_lo
	;; [unrolled: 5-line block ×12, first 2 shown]
	v_cmp_eq_u32_e32 vcc_lo, 25, v30
	v_cndmask_b32_e32 v33, v33, v27, vcc_lo
	v_cmp_eq_u32_e32 vcc_lo, 26, v30
	s_delay_alu instid0(VALU_DEP_2) | instskip(SKIP_2) | instid1(VALU_DEP_2)
	v_cndmask_b32_e32 v33, v33, v28, vcc_lo
	v_cmp_lt_u32_e32 vcc_lo, 5, v30
	s_wait_dscnt 0x0
	v_fmac_f32_e32 v29, v33, v36
	s_or_b32 s6, vcc_lo, s6
	s_delay_alu instid0(SALU_CYCLE_1)
	s_and_not1_b32 exec_lo, exec_lo, s6
	s_cbranch_execnz .LBB90_459
; %bb.460:
	s_or_b32 exec_lo, exec_lo, s6
.LBB90_461:
	s_delay_alu instid0(SALU_CYCLE_1)
	s_or_b32 exec_lo, exec_lo, s5
	v_mov_b32_e32 v9, 0
	ds_load_b32 v9, v9 offset:28
	s_wait_dscnt 0x0
	v_mul_f32_e32 v9, v29, v9
.LBB90_462:
	s_or_b32 exec_lo, exec_lo, s4
	s_delay_alu instid0(SALU_CYCLE_1)
	s_mov_b32 s4, exec_lo
	ds_store_b32 v123, v10
	s_wait_dscnt 0x0
	s_barrier_signal -1
	s_barrier_wait -1
	v_cmpx_gt_u32_e32 8, v0
	s_cbranch_execz .LBB90_472
; %bb.463:
	v_cmp_ne_u32_e32 vcc_lo, 1, v34
	s_cbranch_vccnz .LBB90_465
; %bb.464:
	v_cmp_eq_u32_e32 vcc_lo, 1, v0
	ds_load_b32 v30, v123
	v_cndmask_b32_e32 v29, v2, v3, vcc_lo
	v_cmp_eq_u32_e32 vcc_lo, 2, v0
	s_delay_alu instid0(VALU_DEP_2) | instskip(SKIP_1) | instid1(VALU_DEP_2)
	v_cndmask_b32_e32 v29, v29, v4, vcc_lo
	v_cmp_eq_u32_e32 vcc_lo, 3, v0
	v_cndmask_b32_e32 v29, v29, v5, vcc_lo
	v_cmp_eq_u32_e32 vcc_lo, 4, v0
	s_delay_alu instid0(VALU_DEP_2) | instskip(SKIP_1) | instid1(VALU_DEP_2)
	v_cndmask_b32_e32 v29, v29, v6, vcc_lo
	v_cmp_eq_u32_e32 vcc_lo, 5, v0
	;; [unrolled: 5-line block ×12, first 2 shown]
	v_cndmask_b32_e32 v29, v29, v27, vcc_lo
	v_cmp_eq_u32_e32 vcc_lo, 26, v0
	s_delay_alu instid0(VALU_DEP_2) | instskip(SKIP_1) | instid1(VALU_DEP_1)
	v_cndmask_b32_e32 v29, v29, v28, vcc_lo
	s_wait_dscnt 0x0
	v_mul_f32_e32 v29, v29, v30
	s_cbranch_execz .LBB90_466
	s_branch .LBB90_467
.LBB90_465:
                                        ; implicit-def: $vgpr29
.LBB90_466:
	ds_load_b32 v29, v123
.LBB90_467:
	s_mov_b32 s5, exec_lo
	v_cmpx_ne_u32_e32 7, v0
	s_cbranch_execz .LBB90_471
; %bb.468:
	v_mov_b64_e32 v[30:31], v[0:1]
	v_lshl_add_u32 v32, v0, 2, 0x74
	s_mov_b32 s6, 0
.LBB90_469:                             ; =>This Inner Loop Header: Depth=1
	s_delay_alu instid0(VALU_DEP_2)
	v_add_nc_u64_e32 v[30:31], 1, v[30:31]
	ds_load_b32 v36, v32
	v_add_nc_u32_e32 v32, 4, v32
	v_cmp_eq_u32_e32 vcc_lo, 1, v30
	v_cndmask_b32_e32 v33, v2, v3, vcc_lo
	v_cmp_eq_u32_e32 vcc_lo, 2, v30
	s_delay_alu instid0(VALU_DEP_2) | instskip(SKIP_1) | instid1(VALU_DEP_2)
	v_cndmask_b32_e32 v33, v33, v4, vcc_lo
	v_cmp_eq_u32_e32 vcc_lo, 3, v30
	v_cndmask_b32_e32 v33, v33, v5, vcc_lo
	v_cmp_eq_u32_e32 vcc_lo, 4, v30
	s_delay_alu instid0(VALU_DEP_2) | instskip(SKIP_1) | instid1(VALU_DEP_2)
	v_cndmask_b32_e32 v33, v33, v6, vcc_lo
	;; [unrolled: 5-line block ×12, first 2 shown]
	v_cmp_eq_u32_e32 vcc_lo, 25, v30
	v_cndmask_b32_e32 v33, v33, v27, vcc_lo
	v_cmp_eq_u32_e32 vcc_lo, 26, v30
	s_delay_alu instid0(VALU_DEP_2) | instskip(SKIP_2) | instid1(VALU_DEP_2)
	v_cndmask_b32_e32 v33, v33, v28, vcc_lo
	v_cmp_lt_u32_e32 vcc_lo, 6, v30
	s_wait_dscnt 0x0
	v_fmac_f32_e32 v29, v33, v36
	s_or_b32 s6, vcc_lo, s6
	s_delay_alu instid0(SALU_CYCLE_1)
	s_and_not1_b32 exec_lo, exec_lo, s6
	s_cbranch_execnz .LBB90_469
; %bb.470:
	s_or_b32 exec_lo, exec_lo, s6
.LBB90_471:
	s_delay_alu instid0(SALU_CYCLE_1)
	s_or_b32 exec_lo, exec_lo, s5
	v_mov_b32_e32 v10, 0
	ds_load_b32 v10, v10 offset:32
	s_wait_dscnt 0x0
	v_mul_f32_e32 v10, v29, v10
.LBB90_472:
	s_or_b32 exec_lo, exec_lo, s4
	s_delay_alu instid0(SALU_CYCLE_1)
	s_mov_b32 s4, exec_lo
	ds_store_b32 v123, v11
	s_wait_dscnt 0x0
	s_barrier_signal -1
	s_barrier_wait -1
	v_cmpx_gt_u32_e32 9, v0
	s_cbranch_execz .LBB90_494
; %bb.473:
	v_cmp_ne_u32_e32 vcc_lo, 1, v34
	s_cbranch_vccnz .LBB90_475
; %bb.474:
	v_cmp_eq_u32_e32 vcc_lo, 1, v0
	ds_load_b32 v30, v123
	v_cndmask_b32_e32 v29, v2, v3, vcc_lo
	v_cmp_eq_u32_e32 vcc_lo, 2, v0
	s_delay_alu instid0(VALU_DEP_2) | instskip(SKIP_1) | instid1(VALU_DEP_2)
	v_cndmask_b32_e32 v29, v29, v4, vcc_lo
	v_cmp_eq_u32_e32 vcc_lo, 3, v0
	v_cndmask_b32_e32 v29, v29, v5, vcc_lo
	v_cmp_eq_u32_e32 vcc_lo, 4, v0
	s_delay_alu instid0(VALU_DEP_2) | instskip(SKIP_1) | instid1(VALU_DEP_2)
	v_cndmask_b32_e32 v29, v29, v6, vcc_lo
	v_cmp_eq_u32_e32 vcc_lo, 5, v0
	;; [unrolled: 5-line block ×12, first 2 shown]
	v_cndmask_b32_e32 v29, v29, v27, vcc_lo
	v_cmp_eq_u32_e32 vcc_lo, 26, v0
	s_delay_alu instid0(VALU_DEP_2) | instskip(SKIP_1) | instid1(VALU_DEP_1)
	v_cndmask_b32_e32 v29, v29, v28, vcc_lo
	s_wait_dscnt 0x0
	v_mul_f32_e32 v29, v29, v30
	s_cbranch_execz .LBB90_476
	s_branch .LBB90_477
.LBB90_475:
                                        ; implicit-def: $vgpr29
.LBB90_476:
	ds_load_b32 v29, v123
.LBB90_477:
	s_mov_b32 s5, exec_lo
	v_cmpx_ne_u32_e32 8, v0
	s_cbranch_execz .LBB90_493
; %bb.478:
	v_cmp_eq_u32_e32 vcc_lo, 1, v35
	ds_load_b32 v31, v123 offset:4
	v_cndmask_b32_e32 v30, v2, v3, vcc_lo
	v_cmp_eq_u32_e32 vcc_lo, 2, v35
	s_delay_alu instid0(VALU_DEP_2) | instskip(SKIP_1) | instid1(VALU_DEP_2)
	v_cndmask_b32_e32 v30, v30, v4, vcc_lo
	v_cmp_eq_u32_e32 vcc_lo, 3, v35
	v_cndmask_b32_e32 v30, v30, v5, vcc_lo
	v_cmp_eq_u32_e32 vcc_lo, 4, v35
	s_delay_alu instid0(VALU_DEP_2) | instskip(SKIP_1) | instid1(VALU_DEP_2)
	v_cndmask_b32_e32 v30, v30, v6, vcc_lo
	v_cmp_eq_u32_e32 vcc_lo, 5, v35
	;; [unrolled: 5-line block ×12, first 2 shown]
	v_cndmask_b32_e32 v30, v30, v27, vcc_lo
	v_cmp_eq_u32_e32 vcc_lo, 26, v35
	s_delay_alu instid0(VALU_DEP_2) | instskip(SKIP_1) | instid1(VALU_DEP_1)
	v_cndmask_b32_e32 v30, v30, v28, vcc_lo
	s_wait_dscnt 0x0
	v_fmac_f32_e32 v29, v30, v31
	s_and_saveexec_b32 s6, s3
	s_cbranch_execz .LBB90_492
; %bb.479:
	v_add_nc_u32_e32 v30, 2, v0
	ds_load_b32 v32, v123 offset:8
	s_mov_b32 s3, exec_lo
	v_cmp_eq_u32_e32 vcc_lo, 1, v30
	v_cndmask_b32_e32 v31, v2, v3, vcc_lo
	v_cmp_eq_u32_e32 vcc_lo, 2, v30
	s_delay_alu instid0(VALU_DEP_2) | instskip(SKIP_1) | instid1(VALU_DEP_2)
	v_cndmask_b32_e32 v31, v31, v4, vcc_lo
	v_cmp_eq_u32_e32 vcc_lo, 3, v30
	v_cndmask_b32_e32 v31, v31, v5, vcc_lo
	v_cmp_eq_u32_e32 vcc_lo, 4, v30
	s_delay_alu instid0(VALU_DEP_2) | instskip(SKIP_1) | instid1(VALU_DEP_2)
	v_cndmask_b32_e32 v31, v31, v6, vcc_lo
	;; [unrolled: 5-line block ×12, first 2 shown]
	v_cmp_eq_u32_e32 vcc_lo, 25, v30
	v_cndmask_b32_e32 v31, v31, v27, vcc_lo
	v_cmp_eq_u32_e32 vcc_lo, 26, v30
	s_delay_alu instid0(VALU_DEP_2) | instskip(SKIP_1) | instid1(VALU_DEP_1)
	v_cndmask_b32_e32 v30, v31, v28, vcc_lo
	s_wait_dscnt 0x0
	v_fmac_f32_e32 v29, v30, v32
	v_cmpx_ne_u32_e32 6, v0
	s_cbranch_execz .LBB90_491
; %bb.480:
	v_add_nc_u32_e32 v30, 3, v0
	ds_load_b32 v32, v123 offset:12
	v_cmp_eq_u32_e32 vcc_lo, 1, v30
	v_cndmask_b32_e32 v31, v2, v3, vcc_lo
	v_cmp_eq_u32_e32 vcc_lo, 2, v30
	s_delay_alu instid0(VALU_DEP_2) | instskip(SKIP_1) | instid1(VALU_DEP_2)
	v_cndmask_b32_e32 v31, v31, v4, vcc_lo
	v_cmp_eq_u32_e32 vcc_lo, 3, v30
	v_cndmask_b32_e32 v31, v31, v5, vcc_lo
	v_cmp_eq_u32_e32 vcc_lo, 4, v30
	s_delay_alu instid0(VALU_DEP_2) | instskip(SKIP_1) | instid1(VALU_DEP_2)
	v_cndmask_b32_e32 v31, v31, v6, vcc_lo
	;; [unrolled: 5-line block ×12, first 2 shown]
	v_cmp_eq_u32_e32 vcc_lo, 25, v30
	v_cndmask_b32_e32 v31, v31, v27, vcc_lo
	v_cmp_eq_u32_e32 vcc_lo, 26, v30
	s_delay_alu instid0(VALU_DEP_2) | instskip(SKIP_1) | instid1(VALU_DEP_1)
	v_cndmask_b32_e32 v30, v31, v28, vcc_lo
	s_wait_dscnt 0x0
	v_fmac_f32_e32 v29, v30, v32
	s_and_saveexec_b32 s7, s2
	s_cbranch_execz .LBB90_490
; %bb.481:
	v_add_nc_u32_e32 v30, 4, v0
	ds_load_b32 v32, v123 offset:16
	s_mov_b32 s2, exec_lo
	v_cmp_eq_u32_e32 vcc_lo, 1, v30
	v_cndmask_b32_e32 v31, v2, v3, vcc_lo
	v_cmp_eq_u32_e32 vcc_lo, 2, v30
	s_delay_alu instid0(VALU_DEP_2) | instskip(SKIP_1) | instid1(VALU_DEP_2)
	v_cndmask_b32_e32 v31, v31, v4, vcc_lo
	v_cmp_eq_u32_e32 vcc_lo, 3, v30
	v_cndmask_b32_e32 v31, v31, v5, vcc_lo
	v_cmp_eq_u32_e32 vcc_lo, 4, v30
	s_delay_alu instid0(VALU_DEP_2) | instskip(SKIP_1) | instid1(VALU_DEP_2)
	v_cndmask_b32_e32 v31, v31, v6, vcc_lo
	;; [unrolled: 5-line block ×12, first 2 shown]
	v_cmp_eq_u32_e32 vcc_lo, 25, v30
	v_cndmask_b32_e32 v31, v31, v27, vcc_lo
	v_cmp_eq_u32_e32 vcc_lo, 26, v30
	s_delay_alu instid0(VALU_DEP_2) | instskip(SKIP_1) | instid1(VALU_DEP_1)
	v_cndmask_b32_e32 v30, v31, v28, vcc_lo
	s_wait_dscnt 0x0
	v_fmac_f32_e32 v29, v30, v32
	v_cmpx_ne_u32_e32 4, v0
	s_cbranch_execz .LBB90_489
; %bb.482:
	v_add_nc_u32_e32 v30, 5, v0
	ds_load_b32 v32, v123 offset:20
	v_cmp_eq_u32_e32 vcc_lo, 1, v30
	v_cndmask_b32_e32 v31, v2, v3, vcc_lo
	v_cmp_eq_u32_e32 vcc_lo, 2, v30
	s_delay_alu instid0(VALU_DEP_2) | instskip(SKIP_1) | instid1(VALU_DEP_2)
	v_cndmask_b32_e32 v31, v31, v4, vcc_lo
	v_cmp_eq_u32_e32 vcc_lo, 3, v30
	v_cndmask_b32_e32 v31, v31, v5, vcc_lo
	v_cmp_eq_u32_e32 vcc_lo, 4, v30
	s_delay_alu instid0(VALU_DEP_2) | instskip(SKIP_1) | instid1(VALU_DEP_2)
	v_cndmask_b32_e32 v31, v31, v6, vcc_lo
	;; [unrolled: 5-line block ×12, first 2 shown]
	v_cmp_eq_u32_e32 vcc_lo, 25, v30
	v_cndmask_b32_e32 v31, v31, v27, vcc_lo
	v_cmp_eq_u32_e32 vcc_lo, 26, v30
	s_delay_alu instid0(VALU_DEP_2) | instskip(SKIP_1) | instid1(VALU_DEP_1)
	v_cndmask_b32_e32 v30, v31, v28, vcc_lo
	s_wait_dscnt 0x0
	v_fmac_f32_e32 v29, v30, v32
	s_and_saveexec_b32 s8, s1
	s_cbranch_execz .LBB90_488
; %bb.483:
	v_add_nc_u32_e32 v30, 6, v0
	ds_load_b32 v32, v123 offset:24
	s_mov_b32 s1, exec_lo
	v_cmp_eq_u32_e32 vcc_lo, 1, v30
	v_cndmask_b32_e32 v31, v2, v3, vcc_lo
	v_cmp_eq_u32_e32 vcc_lo, 2, v30
	s_delay_alu instid0(VALU_DEP_2) | instskip(SKIP_1) | instid1(VALU_DEP_2)
	v_cndmask_b32_e32 v31, v31, v4, vcc_lo
	v_cmp_eq_u32_e32 vcc_lo, 3, v30
	v_cndmask_b32_e32 v31, v31, v5, vcc_lo
	v_cmp_eq_u32_e32 vcc_lo, 4, v30
	s_delay_alu instid0(VALU_DEP_2) | instskip(SKIP_1) | instid1(VALU_DEP_2)
	v_cndmask_b32_e32 v31, v31, v6, vcc_lo
	;; [unrolled: 5-line block ×12, first 2 shown]
	v_cmp_eq_u32_e32 vcc_lo, 25, v30
	v_cndmask_b32_e32 v31, v31, v27, vcc_lo
	v_cmp_eq_u32_e32 vcc_lo, 26, v30
	s_delay_alu instid0(VALU_DEP_2) | instskip(SKIP_1) | instid1(VALU_DEP_1)
	v_cndmask_b32_e32 v30, v31, v28, vcc_lo
	s_wait_dscnt 0x0
	v_fmac_f32_e32 v29, v30, v32
	v_cmpx_ne_u32_e32 2, v0
	s_cbranch_execz .LBB90_487
; %bb.484:
	v_add_nc_u32_e32 v30, 7, v0
	s_delay_alu instid0(VALU_DEP_1) | instskip(SKIP_2) | instid1(VALU_DEP_2)
	v_cmp_eq_u32_e32 vcc_lo, 1, v30
	v_cndmask_b32_e32 v31, v2, v3, vcc_lo
	v_cmp_eq_u32_e32 vcc_lo, 2, v30
	v_cndmask_b32_e32 v31, v31, v4, vcc_lo
	v_cmp_eq_u32_e32 vcc_lo, 3, v30
	s_delay_alu instid0(VALU_DEP_2) | instskip(SKIP_1) | instid1(VALU_DEP_2)
	v_cndmask_b32_e32 v31, v31, v5, vcc_lo
	v_cmp_eq_u32_e32 vcc_lo, 4, v30
	v_cndmask_b32_e32 v31, v31, v6, vcc_lo
	v_cmp_eq_u32_e32 vcc_lo, 5, v30
	s_delay_alu instid0(VALU_DEP_2) | instskip(SKIP_1) | instid1(VALU_DEP_2)
	;; [unrolled: 5-line block ×3, first 2 shown]
	v_cndmask_b32_e32 v31, v31, v9, vcc_lo
	v_cmp_eq_u32_e32 vcc_lo, 8, v30
	v_cndmask_b32_e32 v31, v31, v10, vcc_lo
	v_cmp_eq_u32_e32 vcc_lo, 9, v30
	s_delay_alu instid0(VALU_DEP_2) | instskip(SKIP_4) | instid1(VALU_DEP_2)
	v_cndmask_b32_e32 v11, v31, v11, vcc_lo
	v_cmp_eq_u32_e32 vcc_lo, 10, v30
	ds_load_b32 v31, v123 offset:28
	v_cndmask_b32_e32 v11, v11, v12, vcc_lo
	v_cmp_eq_u32_e32 vcc_lo, 11, v30
	v_cndmask_b32_e32 v11, v11, v13, vcc_lo
	v_cmp_eq_u32_e32 vcc_lo, 12, v30
	s_delay_alu instid0(VALU_DEP_2) | instskip(SKIP_1) | instid1(VALU_DEP_2)
	v_cndmask_b32_e32 v11, v11, v14, vcc_lo
	v_cmp_eq_u32_e32 vcc_lo, 13, v30
	v_cndmask_b32_e32 v11, v11, v15, vcc_lo
	v_cmp_eq_u32_e32 vcc_lo, 14, v30
	s_delay_alu instid0(VALU_DEP_2) | instskip(SKIP_1) | instid1(VALU_DEP_2)
	v_cndmask_b32_e32 v11, v11, v16, vcc_lo
	v_cmp_eq_u32_e32 vcc_lo, 15, v30
	v_cndmask_b32_e32 v11, v11, v17, vcc_lo
	v_cmp_eq_u32_e32 vcc_lo, 16, v30
	s_delay_alu instid0(VALU_DEP_2) | instskip(SKIP_1) | instid1(VALU_DEP_2)
	v_cndmask_b32_e32 v11, v11, v18, vcc_lo
	v_cmp_eq_u32_e32 vcc_lo, 17, v30
	v_cndmask_b32_e32 v11, v11, v19, vcc_lo
	v_cmp_eq_u32_e32 vcc_lo, 18, v30
	s_delay_alu instid0(VALU_DEP_2) | instskip(SKIP_1) | instid1(VALU_DEP_2)
	v_cndmask_b32_e32 v11, v11, v20, vcc_lo
	v_cmp_eq_u32_e32 vcc_lo, 19, v30
	v_cndmask_b32_e32 v11, v11, v21, vcc_lo
	v_cmp_eq_u32_e32 vcc_lo, 20, v30
	s_delay_alu instid0(VALU_DEP_2) | instskip(SKIP_1) | instid1(VALU_DEP_2)
	v_cndmask_b32_e32 v11, v11, v22, vcc_lo
	v_cmp_eq_u32_e32 vcc_lo, 21, v30
	v_cndmask_b32_e32 v11, v11, v23, vcc_lo
	v_cmp_eq_u32_e32 vcc_lo, 22, v30
	s_delay_alu instid0(VALU_DEP_2) | instskip(SKIP_1) | instid1(VALU_DEP_2)
	v_cndmask_b32_e32 v11, v11, v24, vcc_lo
	v_cmp_eq_u32_e32 vcc_lo, 23, v30
	v_cndmask_b32_e32 v11, v11, v25, vcc_lo
	v_cmp_eq_u32_e32 vcc_lo, 24, v30
	s_delay_alu instid0(VALU_DEP_2) | instskip(SKIP_1) | instid1(VALU_DEP_2)
	v_cndmask_b32_e32 v11, v11, v26, vcc_lo
	v_cmp_eq_u32_e32 vcc_lo, 25, v30
	v_cndmask_b32_e32 v11, v11, v27, vcc_lo
	v_cmp_eq_u32_e32 vcc_lo, 26, v30
	s_delay_alu instid0(VALU_DEP_2) | instskip(SKIP_1) | instid1(VALU_DEP_1)
	v_cndmask_b32_e32 v11, v11, v28, vcc_lo
	s_wait_dscnt 0x0
	v_fmac_f32_e32 v29, v11, v31
	s_and_saveexec_b32 s9, s0
	s_cbranch_execz .LBB90_486
; %bb.485:
	ds_load_b32 v11, v123 offset:32
	s_wait_dscnt 0x0
	v_fmac_f32_e32 v29, v10, v11
.LBB90_486:
	s_or_b32 exec_lo, exec_lo, s9
.LBB90_487:
	s_delay_alu instid0(SALU_CYCLE_1)
	s_or_b32 exec_lo, exec_lo, s1
.LBB90_488:
	s_delay_alu instid0(SALU_CYCLE_1)
	s_or_b32 exec_lo, exec_lo, s8
.LBB90_489:
	s_delay_alu instid0(SALU_CYCLE_1)
	s_or_b32 exec_lo, exec_lo, s2
.LBB90_490:
	s_delay_alu instid0(SALU_CYCLE_1)
	s_or_b32 exec_lo, exec_lo, s7
.LBB90_491:
	s_delay_alu instid0(SALU_CYCLE_1)
	s_or_b32 exec_lo, exec_lo, s3
.LBB90_492:
	s_delay_alu instid0(SALU_CYCLE_1)
	s_or_b32 exec_lo, exec_lo, s6
.LBB90_493:
	s_delay_alu instid0(SALU_CYCLE_1)
	s_or_b32 exec_lo, exec_lo, s5
	v_mov_b32_e32 v11, 0
	ds_load_b32 v11, v11 offset:36
	s_wait_dscnt 0x0
	v_mul_f32_e32 v11, v29, v11
.LBB90_494:
	s_or_b32 exec_lo, exec_lo, s4
	s_delay_alu instid0(SALU_CYCLE_1)
	s_mov_b32 s0, exec_lo
	ds_store_b32 v123, v12
	s_wait_dscnt 0x0
	s_barrier_signal -1
	s_barrier_wait -1
	v_cmpx_gt_u32_e32 10, v0
	s_cbranch_execz .LBB90_504
; %bb.495:
	v_cmp_ne_u32_e32 vcc_lo, 1, v34
	s_cbranch_vccnz .LBB90_497
; %bb.496:
	v_cmp_eq_u32_e32 vcc_lo, 1, v0
	ds_load_b32 v30, v123
	v_cndmask_b32_e32 v29, v2, v3, vcc_lo
	v_cmp_eq_u32_e32 vcc_lo, 2, v0
	s_delay_alu instid0(VALU_DEP_2) | instskip(SKIP_1) | instid1(VALU_DEP_2)
	v_cndmask_b32_e32 v29, v29, v4, vcc_lo
	v_cmp_eq_u32_e32 vcc_lo, 3, v0
	v_cndmask_b32_e32 v29, v29, v5, vcc_lo
	v_cmp_eq_u32_e32 vcc_lo, 4, v0
	s_delay_alu instid0(VALU_DEP_2) | instskip(SKIP_1) | instid1(VALU_DEP_2)
	v_cndmask_b32_e32 v29, v29, v6, vcc_lo
	v_cmp_eq_u32_e32 vcc_lo, 5, v0
	;; [unrolled: 5-line block ×12, first 2 shown]
	v_cndmask_b32_e32 v29, v29, v27, vcc_lo
	v_cmp_eq_u32_e32 vcc_lo, 26, v0
	s_delay_alu instid0(VALU_DEP_2) | instskip(SKIP_1) | instid1(VALU_DEP_1)
	v_cndmask_b32_e32 v29, v29, v28, vcc_lo
	s_wait_dscnt 0x0
	v_mul_f32_e32 v29, v29, v30
	s_cbranch_execz .LBB90_498
	s_branch .LBB90_499
.LBB90_497:
                                        ; implicit-def: $vgpr29
.LBB90_498:
	ds_load_b32 v29, v123
.LBB90_499:
	s_mov_b32 s1, exec_lo
	v_cmpx_ne_u32_e32 9, v0
	s_cbranch_execz .LBB90_503
; %bb.500:
	v_mov_b64_e32 v[30:31], v[0:1]
	v_lshl_add_u32 v32, v0, 2, 0x74
	s_mov_b32 s2, 0
.LBB90_501:                             ; =>This Inner Loop Header: Depth=1
	s_delay_alu instid0(VALU_DEP_2)
	v_add_nc_u64_e32 v[30:31], 1, v[30:31]
	ds_load_b32 v35, v32
	v_add_nc_u32_e32 v32, 4, v32
	v_cmp_eq_u32_e32 vcc_lo, 1, v30
	v_cndmask_b32_e32 v33, v2, v3, vcc_lo
	v_cmp_eq_u32_e32 vcc_lo, 2, v30
	s_delay_alu instid0(VALU_DEP_2) | instskip(SKIP_1) | instid1(VALU_DEP_2)
	v_cndmask_b32_e32 v33, v33, v4, vcc_lo
	v_cmp_eq_u32_e32 vcc_lo, 3, v30
	v_cndmask_b32_e32 v33, v33, v5, vcc_lo
	v_cmp_eq_u32_e32 vcc_lo, 4, v30
	s_delay_alu instid0(VALU_DEP_2) | instskip(SKIP_1) | instid1(VALU_DEP_2)
	v_cndmask_b32_e32 v33, v33, v6, vcc_lo
	;; [unrolled: 5-line block ×12, first 2 shown]
	v_cmp_eq_u32_e32 vcc_lo, 25, v30
	v_cndmask_b32_e32 v33, v33, v27, vcc_lo
	v_cmp_eq_u32_e32 vcc_lo, 26, v30
	s_delay_alu instid0(VALU_DEP_2) | instskip(SKIP_2) | instid1(VALU_DEP_2)
	v_cndmask_b32_e32 v33, v33, v28, vcc_lo
	v_cmp_lt_u32_e32 vcc_lo, 8, v30
	s_wait_dscnt 0x0
	v_fmac_f32_e32 v29, v33, v35
	s_or_b32 s2, vcc_lo, s2
	s_delay_alu instid0(SALU_CYCLE_1)
	s_and_not1_b32 exec_lo, exec_lo, s2
	s_cbranch_execnz .LBB90_501
; %bb.502:
	s_or_b32 exec_lo, exec_lo, s2
.LBB90_503:
	s_delay_alu instid0(SALU_CYCLE_1)
	s_or_b32 exec_lo, exec_lo, s1
	v_mov_b32_e32 v12, 0
	ds_load_b32 v12, v12 offset:40
	s_wait_dscnt 0x0
	v_mul_f32_e32 v12, v29, v12
.LBB90_504:
	s_or_b32 exec_lo, exec_lo, s0
	s_delay_alu instid0(SALU_CYCLE_1)
	s_mov_b32 s0, exec_lo
	ds_store_b32 v123, v13
	s_wait_dscnt 0x0
	s_barrier_signal -1
	s_barrier_wait -1
	v_cmpx_gt_u32_e32 11, v0
	s_cbranch_execz .LBB90_514
; %bb.505:
	v_cmp_ne_u32_e32 vcc_lo, 1, v34
	s_cbranch_vccnz .LBB90_507
; %bb.506:
	v_cmp_eq_u32_e32 vcc_lo, 1, v0
	ds_load_b32 v30, v123
	v_cndmask_b32_e32 v29, v2, v3, vcc_lo
	v_cmp_eq_u32_e32 vcc_lo, 2, v0
	s_delay_alu instid0(VALU_DEP_2) | instskip(SKIP_1) | instid1(VALU_DEP_2)
	v_cndmask_b32_e32 v29, v29, v4, vcc_lo
	v_cmp_eq_u32_e32 vcc_lo, 3, v0
	v_cndmask_b32_e32 v29, v29, v5, vcc_lo
	v_cmp_eq_u32_e32 vcc_lo, 4, v0
	s_delay_alu instid0(VALU_DEP_2) | instskip(SKIP_1) | instid1(VALU_DEP_2)
	v_cndmask_b32_e32 v29, v29, v6, vcc_lo
	v_cmp_eq_u32_e32 vcc_lo, 5, v0
	v_cndmask_b32_e32 v29, v29, v7, vcc_lo
	v_cmp_eq_u32_e32 vcc_lo, 6, v0
	s_delay_alu instid0(VALU_DEP_2) | instskip(SKIP_1) | instid1(VALU_DEP_2)
	v_cndmask_b32_e32 v29, v29, v8, vcc_lo
	v_cmp_eq_u32_e32 vcc_lo, 7, v0
	v_cndmask_b32_e32 v29, v29, v9, vcc_lo
	v_cmp_eq_u32_e32 vcc_lo, 8, v0
	s_delay_alu instid0(VALU_DEP_2) | instskip(SKIP_1) | instid1(VALU_DEP_2)
	v_cndmask_b32_e32 v29, v29, v10, vcc_lo
	v_cmp_eq_u32_e32 vcc_lo, 9, v0
	v_cndmask_b32_e32 v29, v29, v11, vcc_lo
	v_cmp_eq_u32_e32 vcc_lo, 10, v0
	s_delay_alu instid0(VALU_DEP_2) | instskip(SKIP_1) | instid1(VALU_DEP_2)
	v_cndmask_b32_e32 v29, v29, v12, vcc_lo
	v_cmp_eq_u32_e32 vcc_lo, 11, v0
	v_cndmask_b32_e32 v29, v29, v13, vcc_lo
	v_cmp_eq_u32_e32 vcc_lo, 12, v0
	s_delay_alu instid0(VALU_DEP_2) | instskip(SKIP_1) | instid1(VALU_DEP_2)
	v_cndmask_b32_e32 v29, v29, v14, vcc_lo
	v_cmp_eq_u32_e32 vcc_lo, 13, v0
	v_cndmask_b32_e32 v29, v29, v15, vcc_lo
	v_cmp_eq_u32_e32 vcc_lo, 14, v0
	s_delay_alu instid0(VALU_DEP_2) | instskip(SKIP_1) | instid1(VALU_DEP_2)
	v_cndmask_b32_e32 v29, v29, v16, vcc_lo
	v_cmp_eq_u32_e32 vcc_lo, 15, v0
	v_cndmask_b32_e32 v29, v29, v17, vcc_lo
	v_cmp_eq_u32_e32 vcc_lo, 16, v0
	s_delay_alu instid0(VALU_DEP_2) | instskip(SKIP_1) | instid1(VALU_DEP_2)
	v_cndmask_b32_e32 v29, v29, v18, vcc_lo
	v_cmp_eq_u32_e32 vcc_lo, 17, v0
	v_cndmask_b32_e32 v29, v29, v19, vcc_lo
	v_cmp_eq_u32_e32 vcc_lo, 18, v0
	s_delay_alu instid0(VALU_DEP_2) | instskip(SKIP_1) | instid1(VALU_DEP_2)
	v_cndmask_b32_e32 v29, v29, v20, vcc_lo
	v_cmp_eq_u32_e32 vcc_lo, 19, v0
	v_cndmask_b32_e32 v29, v29, v21, vcc_lo
	v_cmp_eq_u32_e32 vcc_lo, 20, v0
	s_delay_alu instid0(VALU_DEP_2) | instskip(SKIP_1) | instid1(VALU_DEP_2)
	v_cndmask_b32_e32 v29, v29, v22, vcc_lo
	v_cmp_eq_u32_e32 vcc_lo, 21, v0
	v_cndmask_b32_e32 v29, v29, v23, vcc_lo
	v_cmp_eq_u32_e32 vcc_lo, 22, v0
	s_delay_alu instid0(VALU_DEP_2) | instskip(SKIP_1) | instid1(VALU_DEP_2)
	v_cndmask_b32_e32 v29, v29, v24, vcc_lo
	v_cmp_eq_u32_e32 vcc_lo, 23, v0
	v_cndmask_b32_e32 v29, v29, v25, vcc_lo
	v_cmp_eq_u32_e32 vcc_lo, 24, v0
	s_delay_alu instid0(VALU_DEP_2) | instskip(SKIP_1) | instid1(VALU_DEP_2)
	v_cndmask_b32_e32 v29, v29, v26, vcc_lo
	v_cmp_eq_u32_e32 vcc_lo, 25, v0
	v_cndmask_b32_e32 v29, v29, v27, vcc_lo
	v_cmp_eq_u32_e32 vcc_lo, 26, v0
	s_delay_alu instid0(VALU_DEP_2) | instskip(SKIP_1) | instid1(VALU_DEP_1)
	v_cndmask_b32_e32 v29, v29, v28, vcc_lo
	s_wait_dscnt 0x0
	v_mul_f32_e32 v29, v29, v30
	s_cbranch_execz .LBB90_508
	s_branch .LBB90_509
.LBB90_507:
                                        ; implicit-def: $vgpr29
.LBB90_508:
	ds_load_b32 v29, v123
.LBB90_509:
	s_mov_b32 s1, exec_lo
	v_cmpx_ne_u32_e32 10, v0
	s_cbranch_execz .LBB90_513
; %bb.510:
	v_mov_b64_e32 v[30:31], v[0:1]
	v_lshl_add_u32 v32, v0, 2, 0x74
	s_mov_b32 s2, 0
.LBB90_511:                             ; =>This Inner Loop Header: Depth=1
	s_delay_alu instid0(VALU_DEP_2)
	v_add_nc_u64_e32 v[30:31], 1, v[30:31]
	ds_load_b32 v35, v32
	v_add_nc_u32_e32 v32, 4, v32
	v_cmp_eq_u32_e32 vcc_lo, 1, v30
	v_cndmask_b32_e32 v33, v2, v3, vcc_lo
	v_cmp_eq_u32_e32 vcc_lo, 2, v30
	s_delay_alu instid0(VALU_DEP_2) | instskip(SKIP_1) | instid1(VALU_DEP_2)
	v_cndmask_b32_e32 v33, v33, v4, vcc_lo
	v_cmp_eq_u32_e32 vcc_lo, 3, v30
	v_cndmask_b32_e32 v33, v33, v5, vcc_lo
	v_cmp_eq_u32_e32 vcc_lo, 4, v30
	s_delay_alu instid0(VALU_DEP_2) | instskip(SKIP_1) | instid1(VALU_DEP_2)
	v_cndmask_b32_e32 v33, v33, v6, vcc_lo
	;; [unrolled: 5-line block ×12, first 2 shown]
	v_cmp_eq_u32_e32 vcc_lo, 25, v30
	v_cndmask_b32_e32 v33, v33, v27, vcc_lo
	v_cmp_eq_u32_e32 vcc_lo, 26, v30
	s_delay_alu instid0(VALU_DEP_2) | instskip(SKIP_2) | instid1(VALU_DEP_2)
	v_cndmask_b32_e32 v33, v33, v28, vcc_lo
	v_cmp_lt_u32_e32 vcc_lo, 9, v30
	s_wait_dscnt 0x0
	v_fmac_f32_e32 v29, v33, v35
	s_or_b32 s2, vcc_lo, s2
	s_delay_alu instid0(SALU_CYCLE_1)
	s_and_not1_b32 exec_lo, exec_lo, s2
	s_cbranch_execnz .LBB90_511
; %bb.512:
	s_or_b32 exec_lo, exec_lo, s2
.LBB90_513:
	s_delay_alu instid0(SALU_CYCLE_1)
	s_or_b32 exec_lo, exec_lo, s1
	v_mov_b32_e32 v13, 0
	ds_load_b32 v13, v13 offset:44
	s_wait_dscnt 0x0
	v_mul_f32_e32 v13, v29, v13
.LBB90_514:
	s_or_b32 exec_lo, exec_lo, s0
	s_delay_alu instid0(SALU_CYCLE_1)
	s_mov_b32 s0, exec_lo
	ds_store_b32 v123, v14
	s_wait_dscnt 0x0
	s_barrier_signal -1
	s_barrier_wait -1
	v_cmpx_gt_u32_e32 12, v0
	s_cbranch_execz .LBB90_524
; %bb.515:
	v_cmp_ne_u32_e32 vcc_lo, 1, v34
	s_cbranch_vccnz .LBB90_517
; %bb.516:
	v_cmp_eq_u32_e32 vcc_lo, 1, v0
	ds_load_b32 v30, v123
	v_cndmask_b32_e32 v29, v2, v3, vcc_lo
	v_cmp_eq_u32_e32 vcc_lo, 2, v0
	s_delay_alu instid0(VALU_DEP_2) | instskip(SKIP_1) | instid1(VALU_DEP_2)
	v_cndmask_b32_e32 v29, v29, v4, vcc_lo
	v_cmp_eq_u32_e32 vcc_lo, 3, v0
	v_cndmask_b32_e32 v29, v29, v5, vcc_lo
	v_cmp_eq_u32_e32 vcc_lo, 4, v0
	s_delay_alu instid0(VALU_DEP_2) | instskip(SKIP_1) | instid1(VALU_DEP_2)
	v_cndmask_b32_e32 v29, v29, v6, vcc_lo
	v_cmp_eq_u32_e32 vcc_lo, 5, v0
	;; [unrolled: 5-line block ×12, first 2 shown]
	v_cndmask_b32_e32 v29, v29, v27, vcc_lo
	v_cmp_eq_u32_e32 vcc_lo, 26, v0
	s_delay_alu instid0(VALU_DEP_2) | instskip(SKIP_1) | instid1(VALU_DEP_1)
	v_cndmask_b32_e32 v29, v29, v28, vcc_lo
	s_wait_dscnt 0x0
	v_mul_f32_e32 v29, v29, v30
	s_cbranch_execz .LBB90_518
	s_branch .LBB90_519
.LBB90_517:
                                        ; implicit-def: $vgpr29
.LBB90_518:
	ds_load_b32 v29, v123
.LBB90_519:
	s_mov_b32 s1, exec_lo
	v_cmpx_ne_u32_e32 11, v0
	s_cbranch_execz .LBB90_523
; %bb.520:
	v_mov_b64_e32 v[30:31], v[0:1]
	v_lshl_add_u32 v32, v0, 2, 0x74
	s_mov_b32 s2, 0
.LBB90_521:                             ; =>This Inner Loop Header: Depth=1
	s_delay_alu instid0(VALU_DEP_2)
	v_add_nc_u64_e32 v[30:31], 1, v[30:31]
	ds_load_b32 v35, v32
	v_add_nc_u32_e32 v32, 4, v32
	v_cmp_eq_u32_e32 vcc_lo, 1, v30
	v_cndmask_b32_e32 v33, v2, v3, vcc_lo
	v_cmp_eq_u32_e32 vcc_lo, 2, v30
	s_delay_alu instid0(VALU_DEP_2) | instskip(SKIP_1) | instid1(VALU_DEP_2)
	v_cndmask_b32_e32 v33, v33, v4, vcc_lo
	v_cmp_eq_u32_e32 vcc_lo, 3, v30
	v_cndmask_b32_e32 v33, v33, v5, vcc_lo
	v_cmp_eq_u32_e32 vcc_lo, 4, v30
	s_delay_alu instid0(VALU_DEP_2) | instskip(SKIP_1) | instid1(VALU_DEP_2)
	v_cndmask_b32_e32 v33, v33, v6, vcc_lo
	;; [unrolled: 5-line block ×12, first 2 shown]
	v_cmp_eq_u32_e32 vcc_lo, 25, v30
	v_cndmask_b32_e32 v33, v33, v27, vcc_lo
	v_cmp_eq_u32_e32 vcc_lo, 26, v30
	s_delay_alu instid0(VALU_DEP_2) | instskip(SKIP_2) | instid1(VALU_DEP_2)
	v_cndmask_b32_e32 v33, v33, v28, vcc_lo
	v_cmp_lt_u32_e32 vcc_lo, 10, v30
	s_wait_dscnt 0x0
	v_fmac_f32_e32 v29, v33, v35
	s_or_b32 s2, vcc_lo, s2
	s_delay_alu instid0(SALU_CYCLE_1)
	s_and_not1_b32 exec_lo, exec_lo, s2
	s_cbranch_execnz .LBB90_521
; %bb.522:
	s_or_b32 exec_lo, exec_lo, s2
.LBB90_523:
	s_delay_alu instid0(SALU_CYCLE_1)
	s_or_b32 exec_lo, exec_lo, s1
	v_mov_b32_e32 v14, 0
	ds_load_b32 v14, v14 offset:48
	s_wait_dscnt 0x0
	v_mul_f32_e32 v14, v29, v14
.LBB90_524:
	s_or_b32 exec_lo, exec_lo, s0
	s_delay_alu instid0(SALU_CYCLE_1)
	s_mov_b32 s0, exec_lo
	ds_store_b32 v123, v15
	s_wait_dscnt 0x0
	s_barrier_signal -1
	s_barrier_wait -1
	v_cmpx_gt_u32_e32 13, v0
	s_cbranch_execz .LBB90_534
; %bb.525:
	v_cmp_ne_u32_e32 vcc_lo, 1, v34
	s_cbranch_vccnz .LBB90_527
; %bb.526:
	v_cmp_eq_u32_e32 vcc_lo, 1, v0
	ds_load_b32 v30, v123
	v_cndmask_b32_e32 v29, v2, v3, vcc_lo
	v_cmp_eq_u32_e32 vcc_lo, 2, v0
	s_delay_alu instid0(VALU_DEP_2) | instskip(SKIP_1) | instid1(VALU_DEP_2)
	v_cndmask_b32_e32 v29, v29, v4, vcc_lo
	v_cmp_eq_u32_e32 vcc_lo, 3, v0
	v_cndmask_b32_e32 v29, v29, v5, vcc_lo
	v_cmp_eq_u32_e32 vcc_lo, 4, v0
	s_delay_alu instid0(VALU_DEP_2) | instskip(SKIP_1) | instid1(VALU_DEP_2)
	v_cndmask_b32_e32 v29, v29, v6, vcc_lo
	v_cmp_eq_u32_e32 vcc_lo, 5, v0
	v_cndmask_b32_e32 v29, v29, v7, vcc_lo
	v_cmp_eq_u32_e32 vcc_lo, 6, v0
	s_delay_alu instid0(VALU_DEP_2) | instskip(SKIP_1) | instid1(VALU_DEP_2)
	v_cndmask_b32_e32 v29, v29, v8, vcc_lo
	v_cmp_eq_u32_e32 vcc_lo, 7, v0
	v_cndmask_b32_e32 v29, v29, v9, vcc_lo
	v_cmp_eq_u32_e32 vcc_lo, 8, v0
	s_delay_alu instid0(VALU_DEP_2) | instskip(SKIP_1) | instid1(VALU_DEP_2)
	v_cndmask_b32_e32 v29, v29, v10, vcc_lo
	v_cmp_eq_u32_e32 vcc_lo, 9, v0
	v_cndmask_b32_e32 v29, v29, v11, vcc_lo
	v_cmp_eq_u32_e32 vcc_lo, 10, v0
	s_delay_alu instid0(VALU_DEP_2) | instskip(SKIP_1) | instid1(VALU_DEP_2)
	v_cndmask_b32_e32 v29, v29, v12, vcc_lo
	v_cmp_eq_u32_e32 vcc_lo, 11, v0
	v_cndmask_b32_e32 v29, v29, v13, vcc_lo
	v_cmp_eq_u32_e32 vcc_lo, 12, v0
	s_delay_alu instid0(VALU_DEP_2) | instskip(SKIP_1) | instid1(VALU_DEP_2)
	v_cndmask_b32_e32 v29, v29, v14, vcc_lo
	v_cmp_eq_u32_e32 vcc_lo, 13, v0
	v_cndmask_b32_e32 v29, v29, v15, vcc_lo
	v_cmp_eq_u32_e32 vcc_lo, 14, v0
	s_delay_alu instid0(VALU_DEP_2) | instskip(SKIP_1) | instid1(VALU_DEP_2)
	v_cndmask_b32_e32 v29, v29, v16, vcc_lo
	v_cmp_eq_u32_e32 vcc_lo, 15, v0
	v_cndmask_b32_e32 v29, v29, v17, vcc_lo
	v_cmp_eq_u32_e32 vcc_lo, 16, v0
	s_delay_alu instid0(VALU_DEP_2) | instskip(SKIP_1) | instid1(VALU_DEP_2)
	v_cndmask_b32_e32 v29, v29, v18, vcc_lo
	v_cmp_eq_u32_e32 vcc_lo, 17, v0
	v_cndmask_b32_e32 v29, v29, v19, vcc_lo
	v_cmp_eq_u32_e32 vcc_lo, 18, v0
	s_delay_alu instid0(VALU_DEP_2) | instskip(SKIP_1) | instid1(VALU_DEP_2)
	v_cndmask_b32_e32 v29, v29, v20, vcc_lo
	v_cmp_eq_u32_e32 vcc_lo, 19, v0
	v_cndmask_b32_e32 v29, v29, v21, vcc_lo
	v_cmp_eq_u32_e32 vcc_lo, 20, v0
	s_delay_alu instid0(VALU_DEP_2) | instskip(SKIP_1) | instid1(VALU_DEP_2)
	v_cndmask_b32_e32 v29, v29, v22, vcc_lo
	v_cmp_eq_u32_e32 vcc_lo, 21, v0
	v_cndmask_b32_e32 v29, v29, v23, vcc_lo
	v_cmp_eq_u32_e32 vcc_lo, 22, v0
	s_delay_alu instid0(VALU_DEP_2) | instskip(SKIP_1) | instid1(VALU_DEP_2)
	v_cndmask_b32_e32 v29, v29, v24, vcc_lo
	v_cmp_eq_u32_e32 vcc_lo, 23, v0
	v_cndmask_b32_e32 v29, v29, v25, vcc_lo
	v_cmp_eq_u32_e32 vcc_lo, 24, v0
	s_delay_alu instid0(VALU_DEP_2) | instskip(SKIP_1) | instid1(VALU_DEP_2)
	v_cndmask_b32_e32 v29, v29, v26, vcc_lo
	v_cmp_eq_u32_e32 vcc_lo, 25, v0
	v_cndmask_b32_e32 v29, v29, v27, vcc_lo
	v_cmp_eq_u32_e32 vcc_lo, 26, v0
	s_delay_alu instid0(VALU_DEP_2) | instskip(SKIP_1) | instid1(VALU_DEP_1)
	v_cndmask_b32_e32 v29, v29, v28, vcc_lo
	s_wait_dscnt 0x0
	v_mul_f32_e32 v29, v29, v30
	s_cbranch_execz .LBB90_528
	s_branch .LBB90_529
.LBB90_527:
                                        ; implicit-def: $vgpr29
.LBB90_528:
	ds_load_b32 v29, v123
.LBB90_529:
	s_mov_b32 s1, exec_lo
	v_cmpx_ne_u32_e32 12, v0
	s_cbranch_execz .LBB90_533
; %bb.530:
	v_mov_b64_e32 v[30:31], v[0:1]
	v_lshl_add_u32 v32, v0, 2, 0x74
	s_mov_b32 s2, 0
.LBB90_531:                             ; =>This Inner Loop Header: Depth=1
	s_delay_alu instid0(VALU_DEP_2)
	v_add_nc_u64_e32 v[30:31], 1, v[30:31]
	ds_load_b32 v35, v32
	v_add_nc_u32_e32 v32, 4, v32
	v_cmp_eq_u32_e32 vcc_lo, 1, v30
	v_cndmask_b32_e32 v33, v2, v3, vcc_lo
	v_cmp_eq_u32_e32 vcc_lo, 2, v30
	s_delay_alu instid0(VALU_DEP_2) | instskip(SKIP_1) | instid1(VALU_DEP_2)
	v_cndmask_b32_e32 v33, v33, v4, vcc_lo
	v_cmp_eq_u32_e32 vcc_lo, 3, v30
	v_cndmask_b32_e32 v33, v33, v5, vcc_lo
	v_cmp_eq_u32_e32 vcc_lo, 4, v30
	s_delay_alu instid0(VALU_DEP_2) | instskip(SKIP_1) | instid1(VALU_DEP_2)
	v_cndmask_b32_e32 v33, v33, v6, vcc_lo
	v_cmp_eq_u32_e32 vcc_lo, 5, v30
	v_cndmask_b32_e32 v33, v33, v7, vcc_lo
	v_cmp_eq_u32_e32 vcc_lo, 6, v30
	s_delay_alu instid0(VALU_DEP_2) | instskip(SKIP_1) | instid1(VALU_DEP_2)
	v_cndmask_b32_e32 v33, v33, v8, vcc_lo
	v_cmp_eq_u32_e32 vcc_lo, 7, v30
	v_cndmask_b32_e32 v33, v33, v9, vcc_lo
	v_cmp_eq_u32_e32 vcc_lo, 8, v30
	s_delay_alu instid0(VALU_DEP_2) | instskip(SKIP_1) | instid1(VALU_DEP_2)
	v_cndmask_b32_e32 v33, v33, v10, vcc_lo
	v_cmp_eq_u32_e32 vcc_lo, 9, v30
	v_cndmask_b32_e32 v33, v33, v11, vcc_lo
	v_cmp_eq_u32_e32 vcc_lo, 10, v30
	s_delay_alu instid0(VALU_DEP_2) | instskip(SKIP_1) | instid1(VALU_DEP_2)
	v_cndmask_b32_e32 v33, v33, v12, vcc_lo
	v_cmp_eq_u32_e32 vcc_lo, 11, v30
	v_cndmask_b32_e32 v33, v33, v13, vcc_lo
	v_cmp_eq_u32_e32 vcc_lo, 12, v30
	s_delay_alu instid0(VALU_DEP_2) | instskip(SKIP_1) | instid1(VALU_DEP_2)
	v_cndmask_b32_e32 v33, v33, v14, vcc_lo
	v_cmp_eq_u32_e32 vcc_lo, 13, v30
	v_cndmask_b32_e32 v33, v33, v15, vcc_lo
	v_cmp_eq_u32_e32 vcc_lo, 14, v30
	s_delay_alu instid0(VALU_DEP_2) | instskip(SKIP_1) | instid1(VALU_DEP_2)
	v_cndmask_b32_e32 v33, v33, v16, vcc_lo
	v_cmp_eq_u32_e32 vcc_lo, 15, v30
	v_cndmask_b32_e32 v33, v33, v17, vcc_lo
	v_cmp_eq_u32_e32 vcc_lo, 16, v30
	s_delay_alu instid0(VALU_DEP_2) | instskip(SKIP_1) | instid1(VALU_DEP_2)
	v_cndmask_b32_e32 v33, v33, v18, vcc_lo
	v_cmp_eq_u32_e32 vcc_lo, 17, v30
	v_cndmask_b32_e32 v33, v33, v19, vcc_lo
	v_cmp_eq_u32_e32 vcc_lo, 18, v30
	s_delay_alu instid0(VALU_DEP_2) | instskip(SKIP_1) | instid1(VALU_DEP_2)
	v_cndmask_b32_e32 v33, v33, v20, vcc_lo
	v_cmp_eq_u32_e32 vcc_lo, 19, v30
	v_cndmask_b32_e32 v33, v33, v21, vcc_lo
	v_cmp_eq_u32_e32 vcc_lo, 20, v30
	s_delay_alu instid0(VALU_DEP_2) | instskip(SKIP_1) | instid1(VALU_DEP_2)
	v_cndmask_b32_e32 v33, v33, v22, vcc_lo
	v_cmp_eq_u32_e32 vcc_lo, 21, v30
	v_cndmask_b32_e32 v33, v33, v23, vcc_lo
	v_cmp_eq_u32_e32 vcc_lo, 22, v30
	s_delay_alu instid0(VALU_DEP_2) | instskip(SKIP_1) | instid1(VALU_DEP_2)
	v_cndmask_b32_e32 v33, v33, v24, vcc_lo
	v_cmp_eq_u32_e32 vcc_lo, 23, v30
	v_cndmask_b32_e32 v33, v33, v25, vcc_lo
	v_cmp_eq_u32_e32 vcc_lo, 24, v30
	s_delay_alu instid0(VALU_DEP_2) | instskip(SKIP_1) | instid1(VALU_DEP_2)
	v_cndmask_b32_e32 v33, v33, v26, vcc_lo
	v_cmp_eq_u32_e32 vcc_lo, 25, v30
	v_cndmask_b32_e32 v33, v33, v27, vcc_lo
	v_cmp_eq_u32_e32 vcc_lo, 26, v30
	s_delay_alu instid0(VALU_DEP_2) | instskip(SKIP_2) | instid1(VALU_DEP_2)
	v_cndmask_b32_e32 v33, v33, v28, vcc_lo
	v_cmp_lt_u32_e32 vcc_lo, 11, v30
	s_wait_dscnt 0x0
	v_fmac_f32_e32 v29, v33, v35
	s_or_b32 s2, vcc_lo, s2
	s_delay_alu instid0(SALU_CYCLE_1)
	s_and_not1_b32 exec_lo, exec_lo, s2
	s_cbranch_execnz .LBB90_531
; %bb.532:
	s_or_b32 exec_lo, exec_lo, s2
.LBB90_533:
	s_delay_alu instid0(SALU_CYCLE_1)
	s_or_b32 exec_lo, exec_lo, s1
	v_mov_b32_e32 v15, 0
	ds_load_b32 v15, v15 offset:52
	s_wait_dscnt 0x0
	v_mul_f32_e32 v15, v29, v15
.LBB90_534:
	s_or_b32 exec_lo, exec_lo, s0
	s_delay_alu instid0(SALU_CYCLE_1)
	s_mov_b32 s0, exec_lo
	ds_store_b32 v123, v16
	s_wait_dscnt 0x0
	s_barrier_signal -1
	s_barrier_wait -1
	v_cmpx_gt_u32_e32 14, v0
	s_cbranch_execz .LBB90_544
; %bb.535:
	v_cmp_ne_u32_e32 vcc_lo, 1, v34
	s_cbranch_vccnz .LBB90_537
; %bb.536:
	v_cmp_eq_u32_e32 vcc_lo, 1, v0
	ds_load_b32 v30, v123
	v_cndmask_b32_e32 v29, v2, v3, vcc_lo
	v_cmp_eq_u32_e32 vcc_lo, 2, v0
	s_delay_alu instid0(VALU_DEP_2) | instskip(SKIP_1) | instid1(VALU_DEP_2)
	v_cndmask_b32_e32 v29, v29, v4, vcc_lo
	v_cmp_eq_u32_e32 vcc_lo, 3, v0
	v_cndmask_b32_e32 v29, v29, v5, vcc_lo
	v_cmp_eq_u32_e32 vcc_lo, 4, v0
	s_delay_alu instid0(VALU_DEP_2) | instskip(SKIP_1) | instid1(VALU_DEP_2)
	v_cndmask_b32_e32 v29, v29, v6, vcc_lo
	v_cmp_eq_u32_e32 vcc_lo, 5, v0
	;; [unrolled: 5-line block ×12, first 2 shown]
	v_cndmask_b32_e32 v29, v29, v27, vcc_lo
	v_cmp_eq_u32_e32 vcc_lo, 26, v0
	s_delay_alu instid0(VALU_DEP_2) | instskip(SKIP_1) | instid1(VALU_DEP_1)
	v_cndmask_b32_e32 v29, v29, v28, vcc_lo
	s_wait_dscnt 0x0
	v_mul_f32_e32 v29, v29, v30
	s_cbranch_execz .LBB90_538
	s_branch .LBB90_539
.LBB90_537:
                                        ; implicit-def: $vgpr29
.LBB90_538:
	ds_load_b32 v29, v123
.LBB90_539:
	s_mov_b32 s1, exec_lo
	v_cmpx_ne_u32_e32 13, v0
	s_cbranch_execz .LBB90_543
; %bb.540:
	v_mov_b64_e32 v[30:31], v[0:1]
	v_lshl_add_u32 v32, v0, 2, 0x74
	s_mov_b32 s2, 0
.LBB90_541:                             ; =>This Inner Loop Header: Depth=1
	s_delay_alu instid0(VALU_DEP_2)
	v_add_nc_u64_e32 v[30:31], 1, v[30:31]
	ds_load_b32 v35, v32
	v_add_nc_u32_e32 v32, 4, v32
	v_cmp_eq_u32_e32 vcc_lo, 1, v30
	v_cndmask_b32_e32 v33, v2, v3, vcc_lo
	v_cmp_eq_u32_e32 vcc_lo, 2, v30
	s_delay_alu instid0(VALU_DEP_2) | instskip(SKIP_1) | instid1(VALU_DEP_2)
	v_cndmask_b32_e32 v33, v33, v4, vcc_lo
	v_cmp_eq_u32_e32 vcc_lo, 3, v30
	v_cndmask_b32_e32 v33, v33, v5, vcc_lo
	v_cmp_eq_u32_e32 vcc_lo, 4, v30
	s_delay_alu instid0(VALU_DEP_2) | instskip(SKIP_1) | instid1(VALU_DEP_2)
	v_cndmask_b32_e32 v33, v33, v6, vcc_lo
	v_cmp_eq_u32_e32 vcc_lo, 5, v30
	v_cndmask_b32_e32 v33, v33, v7, vcc_lo
	v_cmp_eq_u32_e32 vcc_lo, 6, v30
	s_delay_alu instid0(VALU_DEP_2) | instskip(SKIP_1) | instid1(VALU_DEP_2)
	v_cndmask_b32_e32 v33, v33, v8, vcc_lo
	v_cmp_eq_u32_e32 vcc_lo, 7, v30
	v_cndmask_b32_e32 v33, v33, v9, vcc_lo
	v_cmp_eq_u32_e32 vcc_lo, 8, v30
	s_delay_alu instid0(VALU_DEP_2) | instskip(SKIP_1) | instid1(VALU_DEP_2)
	v_cndmask_b32_e32 v33, v33, v10, vcc_lo
	v_cmp_eq_u32_e32 vcc_lo, 9, v30
	v_cndmask_b32_e32 v33, v33, v11, vcc_lo
	v_cmp_eq_u32_e32 vcc_lo, 10, v30
	s_delay_alu instid0(VALU_DEP_2) | instskip(SKIP_1) | instid1(VALU_DEP_2)
	v_cndmask_b32_e32 v33, v33, v12, vcc_lo
	v_cmp_eq_u32_e32 vcc_lo, 11, v30
	v_cndmask_b32_e32 v33, v33, v13, vcc_lo
	v_cmp_eq_u32_e32 vcc_lo, 12, v30
	s_delay_alu instid0(VALU_DEP_2) | instskip(SKIP_1) | instid1(VALU_DEP_2)
	v_cndmask_b32_e32 v33, v33, v14, vcc_lo
	v_cmp_eq_u32_e32 vcc_lo, 13, v30
	v_cndmask_b32_e32 v33, v33, v15, vcc_lo
	v_cmp_eq_u32_e32 vcc_lo, 14, v30
	s_delay_alu instid0(VALU_DEP_2) | instskip(SKIP_1) | instid1(VALU_DEP_2)
	v_cndmask_b32_e32 v33, v33, v16, vcc_lo
	v_cmp_eq_u32_e32 vcc_lo, 15, v30
	v_cndmask_b32_e32 v33, v33, v17, vcc_lo
	v_cmp_eq_u32_e32 vcc_lo, 16, v30
	s_delay_alu instid0(VALU_DEP_2) | instskip(SKIP_1) | instid1(VALU_DEP_2)
	v_cndmask_b32_e32 v33, v33, v18, vcc_lo
	v_cmp_eq_u32_e32 vcc_lo, 17, v30
	v_cndmask_b32_e32 v33, v33, v19, vcc_lo
	v_cmp_eq_u32_e32 vcc_lo, 18, v30
	s_delay_alu instid0(VALU_DEP_2) | instskip(SKIP_1) | instid1(VALU_DEP_2)
	v_cndmask_b32_e32 v33, v33, v20, vcc_lo
	v_cmp_eq_u32_e32 vcc_lo, 19, v30
	v_cndmask_b32_e32 v33, v33, v21, vcc_lo
	v_cmp_eq_u32_e32 vcc_lo, 20, v30
	s_delay_alu instid0(VALU_DEP_2) | instskip(SKIP_1) | instid1(VALU_DEP_2)
	v_cndmask_b32_e32 v33, v33, v22, vcc_lo
	v_cmp_eq_u32_e32 vcc_lo, 21, v30
	v_cndmask_b32_e32 v33, v33, v23, vcc_lo
	v_cmp_eq_u32_e32 vcc_lo, 22, v30
	s_delay_alu instid0(VALU_DEP_2) | instskip(SKIP_1) | instid1(VALU_DEP_2)
	v_cndmask_b32_e32 v33, v33, v24, vcc_lo
	v_cmp_eq_u32_e32 vcc_lo, 23, v30
	v_cndmask_b32_e32 v33, v33, v25, vcc_lo
	v_cmp_eq_u32_e32 vcc_lo, 24, v30
	s_delay_alu instid0(VALU_DEP_2) | instskip(SKIP_1) | instid1(VALU_DEP_2)
	v_cndmask_b32_e32 v33, v33, v26, vcc_lo
	v_cmp_eq_u32_e32 vcc_lo, 25, v30
	v_cndmask_b32_e32 v33, v33, v27, vcc_lo
	v_cmp_eq_u32_e32 vcc_lo, 26, v30
	s_delay_alu instid0(VALU_DEP_2) | instskip(SKIP_2) | instid1(VALU_DEP_2)
	v_cndmask_b32_e32 v33, v33, v28, vcc_lo
	v_cmp_lt_u32_e32 vcc_lo, 12, v30
	s_wait_dscnt 0x0
	v_fmac_f32_e32 v29, v33, v35
	s_or_b32 s2, vcc_lo, s2
	s_delay_alu instid0(SALU_CYCLE_1)
	s_and_not1_b32 exec_lo, exec_lo, s2
	s_cbranch_execnz .LBB90_541
; %bb.542:
	s_or_b32 exec_lo, exec_lo, s2
.LBB90_543:
	s_delay_alu instid0(SALU_CYCLE_1)
	s_or_b32 exec_lo, exec_lo, s1
	v_mov_b32_e32 v16, 0
	ds_load_b32 v16, v16 offset:56
	s_wait_dscnt 0x0
	v_mul_f32_e32 v16, v29, v16
.LBB90_544:
	s_or_b32 exec_lo, exec_lo, s0
	s_delay_alu instid0(SALU_CYCLE_1)
	s_mov_b32 s0, exec_lo
	ds_store_b32 v123, v17
	s_wait_dscnt 0x0
	s_barrier_signal -1
	s_barrier_wait -1
	v_cmpx_gt_u32_e32 15, v0
	s_cbranch_execz .LBB90_554
; %bb.545:
	v_cmp_ne_u32_e32 vcc_lo, 1, v34
	s_cbranch_vccnz .LBB90_547
; %bb.546:
	v_cmp_eq_u32_e32 vcc_lo, 1, v0
	ds_load_b32 v30, v123
	v_cndmask_b32_e32 v29, v2, v3, vcc_lo
	v_cmp_eq_u32_e32 vcc_lo, 2, v0
	s_delay_alu instid0(VALU_DEP_2) | instskip(SKIP_1) | instid1(VALU_DEP_2)
	v_cndmask_b32_e32 v29, v29, v4, vcc_lo
	v_cmp_eq_u32_e32 vcc_lo, 3, v0
	v_cndmask_b32_e32 v29, v29, v5, vcc_lo
	v_cmp_eq_u32_e32 vcc_lo, 4, v0
	s_delay_alu instid0(VALU_DEP_2) | instskip(SKIP_1) | instid1(VALU_DEP_2)
	v_cndmask_b32_e32 v29, v29, v6, vcc_lo
	v_cmp_eq_u32_e32 vcc_lo, 5, v0
	;; [unrolled: 5-line block ×12, first 2 shown]
	v_cndmask_b32_e32 v29, v29, v27, vcc_lo
	v_cmp_eq_u32_e32 vcc_lo, 26, v0
	s_delay_alu instid0(VALU_DEP_2) | instskip(SKIP_1) | instid1(VALU_DEP_1)
	v_cndmask_b32_e32 v29, v29, v28, vcc_lo
	s_wait_dscnt 0x0
	v_mul_f32_e32 v29, v29, v30
	s_cbranch_execz .LBB90_548
	s_branch .LBB90_549
.LBB90_547:
                                        ; implicit-def: $vgpr29
.LBB90_548:
	ds_load_b32 v29, v123
.LBB90_549:
	s_mov_b32 s1, exec_lo
	v_cmpx_ne_u32_e32 14, v0
	s_cbranch_execz .LBB90_553
; %bb.550:
	v_mov_b64_e32 v[30:31], v[0:1]
	v_lshl_add_u32 v32, v0, 2, 0x74
	s_mov_b32 s2, 0
.LBB90_551:                             ; =>This Inner Loop Header: Depth=1
	s_delay_alu instid0(VALU_DEP_2)
	v_add_nc_u64_e32 v[30:31], 1, v[30:31]
	ds_load_b32 v35, v32
	v_add_nc_u32_e32 v32, 4, v32
	v_cmp_eq_u32_e32 vcc_lo, 1, v30
	v_cndmask_b32_e32 v33, v2, v3, vcc_lo
	v_cmp_eq_u32_e32 vcc_lo, 2, v30
	s_delay_alu instid0(VALU_DEP_2) | instskip(SKIP_1) | instid1(VALU_DEP_2)
	v_cndmask_b32_e32 v33, v33, v4, vcc_lo
	v_cmp_eq_u32_e32 vcc_lo, 3, v30
	v_cndmask_b32_e32 v33, v33, v5, vcc_lo
	v_cmp_eq_u32_e32 vcc_lo, 4, v30
	s_delay_alu instid0(VALU_DEP_2) | instskip(SKIP_1) | instid1(VALU_DEP_2)
	v_cndmask_b32_e32 v33, v33, v6, vcc_lo
	;; [unrolled: 5-line block ×12, first 2 shown]
	v_cmp_eq_u32_e32 vcc_lo, 25, v30
	v_cndmask_b32_e32 v33, v33, v27, vcc_lo
	v_cmp_eq_u32_e32 vcc_lo, 26, v30
	s_delay_alu instid0(VALU_DEP_2) | instskip(SKIP_2) | instid1(VALU_DEP_2)
	v_cndmask_b32_e32 v33, v33, v28, vcc_lo
	v_cmp_lt_u32_e32 vcc_lo, 13, v30
	s_wait_dscnt 0x0
	v_fmac_f32_e32 v29, v33, v35
	s_or_b32 s2, vcc_lo, s2
	s_delay_alu instid0(SALU_CYCLE_1)
	s_and_not1_b32 exec_lo, exec_lo, s2
	s_cbranch_execnz .LBB90_551
; %bb.552:
	s_or_b32 exec_lo, exec_lo, s2
.LBB90_553:
	s_delay_alu instid0(SALU_CYCLE_1)
	s_or_b32 exec_lo, exec_lo, s1
	v_mov_b32_e32 v17, 0
	ds_load_b32 v17, v17 offset:60
	s_wait_dscnt 0x0
	v_mul_f32_e32 v17, v29, v17
.LBB90_554:
	s_or_b32 exec_lo, exec_lo, s0
	s_delay_alu instid0(SALU_CYCLE_1)
	s_mov_b32 s0, exec_lo
	ds_store_b32 v123, v18
	s_wait_dscnt 0x0
	s_barrier_signal -1
	s_barrier_wait -1
	v_cmpx_gt_u32_e32 16, v0
	s_cbranch_execz .LBB90_564
; %bb.555:
	v_cmp_ne_u32_e32 vcc_lo, 1, v34
	s_cbranch_vccnz .LBB90_557
; %bb.556:
	v_cmp_eq_u32_e32 vcc_lo, 1, v0
	ds_load_b32 v30, v123
	v_cndmask_b32_e32 v29, v2, v3, vcc_lo
	v_cmp_eq_u32_e32 vcc_lo, 2, v0
	s_delay_alu instid0(VALU_DEP_2) | instskip(SKIP_1) | instid1(VALU_DEP_2)
	v_cndmask_b32_e32 v29, v29, v4, vcc_lo
	v_cmp_eq_u32_e32 vcc_lo, 3, v0
	v_cndmask_b32_e32 v29, v29, v5, vcc_lo
	v_cmp_eq_u32_e32 vcc_lo, 4, v0
	s_delay_alu instid0(VALU_DEP_2) | instskip(SKIP_1) | instid1(VALU_DEP_2)
	v_cndmask_b32_e32 v29, v29, v6, vcc_lo
	v_cmp_eq_u32_e32 vcc_lo, 5, v0
	;; [unrolled: 5-line block ×12, first 2 shown]
	v_cndmask_b32_e32 v29, v29, v27, vcc_lo
	v_cmp_eq_u32_e32 vcc_lo, 26, v0
	s_delay_alu instid0(VALU_DEP_2) | instskip(SKIP_1) | instid1(VALU_DEP_1)
	v_cndmask_b32_e32 v29, v29, v28, vcc_lo
	s_wait_dscnt 0x0
	v_mul_f32_e32 v29, v29, v30
	s_cbranch_execz .LBB90_558
	s_branch .LBB90_559
.LBB90_557:
                                        ; implicit-def: $vgpr29
.LBB90_558:
	ds_load_b32 v29, v123
.LBB90_559:
	s_mov_b32 s1, exec_lo
	v_cmpx_ne_u32_e32 15, v0
	s_cbranch_execz .LBB90_563
; %bb.560:
	v_mov_b64_e32 v[30:31], v[0:1]
	v_lshl_add_u32 v32, v0, 2, 0x74
	s_mov_b32 s2, 0
.LBB90_561:                             ; =>This Inner Loop Header: Depth=1
	s_delay_alu instid0(VALU_DEP_2)
	v_add_nc_u64_e32 v[30:31], 1, v[30:31]
	ds_load_b32 v35, v32
	v_add_nc_u32_e32 v32, 4, v32
	v_cmp_eq_u32_e32 vcc_lo, 1, v30
	v_cndmask_b32_e32 v33, v2, v3, vcc_lo
	v_cmp_eq_u32_e32 vcc_lo, 2, v30
	s_delay_alu instid0(VALU_DEP_2) | instskip(SKIP_1) | instid1(VALU_DEP_2)
	v_cndmask_b32_e32 v33, v33, v4, vcc_lo
	v_cmp_eq_u32_e32 vcc_lo, 3, v30
	v_cndmask_b32_e32 v33, v33, v5, vcc_lo
	v_cmp_eq_u32_e32 vcc_lo, 4, v30
	s_delay_alu instid0(VALU_DEP_2) | instskip(SKIP_1) | instid1(VALU_DEP_2)
	v_cndmask_b32_e32 v33, v33, v6, vcc_lo
	;; [unrolled: 5-line block ×12, first 2 shown]
	v_cmp_eq_u32_e32 vcc_lo, 25, v30
	v_cndmask_b32_e32 v33, v33, v27, vcc_lo
	v_cmp_eq_u32_e32 vcc_lo, 26, v30
	s_delay_alu instid0(VALU_DEP_2) | instskip(SKIP_2) | instid1(VALU_DEP_2)
	v_cndmask_b32_e32 v33, v33, v28, vcc_lo
	v_cmp_lt_u32_e32 vcc_lo, 14, v30
	s_wait_dscnt 0x0
	v_fmac_f32_e32 v29, v33, v35
	s_or_b32 s2, vcc_lo, s2
	s_delay_alu instid0(SALU_CYCLE_1)
	s_and_not1_b32 exec_lo, exec_lo, s2
	s_cbranch_execnz .LBB90_561
; %bb.562:
	s_or_b32 exec_lo, exec_lo, s2
.LBB90_563:
	s_delay_alu instid0(SALU_CYCLE_1)
	s_or_b32 exec_lo, exec_lo, s1
	v_mov_b32_e32 v18, 0
	ds_load_b32 v18, v18 offset:64
	s_wait_dscnt 0x0
	v_mul_f32_e32 v18, v29, v18
.LBB90_564:
	s_or_b32 exec_lo, exec_lo, s0
	s_delay_alu instid0(SALU_CYCLE_1)
	s_mov_b32 s0, exec_lo
	ds_store_b32 v123, v19
	s_wait_dscnt 0x0
	s_barrier_signal -1
	s_barrier_wait -1
	v_cmpx_gt_u32_e32 17, v0
	s_cbranch_execz .LBB90_574
; %bb.565:
	v_cmp_ne_u32_e32 vcc_lo, 1, v34
	s_cbranch_vccnz .LBB90_567
; %bb.566:
	v_cmp_eq_u32_e32 vcc_lo, 1, v0
	ds_load_b32 v30, v123
	v_cndmask_b32_e32 v29, v2, v3, vcc_lo
	v_cmp_eq_u32_e32 vcc_lo, 2, v0
	s_delay_alu instid0(VALU_DEP_2) | instskip(SKIP_1) | instid1(VALU_DEP_2)
	v_cndmask_b32_e32 v29, v29, v4, vcc_lo
	v_cmp_eq_u32_e32 vcc_lo, 3, v0
	v_cndmask_b32_e32 v29, v29, v5, vcc_lo
	v_cmp_eq_u32_e32 vcc_lo, 4, v0
	s_delay_alu instid0(VALU_DEP_2) | instskip(SKIP_1) | instid1(VALU_DEP_2)
	v_cndmask_b32_e32 v29, v29, v6, vcc_lo
	v_cmp_eq_u32_e32 vcc_lo, 5, v0
	;; [unrolled: 5-line block ×12, first 2 shown]
	v_cndmask_b32_e32 v29, v29, v27, vcc_lo
	v_cmp_eq_u32_e32 vcc_lo, 26, v0
	s_delay_alu instid0(VALU_DEP_2) | instskip(SKIP_1) | instid1(VALU_DEP_1)
	v_cndmask_b32_e32 v29, v29, v28, vcc_lo
	s_wait_dscnt 0x0
	v_mul_f32_e32 v29, v29, v30
	s_cbranch_execz .LBB90_568
	s_branch .LBB90_569
.LBB90_567:
                                        ; implicit-def: $vgpr29
.LBB90_568:
	ds_load_b32 v29, v123
.LBB90_569:
	s_mov_b32 s1, exec_lo
	v_cmpx_ne_u32_e32 16, v0
	s_cbranch_execz .LBB90_573
; %bb.570:
	v_mov_b64_e32 v[30:31], v[0:1]
	v_lshl_add_u32 v32, v0, 2, 0x74
	s_mov_b32 s2, 0
.LBB90_571:                             ; =>This Inner Loop Header: Depth=1
	s_delay_alu instid0(VALU_DEP_2)
	v_add_nc_u64_e32 v[30:31], 1, v[30:31]
	ds_load_b32 v35, v32
	v_add_nc_u32_e32 v32, 4, v32
	v_cmp_eq_u32_e32 vcc_lo, 1, v30
	v_cndmask_b32_e32 v33, v2, v3, vcc_lo
	v_cmp_eq_u32_e32 vcc_lo, 2, v30
	s_delay_alu instid0(VALU_DEP_2) | instskip(SKIP_1) | instid1(VALU_DEP_2)
	v_cndmask_b32_e32 v33, v33, v4, vcc_lo
	v_cmp_eq_u32_e32 vcc_lo, 3, v30
	v_cndmask_b32_e32 v33, v33, v5, vcc_lo
	v_cmp_eq_u32_e32 vcc_lo, 4, v30
	s_delay_alu instid0(VALU_DEP_2) | instskip(SKIP_1) | instid1(VALU_DEP_2)
	v_cndmask_b32_e32 v33, v33, v6, vcc_lo
	;; [unrolled: 5-line block ×12, first 2 shown]
	v_cmp_eq_u32_e32 vcc_lo, 25, v30
	v_cndmask_b32_e32 v33, v33, v27, vcc_lo
	v_cmp_eq_u32_e32 vcc_lo, 26, v30
	s_delay_alu instid0(VALU_DEP_2) | instskip(SKIP_2) | instid1(VALU_DEP_2)
	v_cndmask_b32_e32 v33, v33, v28, vcc_lo
	v_cmp_lt_u32_e32 vcc_lo, 15, v30
	s_wait_dscnt 0x0
	v_fmac_f32_e32 v29, v33, v35
	s_or_b32 s2, vcc_lo, s2
	s_delay_alu instid0(SALU_CYCLE_1)
	s_and_not1_b32 exec_lo, exec_lo, s2
	s_cbranch_execnz .LBB90_571
; %bb.572:
	s_or_b32 exec_lo, exec_lo, s2
.LBB90_573:
	s_delay_alu instid0(SALU_CYCLE_1)
	s_or_b32 exec_lo, exec_lo, s1
	v_mov_b32_e32 v19, 0
	ds_load_b32 v19, v19 offset:68
	s_wait_dscnt 0x0
	v_mul_f32_e32 v19, v29, v19
.LBB90_574:
	s_or_b32 exec_lo, exec_lo, s0
	s_delay_alu instid0(SALU_CYCLE_1)
	s_mov_b32 s0, exec_lo
	ds_store_b32 v123, v20
	s_wait_dscnt 0x0
	s_barrier_signal -1
	s_barrier_wait -1
	v_cmpx_gt_u32_e32 18, v0
	s_cbranch_execz .LBB90_584
; %bb.575:
	v_cmp_ne_u32_e32 vcc_lo, 1, v34
	s_cbranch_vccnz .LBB90_577
; %bb.576:
	v_cmp_eq_u32_e32 vcc_lo, 1, v0
	ds_load_b32 v30, v123
	v_cndmask_b32_e32 v29, v2, v3, vcc_lo
	v_cmp_eq_u32_e32 vcc_lo, 2, v0
	s_delay_alu instid0(VALU_DEP_2) | instskip(SKIP_1) | instid1(VALU_DEP_2)
	v_cndmask_b32_e32 v29, v29, v4, vcc_lo
	v_cmp_eq_u32_e32 vcc_lo, 3, v0
	v_cndmask_b32_e32 v29, v29, v5, vcc_lo
	v_cmp_eq_u32_e32 vcc_lo, 4, v0
	s_delay_alu instid0(VALU_DEP_2) | instskip(SKIP_1) | instid1(VALU_DEP_2)
	v_cndmask_b32_e32 v29, v29, v6, vcc_lo
	v_cmp_eq_u32_e32 vcc_lo, 5, v0
	;; [unrolled: 5-line block ×12, first 2 shown]
	v_cndmask_b32_e32 v29, v29, v27, vcc_lo
	v_cmp_eq_u32_e32 vcc_lo, 26, v0
	s_delay_alu instid0(VALU_DEP_2) | instskip(SKIP_1) | instid1(VALU_DEP_1)
	v_cndmask_b32_e32 v29, v29, v28, vcc_lo
	s_wait_dscnt 0x0
	v_mul_f32_e32 v29, v29, v30
	s_cbranch_execz .LBB90_578
	s_branch .LBB90_579
.LBB90_577:
                                        ; implicit-def: $vgpr29
.LBB90_578:
	ds_load_b32 v29, v123
.LBB90_579:
	s_mov_b32 s1, exec_lo
	v_cmpx_ne_u32_e32 17, v0
	s_cbranch_execz .LBB90_583
; %bb.580:
	v_mov_b64_e32 v[30:31], v[0:1]
	v_lshl_add_u32 v32, v0, 2, 0x74
	s_mov_b32 s2, 0
.LBB90_581:                             ; =>This Inner Loop Header: Depth=1
	s_delay_alu instid0(VALU_DEP_2)
	v_add_nc_u64_e32 v[30:31], 1, v[30:31]
	ds_load_b32 v35, v32
	v_add_nc_u32_e32 v32, 4, v32
	v_cmp_eq_u32_e32 vcc_lo, 1, v30
	v_cndmask_b32_e32 v33, v2, v3, vcc_lo
	v_cmp_eq_u32_e32 vcc_lo, 2, v30
	s_delay_alu instid0(VALU_DEP_2) | instskip(SKIP_1) | instid1(VALU_DEP_2)
	v_cndmask_b32_e32 v33, v33, v4, vcc_lo
	v_cmp_eq_u32_e32 vcc_lo, 3, v30
	v_cndmask_b32_e32 v33, v33, v5, vcc_lo
	v_cmp_eq_u32_e32 vcc_lo, 4, v30
	s_delay_alu instid0(VALU_DEP_2) | instskip(SKIP_1) | instid1(VALU_DEP_2)
	v_cndmask_b32_e32 v33, v33, v6, vcc_lo
	;; [unrolled: 5-line block ×12, first 2 shown]
	v_cmp_eq_u32_e32 vcc_lo, 25, v30
	v_cndmask_b32_e32 v33, v33, v27, vcc_lo
	v_cmp_eq_u32_e32 vcc_lo, 26, v30
	s_delay_alu instid0(VALU_DEP_2) | instskip(SKIP_2) | instid1(VALU_DEP_2)
	v_cndmask_b32_e32 v33, v33, v28, vcc_lo
	v_cmp_lt_u32_e32 vcc_lo, 16, v30
	s_wait_dscnt 0x0
	v_fmac_f32_e32 v29, v33, v35
	s_or_b32 s2, vcc_lo, s2
	s_delay_alu instid0(SALU_CYCLE_1)
	s_and_not1_b32 exec_lo, exec_lo, s2
	s_cbranch_execnz .LBB90_581
; %bb.582:
	s_or_b32 exec_lo, exec_lo, s2
.LBB90_583:
	s_delay_alu instid0(SALU_CYCLE_1)
	s_or_b32 exec_lo, exec_lo, s1
	v_mov_b32_e32 v20, 0
	ds_load_b32 v20, v20 offset:72
	s_wait_dscnt 0x0
	v_mul_f32_e32 v20, v29, v20
.LBB90_584:
	s_or_b32 exec_lo, exec_lo, s0
	s_delay_alu instid0(SALU_CYCLE_1)
	s_mov_b32 s0, exec_lo
	ds_store_b32 v123, v21
	s_wait_dscnt 0x0
	s_barrier_signal -1
	s_barrier_wait -1
	v_cmpx_gt_u32_e32 19, v0
	s_cbranch_execz .LBB90_594
; %bb.585:
	v_cmp_ne_u32_e32 vcc_lo, 1, v34
	s_cbranch_vccnz .LBB90_587
; %bb.586:
	v_cmp_eq_u32_e32 vcc_lo, 1, v0
	ds_load_b32 v30, v123
	v_cndmask_b32_e32 v29, v2, v3, vcc_lo
	v_cmp_eq_u32_e32 vcc_lo, 2, v0
	s_delay_alu instid0(VALU_DEP_2) | instskip(SKIP_1) | instid1(VALU_DEP_2)
	v_cndmask_b32_e32 v29, v29, v4, vcc_lo
	v_cmp_eq_u32_e32 vcc_lo, 3, v0
	v_cndmask_b32_e32 v29, v29, v5, vcc_lo
	v_cmp_eq_u32_e32 vcc_lo, 4, v0
	s_delay_alu instid0(VALU_DEP_2) | instskip(SKIP_1) | instid1(VALU_DEP_2)
	v_cndmask_b32_e32 v29, v29, v6, vcc_lo
	v_cmp_eq_u32_e32 vcc_lo, 5, v0
	;; [unrolled: 5-line block ×12, first 2 shown]
	v_cndmask_b32_e32 v29, v29, v27, vcc_lo
	v_cmp_eq_u32_e32 vcc_lo, 26, v0
	s_delay_alu instid0(VALU_DEP_2) | instskip(SKIP_1) | instid1(VALU_DEP_1)
	v_cndmask_b32_e32 v29, v29, v28, vcc_lo
	s_wait_dscnt 0x0
	v_mul_f32_e32 v29, v29, v30
	s_cbranch_execz .LBB90_588
	s_branch .LBB90_589
.LBB90_587:
                                        ; implicit-def: $vgpr29
.LBB90_588:
	ds_load_b32 v29, v123
.LBB90_589:
	s_mov_b32 s1, exec_lo
	v_cmpx_ne_u32_e32 18, v0
	s_cbranch_execz .LBB90_593
; %bb.590:
	v_mov_b64_e32 v[30:31], v[0:1]
	v_lshl_add_u32 v32, v0, 2, 0x74
	s_mov_b32 s2, 0
.LBB90_591:                             ; =>This Inner Loop Header: Depth=1
	s_delay_alu instid0(VALU_DEP_2)
	v_add_nc_u64_e32 v[30:31], 1, v[30:31]
	ds_load_b32 v35, v32
	v_add_nc_u32_e32 v32, 4, v32
	v_cmp_eq_u32_e32 vcc_lo, 1, v30
	v_cndmask_b32_e32 v33, v2, v3, vcc_lo
	v_cmp_eq_u32_e32 vcc_lo, 2, v30
	s_delay_alu instid0(VALU_DEP_2) | instskip(SKIP_1) | instid1(VALU_DEP_2)
	v_cndmask_b32_e32 v33, v33, v4, vcc_lo
	v_cmp_eq_u32_e32 vcc_lo, 3, v30
	v_cndmask_b32_e32 v33, v33, v5, vcc_lo
	v_cmp_eq_u32_e32 vcc_lo, 4, v30
	s_delay_alu instid0(VALU_DEP_2) | instskip(SKIP_1) | instid1(VALU_DEP_2)
	v_cndmask_b32_e32 v33, v33, v6, vcc_lo
	;; [unrolled: 5-line block ×12, first 2 shown]
	v_cmp_eq_u32_e32 vcc_lo, 25, v30
	v_cndmask_b32_e32 v33, v33, v27, vcc_lo
	v_cmp_eq_u32_e32 vcc_lo, 26, v30
	s_delay_alu instid0(VALU_DEP_2) | instskip(SKIP_2) | instid1(VALU_DEP_2)
	v_cndmask_b32_e32 v33, v33, v28, vcc_lo
	v_cmp_lt_u32_e32 vcc_lo, 17, v30
	s_wait_dscnt 0x0
	v_fmac_f32_e32 v29, v33, v35
	s_or_b32 s2, vcc_lo, s2
	s_delay_alu instid0(SALU_CYCLE_1)
	s_and_not1_b32 exec_lo, exec_lo, s2
	s_cbranch_execnz .LBB90_591
; %bb.592:
	s_or_b32 exec_lo, exec_lo, s2
.LBB90_593:
	s_delay_alu instid0(SALU_CYCLE_1)
	s_or_b32 exec_lo, exec_lo, s1
	v_mov_b32_e32 v21, 0
	ds_load_b32 v21, v21 offset:76
	s_wait_dscnt 0x0
	v_mul_f32_e32 v21, v29, v21
.LBB90_594:
	s_or_b32 exec_lo, exec_lo, s0
	s_delay_alu instid0(SALU_CYCLE_1)
	s_mov_b32 s0, exec_lo
	ds_store_b32 v123, v22
	s_wait_dscnt 0x0
	s_barrier_signal -1
	s_barrier_wait -1
	v_cmpx_gt_u32_e32 20, v0
	s_cbranch_execz .LBB90_604
; %bb.595:
	v_cmp_ne_u32_e32 vcc_lo, 1, v34
	s_cbranch_vccnz .LBB90_597
; %bb.596:
	v_cmp_eq_u32_e32 vcc_lo, 1, v0
	ds_load_b32 v30, v123
	v_cndmask_b32_e32 v29, v2, v3, vcc_lo
	v_cmp_eq_u32_e32 vcc_lo, 2, v0
	s_delay_alu instid0(VALU_DEP_2) | instskip(SKIP_1) | instid1(VALU_DEP_2)
	v_cndmask_b32_e32 v29, v29, v4, vcc_lo
	v_cmp_eq_u32_e32 vcc_lo, 3, v0
	v_cndmask_b32_e32 v29, v29, v5, vcc_lo
	v_cmp_eq_u32_e32 vcc_lo, 4, v0
	s_delay_alu instid0(VALU_DEP_2) | instskip(SKIP_1) | instid1(VALU_DEP_2)
	v_cndmask_b32_e32 v29, v29, v6, vcc_lo
	v_cmp_eq_u32_e32 vcc_lo, 5, v0
	;; [unrolled: 5-line block ×12, first 2 shown]
	v_cndmask_b32_e32 v29, v29, v27, vcc_lo
	v_cmp_eq_u32_e32 vcc_lo, 26, v0
	s_delay_alu instid0(VALU_DEP_2) | instskip(SKIP_1) | instid1(VALU_DEP_1)
	v_cndmask_b32_e32 v29, v29, v28, vcc_lo
	s_wait_dscnt 0x0
	v_mul_f32_e32 v29, v29, v30
	s_cbranch_execz .LBB90_598
	s_branch .LBB90_599
.LBB90_597:
                                        ; implicit-def: $vgpr29
.LBB90_598:
	ds_load_b32 v29, v123
.LBB90_599:
	s_mov_b32 s1, exec_lo
	v_cmpx_ne_u32_e32 19, v0
	s_cbranch_execz .LBB90_603
; %bb.600:
	v_mov_b64_e32 v[30:31], v[0:1]
	v_lshl_add_u32 v32, v0, 2, 0x74
	s_mov_b32 s2, 0
.LBB90_601:                             ; =>This Inner Loop Header: Depth=1
	s_delay_alu instid0(VALU_DEP_2)
	v_add_nc_u64_e32 v[30:31], 1, v[30:31]
	ds_load_b32 v35, v32
	v_add_nc_u32_e32 v32, 4, v32
	v_cmp_eq_u32_e32 vcc_lo, 1, v30
	v_cndmask_b32_e32 v33, v2, v3, vcc_lo
	v_cmp_eq_u32_e32 vcc_lo, 2, v30
	s_delay_alu instid0(VALU_DEP_2) | instskip(SKIP_1) | instid1(VALU_DEP_2)
	v_cndmask_b32_e32 v33, v33, v4, vcc_lo
	v_cmp_eq_u32_e32 vcc_lo, 3, v30
	v_cndmask_b32_e32 v33, v33, v5, vcc_lo
	v_cmp_eq_u32_e32 vcc_lo, 4, v30
	s_delay_alu instid0(VALU_DEP_2) | instskip(SKIP_1) | instid1(VALU_DEP_2)
	v_cndmask_b32_e32 v33, v33, v6, vcc_lo
	;; [unrolled: 5-line block ×12, first 2 shown]
	v_cmp_eq_u32_e32 vcc_lo, 25, v30
	v_cndmask_b32_e32 v33, v33, v27, vcc_lo
	v_cmp_eq_u32_e32 vcc_lo, 26, v30
	s_delay_alu instid0(VALU_DEP_2) | instskip(SKIP_2) | instid1(VALU_DEP_2)
	v_cndmask_b32_e32 v33, v33, v28, vcc_lo
	v_cmp_lt_u32_e32 vcc_lo, 18, v30
	s_wait_dscnt 0x0
	v_fmac_f32_e32 v29, v33, v35
	s_or_b32 s2, vcc_lo, s2
	s_delay_alu instid0(SALU_CYCLE_1)
	s_and_not1_b32 exec_lo, exec_lo, s2
	s_cbranch_execnz .LBB90_601
; %bb.602:
	s_or_b32 exec_lo, exec_lo, s2
.LBB90_603:
	s_delay_alu instid0(SALU_CYCLE_1)
	s_or_b32 exec_lo, exec_lo, s1
	v_mov_b32_e32 v22, 0
	ds_load_b32 v22, v22 offset:80
	s_wait_dscnt 0x0
	v_mul_f32_e32 v22, v29, v22
.LBB90_604:
	s_or_b32 exec_lo, exec_lo, s0
	s_delay_alu instid0(SALU_CYCLE_1)
	s_mov_b32 s0, exec_lo
	ds_store_b32 v123, v23
	s_wait_dscnt 0x0
	s_barrier_signal -1
	s_barrier_wait -1
	v_cmpx_gt_u32_e32 21, v0
	s_cbranch_execz .LBB90_614
; %bb.605:
	v_cmp_ne_u32_e32 vcc_lo, 1, v34
	s_cbranch_vccnz .LBB90_607
; %bb.606:
	v_cmp_eq_u32_e32 vcc_lo, 1, v0
	ds_load_b32 v30, v123
	v_cndmask_b32_e32 v29, v2, v3, vcc_lo
	v_cmp_eq_u32_e32 vcc_lo, 2, v0
	s_delay_alu instid0(VALU_DEP_2) | instskip(SKIP_1) | instid1(VALU_DEP_2)
	v_cndmask_b32_e32 v29, v29, v4, vcc_lo
	v_cmp_eq_u32_e32 vcc_lo, 3, v0
	v_cndmask_b32_e32 v29, v29, v5, vcc_lo
	v_cmp_eq_u32_e32 vcc_lo, 4, v0
	s_delay_alu instid0(VALU_DEP_2) | instskip(SKIP_1) | instid1(VALU_DEP_2)
	v_cndmask_b32_e32 v29, v29, v6, vcc_lo
	v_cmp_eq_u32_e32 vcc_lo, 5, v0
	v_cndmask_b32_e32 v29, v29, v7, vcc_lo
	v_cmp_eq_u32_e32 vcc_lo, 6, v0
	s_delay_alu instid0(VALU_DEP_2) | instskip(SKIP_1) | instid1(VALU_DEP_2)
	v_cndmask_b32_e32 v29, v29, v8, vcc_lo
	v_cmp_eq_u32_e32 vcc_lo, 7, v0
	v_cndmask_b32_e32 v29, v29, v9, vcc_lo
	v_cmp_eq_u32_e32 vcc_lo, 8, v0
	s_delay_alu instid0(VALU_DEP_2) | instskip(SKIP_1) | instid1(VALU_DEP_2)
	v_cndmask_b32_e32 v29, v29, v10, vcc_lo
	v_cmp_eq_u32_e32 vcc_lo, 9, v0
	v_cndmask_b32_e32 v29, v29, v11, vcc_lo
	v_cmp_eq_u32_e32 vcc_lo, 10, v0
	s_delay_alu instid0(VALU_DEP_2) | instskip(SKIP_1) | instid1(VALU_DEP_2)
	v_cndmask_b32_e32 v29, v29, v12, vcc_lo
	v_cmp_eq_u32_e32 vcc_lo, 11, v0
	v_cndmask_b32_e32 v29, v29, v13, vcc_lo
	v_cmp_eq_u32_e32 vcc_lo, 12, v0
	s_delay_alu instid0(VALU_DEP_2) | instskip(SKIP_1) | instid1(VALU_DEP_2)
	v_cndmask_b32_e32 v29, v29, v14, vcc_lo
	v_cmp_eq_u32_e32 vcc_lo, 13, v0
	v_cndmask_b32_e32 v29, v29, v15, vcc_lo
	v_cmp_eq_u32_e32 vcc_lo, 14, v0
	s_delay_alu instid0(VALU_DEP_2) | instskip(SKIP_1) | instid1(VALU_DEP_2)
	v_cndmask_b32_e32 v29, v29, v16, vcc_lo
	v_cmp_eq_u32_e32 vcc_lo, 15, v0
	v_cndmask_b32_e32 v29, v29, v17, vcc_lo
	v_cmp_eq_u32_e32 vcc_lo, 16, v0
	s_delay_alu instid0(VALU_DEP_2) | instskip(SKIP_1) | instid1(VALU_DEP_2)
	v_cndmask_b32_e32 v29, v29, v18, vcc_lo
	v_cmp_eq_u32_e32 vcc_lo, 17, v0
	v_cndmask_b32_e32 v29, v29, v19, vcc_lo
	v_cmp_eq_u32_e32 vcc_lo, 18, v0
	s_delay_alu instid0(VALU_DEP_2) | instskip(SKIP_1) | instid1(VALU_DEP_2)
	v_cndmask_b32_e32 v29, v29, v20, vcc_lo
	v_cmp_eq_u32_e32 vcc_lo, 19, v0
	v_cndmask_b32_e32 v29, v29, v21, vcc_lo
	v_cmp_eq_u32_e32 vcc_lo, 20, v0
	s_delay_alu instid0(VALU_DEP_2) | instskip(SKIP_1) | instid1(VALU_DEP_2)
	v_cndmask_b32_e32 v29, v29, v22, vcc_lo
	v_cmp_eq_u32_e32 vcc_lo, 21, v0
	v_cndmask_b32_e32 v29, v29, v23, vcc_lo
	v_cmp_eq_u32_e32 vcc_lo, 22, v0
	s_delay_alu instid0(VALU_DEP_2) | instskip(SKIP_1) | instid1(VALU_DEP_2)
	v_cndmask_b32_e32 v29, v29, v24, vcc_lo
	v_cmp_eq_u32_e32 vcc_lo, 23, v0
	v_cndmask_b32_e32 v29, v29, v25, vcc_lo
	v_cmp_eq_u32_e32 vcc_lo, 24, v0
	s_delay_alu instid0(VALU_DEP_2) | instskip(SKIP_1) | instid1(VALU_DEP_2)
	v_cndmask_b32_e32 v29, v29, v26, vcc_lo
	v_cmp_eq_u32_e32 vcc_lo, 25, v0
	v_cndmask_b32_e32 v29, v29, v27, vcc_lo
	v_cmp_eq_u32_e32 vcc_lo, 26, v0
	s_delay_alu instid0(VALU_DEP_2) | instskip(SKIP_1) | instid1(VALU_DEP_1)
	v_cndmask_b32_e32 v29, v29, v28, vcc_lo
	s_wait_dscnt 0x0
	v_mul_f32_e32 v29, v29, v30
	s_cbranch_execz .LBB90_608
	s_branch .LBB90_609
.LBB90_607:
                                        ; implicit-def: $vgpr29
.LBB90_608:
	ds_load_b32 v29, v123
.LBB90_609:
	s_mov_b32 s1, exec_lo
	v_cmpx_ne_u32_e32 20, v0
	s_cbranch_execz .LBB90_613
; %bb.610:
	v_mov_b64_e32 v[30:31], v[0:1]
	v_lshl_add_u32 v32, v0, 2, 0x74
	s_mov_b32 s2, 0
.LBB90_611:                             ; =>This Inner Loop Header: Depth=1
	s_delay_alu instid0(VALU_DEP_2)
	v_add_nc_u64_e32 v[30:31], 1, v[30:31]
	ds_load_b32 v35, v32
	v_add_nc_u32_e32 v32, 4, v32
	v_cmp_eq_u32_e32 vcc_lo, 1, v30
	v_cndmask_b32_e32 v33, v2, v3, vcc_lo
	v_cmp_eq_u32_e32 vcc_lo, 2, v30
	s_delay_alu instid0(VALU_DEP_2) | instskip(SKIP_1) | instid1(VALU_DEP_2)
	v_cndmask_b32_e32 v33, v33, v4, vcc_lo
	v_cmp_eq_u32_e32 vcc_lo, 3, v30
	v_cndmask_b32_e32 v33, v33, v5, vcc_lo
	v_cmp_eq_u32_e32 vcc_lo, 4, v30
	s_delay_alu instid0(VALU_DEP_2) | instskip(SKIP_1) | instid1(VALU_DEP_2)
	v_cndmask_b32_e32 v33, v33, v6, vcc_lo
	;; [unrolled: 5-line block ×12, first 2 shown]
	v_cmp_eq_u32_e32 vcc_lo, 25, v30
	v_cndmask_b32_e32 v33, v33, v27, vcc_lo
	v_cmp_eq_u32_e32 vcc_lo, 26, v30
	s_delay_alu instid0(VALU_DEP_2) | instskip(SKIP_2) | instid1(VALU_DEP_2)
	v_cndmask_b32_e32 v33, v33, v28, vcc_lo
	v_cmp_lt_u32_e32 vcc_lo, 19, v30
	s_wait_dscnt 0x0
	v_fmac_f32_e32 v29, v33, v35
	s_or_b32 s2, vcc_lo, s2
	s_delay_alu instid0(SALU_CYCLE_1)
	s_and_not1_b32 exec_lo, exec_lo, s2
	s_cbranch_execnz .LBB90_611
; %bb.612:
	s_or_b32 exec_lo, exec_lo, s2
.LBB90_613:
	s_delay_alu instid0(SALU_CYCLE_1)
	s_or_b32 exec_lo, exec_lo, s1
	v_mov_b32_e32 v23, 0
	ds_load_b32 v23, v23 offset:84
	s_wait_dscnt 0x0
	v_mul_f32_e32 v23, v29, v23
.LBB90_614:
	s_or_b32 exec_lo, exec_lo, s0
	s_delay_alu instid0(SALU_CYCLE_1)
	s_mov_b32 s0, exec_lo
	ds_store_b32 v123, v24
	s_wait_dscnt 0x0
	s_barrier_signal -1
	s_barrier_wait -1
	v_cmpx_gt_u32_e32 22, v0
	s_cbranch_execz .LBB90_624
; %bb.615:
	v_cmp_ne_u32_e32 vcc_lo, 1, v34
	s_cbranch_vccnz .LBB90_617
; %bb.616:
	v_cmp_eq_u32_e32 vcc_lo, 1, v0
	ds_load_b32 v30, v123
	v_cndmask_b32_e32 v29, v2, v3, vcc_lo
	v_cmp_eq_u32_e32 vcc_lo, 2, v0
	s_delay_alu instid0(VALU_DEP_2) | instskip(SKIP_1) | instid1(VALU_DEP_2)
	v_cndmask_b32_e32 v29, v29, v4, vcc_lo
	v_cmp_eq_u32_e32 vcc_lo, 3, v0
	v_cndmask_b32_e32 v29, v29, v5, vcc_lo
	v_cmp_eq_u32_e32 vcc_lo, 4, v0
	s_delay_alu instid0(VALU_DEP_2) | instskip(SKIP_1) | instid1(VALU_DEP_2)
	v_cndmask_b32_e32 v29, v29, v6, vcc_lo
	v_cmp_eq_u32_e32 vcc_lo, 5, v0
	;; [unrolled: 5-line block ×12, first 2 shown]
	v_cndmask_b32_e32 v29, v29, v27, vcc_lo
	v_cmp_eq_u32_e32 vcc_lo, 26, v0
	s_delay_alu instid0(VALU_DEP_2) | instskip(SKIP_1) | instid1(VALU_DEP_1)
	v_cndmask_b32_e32 v29, v29, v28, vcc_lo
	s_wait_dscnt 0x0
	v_mul_f32_e32 v29, v29, v30
	s_cbranch_execz .LBB90_618
	s_branch .LBB90_619
.LBB90_617:
                                        ; implicit-def: $vgpr29
.LBB90_618:
	ds_load_b32 v29, v123
.LBB90_619:
	s_mov_b32 s1, exec_lo
	v_cmpx_ne_u32_e32 21, v0
	s_cbranch_execz .LBB90_623
; %bb.620:
	v_mov_b64_e32 v[30:31], v[0:1]
	v_lshl_add_u32 v32, v0, 2, 0x74
	s_mov_b32 s2, 0
.LBB90_621:                             ; =>This Inner Loop Header: Depth=1
	s_delay_alu instid0(VALU_DEP_2)
	v_add_nc_u64_e32 v[30:31], 1, v[30:31]
	ds_load_b32 v35, v32
	v_add_nc_u32_e32 v32, 4, v32
	v_cmp_eq_u32_e32 vcc_lo, 1, v30
	v_cndmask_b32_e32 v33, v2, v3, vcc_lo
	v_cmp_eq_u32_e32 vcc_lo, 2, v30
	s_delay_alu instid0(VALU_DEP_2) | instskip(SKIP_1) | instid1(VALU_DEP_2)
	v_cndmask_b32_e32 v33, v33, v4, vcc_lo
	v_cmp_eq_u32_e32 vcc_lo, 3, v30
	v_cndmask_b32_e32 v33, v33, v5, vcc_lo
	v_cmp_eq_u32_e32 vcc_lo, 4, v30
	s_delay_alu instid0(VALU_DEP_2) | instskip(SKIP_1) | instid1(VALU_DEP_2)
	v_cndmask_b32_e32 v33, v33, v6, vcc_lo
	;; [unrolled: 5-line block ×12, first 2 shown]
	v_cmp_eq_u32_e32 vcc_lo, 25, v30
	v_cndmask_b32_e32 v33, v33, v27, vcc_lo
	v_cmp_eq_u32_e32 vcc_lo, 26, v30
	s_delay_alu instid0(VALU_DEP_2) | instskip(SKIP_2) | instid1(VALU_DEP_2)
	v_cndmask_b32_e32 v33, v33, v28, vcc_lo
	v_cmp_lt_u32_e32 vcc_lo, 20, v30
	s_wait_dscnt 0x0
	v_fmac_f32_e32 v29, v33, v35
	s_or_b32 s2, vcc_lo, s2
	s_delay_alu instid0(SALU_CYCLE_1)
	s_and_not1_b32 exec_lo, exec_lo, s2
	s_cbranch_execnz .LBB90_621
; %bb.622:
	s_or_b32 exec_lo, exec_lo, s2
.LBB90_623:
	s_delay_alu instid0(SALU_CYCLE_1)
	s_or_b32 exec_lo, exec_lo, s1
	v_mov_b32_e32 v24, 0
	ds_load_b32 v24, v24 offset:88
	s_wait_dscnt 0x0
	v_mul_f32_e32 v24, v29, v24
.LBB90_624:
	s_or_b32 exec_lo, exec_lo, s0
	s_delay_alu instid0(SALU_CYCLE_1)
	s_mov_b32 s0, exec_lo
	ds_store_b32 v123, v25
	s_wait_dscnt 0x0
	s_barrier_signal -1
	s_barrier_wait -1
	v_cmpx_gt_u32_e32 23, v0
	s_cbranch_execz .LBB90_634
; %bb.625:
	v_cmp_ne_u32_e32 vcc_lo, 1, v34
	s_cbranch_vccnz .LBB90_627
; %bb.626:
	v_cmp_eq_u32_e32 vcc_lo, 1, v0
	ds_load_b32 v30, v123
	v_cndmask_b32_e32 v29, v2, v3, vcc_lo
	v_cmp_eq_u32_e32 vcc_lo, 2, v0
	s_delay_alu instid0(VALU_DEP_2) | instskip(SKIP_1) | instid1(VALU_DEP_2)
	v_cndmask_b32_e32 v29, v29, v4, vcc_lo
	v_cmp_eq_u32_e32 vcc_lo, 3, v0
	v_cndmask_b32_e32 v29, v29, v5, vcc_lo
	v_cmp_eq_u32_e32 vcc_lo, 4, v0
	s_delay_alu instid0(VALU_DEP_2) | instskip(SKIP_1) | instid1(VALU_DEP_2)
	v_cndmask_b32_e32 v29, v29, v6, vcc_lo
	v_cmp_eq_u32_e32 vcc_lo, 5, v0
	;; [unrolled: 5-line block ×12, first 2 shown]
	v_cndmask_b32_e32 v29, v29, v27, vcc_lo
	v_cmp_eq_u32_e32 vcc_lo, 26, v0
	s_delay_alu instid0(VALU_DEP_2) | instskip(SKIP_1) | instid1(VALU_DEP_1)
	v_cndmask_b32_e32 v29, v29, v28, vcc_lo
	s_wait_dscnt 0x0
	v_mul_f32_e32 v29, v29, v30
	s_cbranch_execz .LBB90_628
	s_branch .LBB90_629
.LBB90_627:
                                        ; implicit-def: $vgpr29
.LBB90_628:
	ds_load_b32 v29, v123
.LBB90_629:
	s_mov_b32 s1, exec_lo
	v_cmpx_ne_u32_e32 22, v0
	s_cbranch_execz .LBB90_633
; %bb.630:
	v_mov_b64_e32 v[30:31], v[0:1]
	v_lshl_add_u32 v32, v0, 2, 0x74
	s_mov_b32 s2, 0
.LBB90_631:                             ; =>This Inner Loop Header: Depth=1
	s_delay_alu instid0(VALU_DEP_2)
	v_add_nc_u64_e32 v[30:31], 1, v[30:31]
	ds_load_b32 v35, v32
	v_add_nc_u32_e32 v32, 4, v32
	v_cmp_eq_u32_e32 vcc_lo, 1, v30
	v_cndmask_b32_e32 v33, v2, v3, vcc_lo
	v_cmp_eq_u32_e32 vcc_lo, 2, v30
	s_delay_alu instid0(VALU_DEP_2) | instskip(SKIP_1) | instid1(VALU_DEP_2)
	v_cndmask_b32_e32 v33, v33, v4, vcc_lo
	v_cmp_eq_u32_e32 vcc_lo, 3, v30
	v_cndmask_b32_e32 v33, v33, v5, vcc_lo
	v_cmp_eq_u32_e32 vcc_lo, 4, v30
	s_delay_alu instid0(VALU_DEP_2) | instskip(SKIP_1) | instid1(VALU_DEP_2)
	v_cndmask_b32_e32 v33, v33, v6, vcc_lo
	;; [unrolled: 5-line block ×12, first 2 shown]
	v_cmp_eq_u32_e32 vcc_lo, 25, v30
	v_cndmask_b32_e32 v33, v33, v27, vcc_lo
	v_cmp_eq_u32_e32 vcc_lo, 26, v30
	s_delay_alu instid0(VALU_DEP_2) | instskip(SKIP_2) | instid1(VALU_DEP_2)
	v_cndmask_b32_e32 v33, v33, v28, vcc_lo
	v_cmp_lt_u32_e32 vcc_lo, 21, v30
	s_wait_dscnt 0x0
	v_fmac_f32_e32 v29, v33, v35
	s_or_b32 s2, vcc_lo, s2
	s_delay_alu instid0(SALU_CYCLE_1)
	s_and_not1_b32 exec_lo, exec_lo, s2
	s_cbranch_execnz .LBB90_631
; %bb.632:
	s_or_b32 exec_lo, exec_lo, s2
.LBB90_633:
	s_delay_alu instid0(SALU_CYCLE_1)
	s_or_b32 exec_lo, exec_lo, s1
	v_mov_b32_e32 v25, 0
	ds_load_b32 v25, v25 offset:92
	s_wait_dscnt 0x0
	v_mul_f32_e32 v25, v29, v25
.LBB90_634:
	s_or_b32 exec_lo, exec_lo, s0
	s_delay_alu instid0(SALU_CYCLE_1)
	s_mov_b32 s0, exec_lo
	ds_store_b32 v123, v26
	s_wait_dscnt 0x0
	s_barrier_signal -1
	s_barrier_wait -1
	v_cmpx_gt_u32_e32 24, v0
	s_cbranch_execz .LBB90_644
; %bb.635:
	v_cmp_ne_u32_e32 vcc_lo, 1, v34
	s_cbranch_vccnz .LBB90_637
; %bb.636:
	v_cmp_eq_u32_e32 vcc_lo, 1, v0
	ds_load_b32 v30, v123
	v_cndmask_b32_e32 v29, v2, v3, vcc_lo
	v_cmp_eq_u32_e32 vcc_lo, 2, v0
	s_delay_alu instid0(VALU_DEP_2) | instskip(SKIP_1) | instid1(VALU_DEP_2)
	v_cndmask_b32_e32 v29, v29, v4, vcc_lo
	v_cmp_eq_u32_e32 vcc_lo, 3, v0
	v_cndmask_b32_e32 v29, v29, v5, vcc_lo
	v_cmp_eq_u32_e32 vcc_lo, 4, v0
	s_delay_alu instid0(VALU_DEP_2) | instskip(SKIP_1) | instid1(VALU_DEP_2)
	v_cndmask_b32_e32 v29, v29, v6, vcc_lo
	v_cmp_eq_u32_e32 vcc_lo, 5, v0
	;; [unrolled: 5-line block ×12, first 2 shown]
	v_cndmask_b32_e32 v29, v29, v27, vcc_lo
	v_cmp_eq_u32_e32 vcc_lo, 26, v0
	s_delay_alu instid0(VALU_DEP_2) | instskip(SKIP_1) | instid1(VALU_DEP_1)
	v_cndmask_b32_e32 v29, v29, v28, vcc_lo
	s_wait_dscnt 0x0
	v_mul_f32_e32 v29, v29, v30
	s_cbranch_execz .LBB90_638
	s_branch .LBB90_639
.LBB90_637:
                                        ; implicit-def: $vgpr29
.LBB90_638:
	ds_load_b32 v29, v123
.LBB90_639:
	s_mov_b32 s1, exec_lo
	v_cmpx_ne_u32_e32 23, v0
	s_cbranch_execz .LBB90_643
; %bb.640:
	v_mov_b64_e32 v[30:31], v[0:1]
	v_lshl_add_u32 v32, v0, 2, 0x74
	s_mov_b32 s2, 0
.LBB90_641:                             ; =>This Inner Loop Header: Depth=1
	s_delay_alu instid0(VALU_DEP_2)
	v_add_nc_u64_e32 v[30:31], 1, v[30:31]
	ds_load_b32 v35, v32
	v_add_nc_u32_e32 v32, 4, v32
	v_cmp_eq_u32_e32 vcc_lo, 1, v30
	v_cndmask_b32_e32 v33, v2, v3, vcc_lo
	v_cmp_eq_u32_e32 vcc_lo, 2, v30
	s_delay_alu instid0(VALU_DEP_2) | instskip(SKIP_1) | instid1(VALU_DEP_2)
	v_cndmask_b32_e32 v33, v33, v4, vcc_lo
	v_cmp_eq_u32_e32 vcc_lo, 3, v30
	v_cndmask_b32_e32 v33, v33, v5, vcc_lo
	v_cmp_eq_u32_e32 vcc_lo, 4, v30
	s_delay_alu instid0(VALU_DEP_2) | instskip(SKIP_1) | instid1(VALU_DEP_2)
	v_cndmask_b32_e32 v33, v33, v6, vcc_lo
	v_cmp_eq_u32_e32 vcc_lo, 5, v30
	v_cndmask_b32_e32 v33, v33, v7, vcc_lo
	v_cmp_eq_u32_e32 vcc_lo, 6, v30
	s_delay_alu instid0(VALU_DEP_2) | instskip(SKIP_1) | instid1(VALU_DEP_2)
	v_cndmask_b32_e32 v33, v33, v8, vcc_lo
	v_cmp_eq_u32_e32 vcc_lo, 7, v30
	v_cndmask_b32_e32 v33, v33, v9, vcc_lo
	v_cmp_eq_u32_e32 vcc_lo, 8, v30
	s_delay_alu instid0(VALU_DEP_2) | instskip(SKIP_1) | instid1(VALU_DEP_2)
	v_cndmask_b32_e32 v33, v33, v10, vcc_lo
	v_cmp_eq_u32_e32 vcc_lo, 9, v30
	v_cndmask_b32_e32 v33, v33, v11, vcc_lo
	v_cmp_eq_u32_e32 vcc_lo, 10, v30
	s_delay_alu instid0(VALU_DEP_2) | instskip(SKIP_1) | instid1(VALU_DEP_2)
	v_cndmask_b32_e32 v33, v33, v12, vcc_lo
	v_cmp_eq_u32_e32 vcc_lo, 11, v30
	v_cndmask_b32_e32 v33, v33, v13, vcc_lo
	v_cmp_eq_u32_e32 vcc_lo, 12, v30
	s_delay_alu instid0(VALU_DEP_2) | instskip(SKIP_1) | instid1(VALU_DEP_2)
	v_cndmask_b32_e32 v33, v33, v14, vcc_lo
	v_cmp_eq_u32_e32 vcc_lo, 13, v30
	v_cndmask_b32_e32 v33, v33, v15, vcc_lo
	v_cmp_eq_u32_e32 vcc_lo, 14, v30
	s_delay_alu instid0(VALU_DEP_2) | instskip(SKIP_1) | instid1(VALU_DEP_2)
	v_cndmask_b32_e32 v33, v33, v16, vcc_lo
	v_cmp_eq_u32_e32 vcc_lo, 15, v30
	v_cndmask_b32_e32 v33, v33, v17, vcc_lo
	v_cmp_eq_u32_e32 vcc_lo, 16, v30
	s_delay_alu instid0(VALU_DEP_2) | instskip(SKIP_1) | instid1(VALU_DEP_2)
	v_cndmask_b32_e32 v33, v33, v18, vcc_lo
	v_cmp_eq_u32_e32 vcc_lo, 17, v30
	v_cndmask_b32_e32 v33, v33, v19, vcc_lo
	v_cmp_eq_u32_e32 vcc_lo, 18, v30
	s_delay_alu instid0(VALU_DEP_2) | instskip(SKIP_1) | instid1(VALU_DEP_2)
	v_cndmask_b32_e32 v33, v33, v20, vcc_lo
	v_cmp_eq_u32_e32 vcc_lo, 19, v30
	v_cndmask_b32_e32 v33, v33, v21, vcc_lo
	v_cmp_eq_u32_e32 vcc_lo, 20, v30
	s_delay_alu instid0(VALU_DEP_2) | instskip(SKIP_1) | instid1(VALU_DEP_2)
	v_cndmask_b32_e32 v33, v33, v22, vcc_lo
	v_cmp_eq_u32_e32 vcc_lo, 21, v30
	v_cndmask_b32_e32 v33, v33, v23, vcc_lo
	v_cmp_eq_u32_e32 vcc_lo, 22, v30
	s_delay_alu instid0(VALU_DEP_2) | instskip(SKIP_1) | instid1(VALU_DEP_2)
	v_cndmask_b32_e32 v33, v33, v24, vcc_lo
	v_cmp_eq_u32_e32 vcc_lo, 23, v30
	v_cndmask_b32_e32 v33, v33, v25, vcc_lo
	v_cmp_eq_u32_e32 vcc_lo, 24, v30
	s_delay_alu instid0(VALU_DEP_2) | instskip(SKIP_1) | instid1(VALU_DEP_2)
	v_cndmask_b32_e32 v33, v33, v26, vcc_lo
	v_cmp_eq_u32_e32 vcc_lo, 25, v30
	v_cndmask_b32_e32 v33, v33, v27, vcc_lo
	v_cmp_eq_u32_e32 vcc_lo, 26, v30
	s_delay_alu instid0(VALU_DEP_2) | instskip(SKIP_2) | instid1(VALU_DEP_2)
	v_cndmask_b32_e32 v33, v33, v28, vcc_lo
	v_cmp_lt_u32_e32 vcc_lo, 22, v30
	s_wait_dscnt 0x0
	v_fmac_f32_e32 v29, v33, v35
	s_or_b32 s2, vcc_lo, s2
	s_delay_alu instid0(SALU_CYCLE_1)
	s_and_not1_b32 exec_lo, exec_lo, s2
	s_cbranch_execnz .LBB90_641
; %bb.642:
	s_or_b32 exec_lo, exec_lo, s2
.LBB90_643:
	s_delay_alu instid0(SALU_CYCLE_1)
	s_or_b32 exec_lo, exec_lo, s1
	v_mov_b32_e32 v26, 0
	ds_load_b32 v26, v26 offset:96
	s_wait_dscnt 0x0
	v_mul_f32_e32 v26, v29, v26
.LBB90_644:
	s_or_b32 exec_lo, exec_lo, s0
	v_cmp_gt_u32_e64 s0, 25, v0
	ds_store_b32 v123, v27
	s_wait_dscnt 0x0
	s_barrier_signal -1
	s_barrier_wait -1
	s_and_saveexec_b32 s1, s0
	s_cbranch_execz .LBB90_654
; %bb.645:
	v_cmp_ne_u32_e32 vcc_lo, 1, v34
	s_cbranch_vccnz .LBB90_647
; %bb.646:
	v_cmp_eq_u32_e32 vcc_lo, 1, v0
	ds_load_b32 v30, v123
	v_cndmask_b32_e32 v29, v2, v3, vcc_lo
	v_cmp_eq_u32_e32 vcc_lo, 2, v0
	s_delay_alu instid0(VALU_DEP_2) | instskip(SKIP_1) | instid1(VALU_DEP_2)
	v_cndmask_b32_e32 v29, v29, v4, vcc_lo
	v_cmp_eq_u32_e32 vcc_lo, 3, v0
	v_cndmask_b32_e32 v29, v29, v5, vcc_lo
	v_cmp_eq_u32_e32 vcc_lo, 4, v0
	s_delay_alu instid0(VALU_DEP_2) | instskip(SKIP_1) | instid1(VALU_DEP_2)
	v_cndmask_b32_e32 v29, v29, v6, vcc_lo
	v_cmp_eq_u32_e32 vcc_lo, 5, v0
	;; [unrolled: 5-line block ×12, first 2 shown]
	v_cndmask_b32_e32 v29, v29, v27, vcc_lo
	v_cmp_eq_u32_e32 vcc_lo, 26, v0
	s_delay_alu instid0(VALU_DEP_2) | instskip(SKIP_1) | instid1(VALU_DEP_1)
	v_cndmask_b32_e32 v29, v29, v28, vcc_lo
	s_wait_dscnt 0x0
	v_mul_f32_e32 v29, v29, v30
	s_cbranch_execz .LBB90_648
	s_branch .LBB90_649
.LBB90_647:
                                        ; implicit-def: $vgpr29
.LBB90_648:
	ds_load_b32 v29, v123
.LBB90_649:
	s_mov_b32 s2, exec_lo
	v_cmpx_ne_u32_e32 24, v0
	s_cbranch_execz .LBB90_653
; %bb.650:
	v_mov_b64_e32 v[30:31], v[0:1]
	v_lshl_add_u32 v32, v0, 2, 0x74
	s_mov_b32 s3, 0
.LBB90_651:                             ; =>This Inner Loop Header: Depth=1
	s_delay_alu instid0(VALU_DEP_2)
	v_add_nc_u64_e32 v[30:31], 1, v[30:31]
	ds_load_b32 v35, v32
	v_add_nc_u32_e32 v32, 4, v32
	v_cmp_eq_u32_e32 vcc_lo, 1, v30
	v_cndmask_b32_e32 v33, v2, v3, vcc_lo
	v_cmp_eq_u32_e32 vcc_lo, 2, v30
	s_delay_alu instid0(VALU_DEP_2) | instskip(SKIP_1) | instid1(VALU_DEP_2)
	v_cndmask_b32_e32 v33, v33, v4, vcc_lo
	v_cmp_eq_u32_e32 vcc_lo, 3, v30
	v_cndmask_b32_e32 v33, v33, v5, vcc_lo
	v_cmp_eq_u32_e32 vcc_lo, 4, v30
	s_delay_alu instid0(VALU_DEP_2) | instskip(SKIP_1) | instid1(VALU_DEP_2)
	v_cndmask_b32_e32 v33, v33, v6, vcc_lo
	;; [unrolled: 5-line block ×12, first 2 shown]
	v_cmp_eq_u32_e32 vcc_lo, 25, v30
	v_cndmask_b32_e32 v33, v33, v27, vcc_lo
	v_cmp_eq_u32_e32 vcc_lo, 26, v30
	s_delay_alu instid0(VALU_DEP_2) | instskip(SKIP_2) | instid1(VALU_DEP_2)
	v_cndmask_b32_e32 v33, v33, v28, vcc_lo
	v_cmp_lt_u32_e32 vcc_lo, 23, v30
	s_wait_dscnt 0x0
	v_fmac_f32_e32 v29, v33, v35
	s_or_b32 s3, vcc_lo, s3
	s_delay_alu instid0(SALU_CYCLE_1)
	s_and_not1_b32 exec_lo, exec_lo, s3
	s_cbranch_execnz .LBB90_651
; %bb.652:
	s_or_b32 exec_lo, exec_lo, s3
.LBB90_653:
	s_delay_alu instid0(SALU_CYCLE_1)
	s_or_b32 exec_lo, exec_lo, s2
	v_mov_b32_e32 v27, 0
	ds_load_b32 v27, v27 offset:100
	s_wait_dscnt 0x0
	v_mul_f32_e32 v27, v29, v27
.LBB90_654:
	s_or_b32 exec_lo, exec_lo, s1
	s_delay_alu instid0(SALU_CYCLE_1)
	s_mov_b32 s1, exec_lo
	ds_store_b32 v123, v28
	s_wait_dscnt 0x0
	s_barrier_signal -1
	s_barrier_wait -1
	v_cmpx_ne_u32_e32 26, v0
	s_cbranch_execz .LBB90_664
; %bb.655:
	v_cmp_ne_u32_e32 vcc_lo, 1, v34
	s_cbranch_vccnz .LBB90_657
; %bb.656:
	v_cmp_eq_u32_e32 vcc_lo, 1, v0
	ds_load_b32 v30, v123
	v_cndmask_b32_e32 v29, v2, v3, vcc_lo
	v_cmp_eq_u32_e32 vcc_lo, 2, v0
	s_delay_alu instid0(VALU_DEP_2) | instskip(SKIP_1) | instid1(VALU_DEP_2)
	v_cndmask_b32_e32 v29, v29, v4, vcc_lo
	v_cmp_eq_u32_e32 vcc_lo, 3, v0
	v_cndmask_b32_e32 v29, v29, v5, vcc_lo
	v_cmp_eq_u32_e32 vcc_lo, 4, v0
	s_delay_alu instid0(VALU_DEP_2) | instskip(SKIP_1) | instid1(VALU_DEP_2)
	v_cndmask_b32_e32 v29, v29, v6, vcc_lo
	v_cmp_eq_u32_e32 vcc_lo, 5, v0
	;; [unrolled: 5-line block ×12, first 2 shown]
	v_cndmask_b32_e32 v29, v29, v27, vcc_lo
	v_cmp_eq_u32_e32 vcc_lo, 26, v0
	s_delay_alu instid0(VALU_DEP_2) | instskip(SKIP_1) | instid1(VALU_DEP_1)
	v_cndmask_b32_e32 v29, v29, v28, vcc_lo
	s_wait_dscnt 0x0
	v_mul_f32_e32 v29, v29, v30
	s_cbranch_execz .LBB90_658
	s_branch .LBB90_659
.LBB90_657:
                                        ; implicit-def: $vgpr29
.LBB90_658:
	ds_load_b32 v29, v123
.LBB90_659:
	s_and_saveexec_b32 s2, s0
	s_cbranch_execz .LBB90_663
; %bb.660:
	v_lshl_add_u32 v30, v0, 2, 0x74
	s_mov_b32 s0, 0
.LBB90_661:                             ; =>This Inner Loop Header: Depth=1
	v_add_nc_u64_e32 v[0:1], 1, v[0:1]
	ds_load_b32 v32, v30
	v_add_nc_u32_e32 v30, 4, v30
	v_cmp_eq_u32_e32 vcc_lo, 1, v0
	v_cndmask_b32_e32 v31, v2, v3, vcc_lo
	v_cmp_eq_u32_e32 vcc_lo, 2, v0
	s_delay_alu instid0(VALU_DEP_2) | instskip(SKIP_1) | instid1(VALU_DEP_2)
	v_cndmask_b32_e32 v31, v31, v4, vcc_lo
	v_cmp_eq_u32_e32 vcc_lo, 3, v0
	v_cndmask_b32_e32 v31, v31, v5, vcc_lo
	v_cmp_eq_u32_e32 vcc_lo, 4, v0
	s_delay_alu instid0(VALU_DEP_2) | instskip(SKIP_1) | instid1(VALU_DEP_2)
	v_cndmask_b32_e32 v31, v31, v6, vcc_lo
	;; [unrolled: 5-line block ×12, first 2 shown]
	v_cmp_eq_u32_e32 vcc_lo, 25, v0
	v_cndmask_b32_e32 v31, v31, v27, vcc_lo
	v_cmp_eq_u32_e32 vcc_lo, 26, v0
	s_delay_alu instid0(VALU_DEP_2) | instskip(SKIP_2) | instid1(VALU_DEP_2)
	v_cndmask_b32_e32 v31, v31, v28, vcc_lo
	v_cmp_lt_u32_e32 vcc_lo, 24, v0
	s_wait_dscnt 0x0
	v_fmac_f32_e32 v29, v31, v32
	s_or_b32 s0, vcc_lo, s0
	s_delay_alu instid0(SALU_CYCLE_1)
	s_and_not1_b32 exec_lo, exec_lo, s0
	s_cbranch_execnz .LBB90_661
; %bb.662:
	s_or_b32 exec_lo, exec_lo, s0
.LBB90_663:
	s_delay_alu instid0(SALU_CYCLE_1)
	s_or_b32 exec_lo, exec_lo, s2
	v_mov_b32_e32 v0, 0
	ds_load_b32 v0, v0 offset:104
	s_wait_dscnt 0x0
	v_mul_f32_e32 v28, v29, v0
.LBB90_664:
	s_or_b32 exec_lo, exec_lo, s1
	v_mov_b64_e32 v[64:65], v[32:33]
	s_delay_alu instid0(VALU_DEP_2)
	v_mov_b64_e32 v[60:61], v[28:29]
	v_mov_b64_e32 v[58:59], v[26:27]
	;; [unrolled: 1-line block ×15, first 2 shown]
.LBB90_665:
	s_wait_xcnt 0x2
	v_lshl_add_u64 v[0:1], v[66:67], 2, s[30:31]
	s_wait_loadcnt_dscnt 0x203
	v_lshl_add_u64 v[2:3], v[68:69], 2, s[30:31]
	v_lshl_add_u64 v[4:5], v[70:71], 2, s[30:31]
	v_lshl_add_u64 v[6:7], v[72:73], 2, s[30:31]
	v_lshl_add_u64 v[8:9], v[74:75], 2, s[30:31]
	v_lshl_add_u64 v[10:11], v[76:77], 2, s[30:31]
	v_lshl_add_u64 v[12:13], v[78:79], 2, s[30:31]
	v_lshl_add_u64 v[14:15], v[80:81], 2, s[30:31]
	v_lshl_add_u64 v[16:17], v[82:83], 2, s[30:31]
	v_lshl_add_u64 v[18:19], v[84:85], 2, s[30:31]
	v_lshl_add_u64 v[20:21], v[86:87], 2, s[30:31]
	v_lshl_add_u64 v[22:23], v[88:89], 2, s[30:31]
	v_lshl_add_u64 v[24:25], v[90:91], 2, s[30:31]
	s_wait_loadcnt_dscnt 0x102
	v_lshl_add_u64 v[26:27], v[92:93], 2, s[30:31]
	s_wait_loadcnt_dscnt 0x1
	v_lshl_add_u64 v[28:29], v[94:95], 2, s[30:31]
	v_lshl_add_u64 v[30:31], v[96:97], 2, s[30:31]
	v_lshl_add_u64 v[32:33], v[98:99], 2, s[30:31]
	v_lshl_add_u64 v[62:63], v[100:101], 2, s[30:31]
	v_lshl_add_u64 v[64:65], v[104:105], 2, s[30:31]
	v_lshl_add_u64 v[66:67], v[108:109], 2, s[30:31]
	v_lshl_add_u64 v[68:69], v[110:111], 2, s[30:31]
	v_lshl_add_u64 v[70:71], v[112:113], 2, s[30:31]
	v_lshl_add_u64 v[72:73], v[114:115], 2, s[30:31]
	v_lshl_add_u64 v[74:75], v[116:117], 2, s[30:31]
	v_lshl_add_u64 v[76:77], v[118:119], 2, s[30:31]
	s_clause 0x1a
	flat_store_b32 v[102:103], v34
	flat_store_b32 v[106:107], v35
	flat_store_b32 v[0:1], v36
	flat_store_b32 v[2:3], v37
	flat_store_b32 v[4:5], v38
	flat_store_b32 v[6:7], v39
	flat_store_b32 v[8:9], v40
	flat_store_b32 v[10:11], v41
	flat_store_b32 v[12:13], v42
	flat_store_b32 v[14:15], v43
	flat_store_b32 v[16:17], v44
	flat_store_b32 v[18:19], v45
	flat_store_b32 v[20:21], v46
	flat_store_b32 v[22:23], v47
	flat_store_b32 v[24:25], v48
	flat_store_b32 v[26:27], v49
	flat_store_b32 v[28:29], v50
	flat_store_b32 v[30:31], v51
	flat_store_b32 v[32:33], v52
	flat_store_b32 v[62:63], v53
	flat_store_b32 v[64:65], v54
	flat_store_b32 v[66:67], v55
	flat_store_b32 v[68:69], v56
	flat_store_b32 v[70:71], v57
	flat_store_b32 v[72:73], v58
	flat_store_b32 v[74:75], v59
	flat_store_b32 v[76:77], v60
.LBB90_666:
	s_sendmsg sendmsg(MSG_DEALLOC_VGPRS)
	s_endpgm
	.section	.rodata,"a",@progbits
	.p2align	6, 0x0
	.amdhsa_kernel _ZN9rocsolver6v33100L18trti2_kernel_smallILi27EfPKPfEEv13rocblas_fill_17rocblas_diagonal_T1_iil
		.amdhsa_group_segment_fixed_size 220
		.amdhsa_private_segment_fixed_size 0
		.amdhsa_kernarg_size 32
		.amdhsa_user_sgpr_count 2
		.amdhsa_user_sgpr_dispatch_ptr 0
		.amdhsa_user_sgpr_queue_ptr 0
		.amdhsa_user_sgpr_kernarg_segment_ptr 1
		.amdhsa_user_sgpr_dispatch_id 0
		.amdhsa_user_sgpr_kernarg_preload_length 0
		.amdhsa_user_sgpr_kernarg_preload_offset 0
		.amdhsa_user_sgpr_private_segment_size 0
		.amdhsa_wavefront_size32 1
		.amdhsa_uses_dynamic_stack 0
		.amdhsa_enable_private_segment 0
		.amdhsa_system_sgpr_workgroup_id_x 1
		.amdhsa_system_sgpr_workgroup_id_y 0
		.amdhsa_system_sgpr_workgroup_id_z 0
		.amdhsa_system_sgpr_workgroup_info 0
		.amdhsa_system_vgpr_workitem_id 0
		.amdhsa_next_free_vgpr 135
		.amdhsa_next_free_sgpr 32
		.amdhsa_named_barrier_count 0
		.amdhsa_reserve_vcc 1
		.amdhsa_float_round_mode_32 0
		.amdhsa_float_round_mode_16_64 0
		.amdhsa_float_denorm_mode_32 3
		.amdhsa_float_denorm_mode_16_64 3
		.amdhsa_fp16_overflow 0
		.amdhsa_memory_ordered 1
		.amdhsa_forward_progress 1
		.amdhsa_inst_pref_size 255
		.amdhsa_round_robin_scheduling 0
		.amdhsa_exception_fp_ieee_invalid_op 0
		.amdhsa_exception_fp_denorm_src 0
		.amdhsa_exception_fp_ieee_div_zero 0
		.amdhsa_exception_fp_ieee_overflow 0
		.amdhsa_exception_fp_ieee_underflow 0
		.amdhsa_exception_fp_ieee_inexact 0
		.amdhsa_exception_int_div_zero 0
	.end_amdhsa_kernel
	.section	.text._ZN9rocsolver6v33100L18trti2_kernel_smallILi27EfPKPfEEv13rocblas_fill_17rocblas_diagonal_T1_iil,"axG",@progbits,_ZN9rocsolver6v33100L18trti2_kernel_smallILi27EfPKPfEEv13rocblas_fill_17rocblas_diagonal_T1_iil,comdat
.Lfunc_end90:
	.size	_ZN9rocsolver6v33100L18trti2_kernel_smallILi27EfPKPfEEv13rocblas_fill_17rocblas_diagonal_T1_iil, .Lfunc_end90-_ZN9rocsolver6v33100L18trti2_kernel_smallILi27EfPKPfEEv13rocblas_fill_17rocblas_diagonal_T1_iil
                                        ; -- End function
	.set _ZN9rocsolver6v33100L18trti2_kernel_smallILi27EfPKPfEEv13rocblas_fill_17rocblas_diagonal_T1_iil.num_vgpr, 135
	.set _ZN9rocsolver6v33100L18trti2_kernel_smallILi27EfPKPfEEv13rocblas_fill_17rocblas_diagonal_T1_iil.num_agpr, 0
	.set _ZN9rocsolver6v33100L18trti2_kernel_smallILi27EfPKPfEEv13rocblas_fill_17rocblas_diagonal_T1_iil.numbered_sgpr, 32
	.set _ZN9rocsolver6v33100L18trti2_kernel_smallILi27EfPKPfEEv13rocblas_fill_17rocblas_diagonal_T1_iil.num_named_barrier, 0
	.set _ZN9rocsolver6v33100L18trti2_kernel_smallILi27EfPKPfEEv13rocblas_fill_17rocblas_diagonal_T1_iil.private_seg_size, 0
	.set _ZN9rocsolver6v33100L18trti2_kernel_smallILi27EfPKPfEEv13rocblas_fill_17rocblas_diagonal_T1_iil.uses_vcc, 1
	.set _ZN9rocsolver6v33100L18trti2_kernel_smallILi27EfPKPfEEv13rocblas_fill_17rocblas_diagonal_T1_iil.uses_flat_scratch, 1
	.set _ZN9rocsolver6v33100L18trti2_kernel_smallILi27EfPKPfEEv13rocblas_fill_17rocblas_diagonal_T1_iil.has_dyn_sized_stack, 0
	.set _ZN9rocsolver6v33100L18trti2_kernel_smallILi27EfPKPfEEv13rocblas_fill_17rocblas_diagonal_T1_iil.has_recursion, 0
	.set _ZN9rocsolver6v33100L18trti2_kernel_smallILi27EfPKPfEEv13rocblas_fill_17rocblas_diagonal_T1_iil.has_indirect_call, 0
	.section	.AMDGPU.csdata,"",@progbits
; Kernel info:
; codeLenInByte = 46560
; TotalNumSgprs: 34
; NumVgprs: 135
; ScratchSize: 0
; MemoryBound: 0
; FloatMode: 240
; IeeeMode: 1
; LDSByteSize: 220 bytes/workgroup (compile time only)
; SGPRBlocks: 0
; VGPRBlocks: 8
; NumSGPRsForWavesPerEU: 34
; NumVGPRsForWavesPerEU: 135
; NamedBarCnt: 0
; Occupancy: 7
; WaveLimiterHint : 1
; COMPUTE_PGM_RSRC2:SCRATCH_EN: 0
; COMPUTE_PGM_RSRC2:USER_SGPR: 2
; COMPUTE_PGM_RSRC2:TRAP_HANDLER: 0
; COMPUTE_PGM_RSRC2:TGID_X_EN: 1
; COMPUTE_PGM_RSRC2:TGID_Y_EN: 0
; COMPUTE_PGM_RSRC2:TGID_Z_EN: 0
; COMPUTE_PGM_RSRC2:TIDIG_COMP_CNT: 0
	.section	.text._ZN9rocsolver6v33100L18trti2_kernel_smallILi28EfPKPfEEv13rocblas_fill_17rocblas_diagonal_T1_iil,"axG",@progbits,_ZN9rocsolver6v33100L18trti2_kernel_smallILi28EfPKPfEEv13rocblas_fill_17rocblas_diagonal_T1_iil,comdat
	.globl	_ZN9rocsolver6v33100L18trti2_kernel_smallILi28EfPKPfEEv13rocblas_fill_17rocblas_diagonal_T1_iil ; -- Begin function _ZN9rocsolver6v33100L18trti2_kernel_smallILi28EfPKPfEEv13rocblas_fill_17rocblas_diagonal_T1_iil
	.p2align	8
	.type	_ZN9rocsolver6v33100L18trti2_kernel_smallILi28EfPKPfEEv13rocblas_fill_17rocblas_diagonal_T1_iil,@function
_ZN9rocsolver6v33100L18trti2_kernel_smallILi28EfPKPfEEv13rocblas_fill_17rocblas_diagonal_T1_iil: ; @_ZN9rocsolver6v33100L18trti2_kernel_smallILi28EfPKPfEEv13rocblas_fill_17rocblas_diagonal_T1_iil
; %bb.0:
	s_mov_b32 s2, exec_lo
	v_cmpx_gt_u32_e32 28, v0
	s_cbranch_execz .LBB91_692
; %bb.1:
	s_clause 0x1
	s_load_b64 s[2:3], s[0:1], 0x10
	s_load_b128 s[28:31], s[0:1], 0x0
	s_wait_xcnt 0x0
	s_bfe_u32 s0, ttmp6, 0x4000c
	s_and_b32 s1, ttmp6, 15
	s_add_co_i32 s0, s0, 1
	s_getreg_b32 s4, hwreg(HW_REG_IB_STS2, 6, 4)
	s_mul_i32 s0, ttmp9, s0
	s_delay_alu instid0(SALU_CYCLE_1)
	s_add_co_i32 s0, s1, s0
	s_wait_kmcnt 0x0
	v_add3_u32 v66, s3, s3, v0
	s_ashr_i32 s1, s2, 31
	s_cmp_eq_u32 s4, 0
	s_cselect_b32 s4, ttmp9, s0
	s_delay_alu instid0(VALU_DEP_1)
	v_add_nc_u32_e32 v68, s3, v66
	s_ashr_i32 s5, s4, 31
	s_mov_b32 s0, s2
	s_lshl_b64 s[4:5], s[4:5], 3
	s_lshl_b64 s[0:1], s[0:1], 2
	v_add_nc_u32_e32 v70, s3, v68
	s_add_nc_u64 s[4:5], s[30:31], s[4:5]
	s_load_b64 s[4:5], s[4:5], 0x0
	s_delay_alu instid0(VALU_DEP_1) | instskip(NEXT) | instid1(VALU_DEP_1)
	v_add_nc_u32_e32 v72, s3, v70
	v_add_nc_u32_e32 v74, s3, v72
	s_delay_alu instid0(VALU_DEP_1) | instskip(NEXT) | instid1(VALU_DEP_1)
	v_add_nc_u32_e32 v76, s3, v74
	v_add_nc_u32_e32 v78, s3, v76
	s_wait_kmcnt 0x0
	s_add_nc_u64 s[30:31], s[4:5], s[0:1]
	s_mov_b32 s0, s3
	s_delay_alu instid0(VALU_DEP_1) | instskip(SKIP_3) | instid1(VALU_DEP_1)
	v_add_nc_u32_e32 v80, s3, v78
	s_ashr_i32 s1, s3, 31
	s_cmp_lg_u32 s29, 0x84
	s_cselect_b32 s33, -1, 0
	v_add_nc_u32_e32 v82, s3, v80
	s_cmp_eq_u32 s29, 0x84
	s_delay_alu instid0(VALU_DEP_1) | instskip(NEXT) | instid1(VALU_DEP_1)
	v_add_nc_u32_e32 v84, s3, v82
	v_add_nc_u32_e32 v86, s3, v84
	s_delay_alu instid0(VALU_DEP_1) | instskip(NEXT) | instid1(VALU_DEP_1)
	v_add_nc_u32_e32 v88, s3, v86
	v_add_nc_u32_e32 v90, s3, v88
	;; [unrolled: 3-line block ×4, first 2 shown]
	s_delay_alu instid0(VALU_DEP_1) | instskip(NEXT) | instid1(VALU_DEP_1)
	v_add_nc_u32_e32 v100, s3, v98
	v_dual_mov_b32 v1, 0 :: v_dual_add_nc_u32 v102, s3, v100
	s_delay_alu instid0(VALU_DEP_1) | instskip(NEXT) | instid1(VALU_DEP_1)
	v_dual_add_nc_u32 v106, s3, v102 :: v_dual_lshlrev_b32 v34, 2, v0
	v_dual_mov_b32 v35, v1 :: v_dual_add_nc_u32 v110, s3, v106
	s_delay_alu instid0(VALU_DEP_1) | instskip(NEXT) | instid1(VALU_DEP_2)
	v_add_nc_u64_e32 v[104:105], s[30:31], v[34:35]
	v_dual_mov_b32 v35, -1.0 :: v_dual_add_nc_u32 v112, s3, v110
	s_delay_alu instid0(VALU_DEP_2) | instskip(NEXT) | instid1(VALU_DEP_2)
	v_lshl_add_u64 v[108:109], s[0:1], 2, v[104:105]
	v_add_nc_u32_e32 v114, s3, v112
	s_clause 0x7
	flat_load_b32 v3, v[108:109]
	flat_load_b32 v4, v66, s[30:31] scale_offset
	flat_load_b32 v5, v68, s[30:31] scale_offset
	;; [unrolled: 1-line block ×7, first 2 shown]
	v_add_nc_u32_e32 v116, s3, v114
	s_clause 0x7
	flat_load_b32 v11, v80, s[30:31] scale_offset
	flat_load_b32 v12, v82, s[30:31] scale_offset
	;; [unrolled: 1-line block ×8, first 2 shown]
	v_cmp_eq_u32_e64 s0, 0, v0
	v_add_nc_u32_e32 v118, s3, v116
	s_delay_alu instid0(VALU_DEP_1)
	v_add_nc_u32_e32 v120, s3, v118
	s_clause 0xb
	flat_load_b32 v19, v96, s[30:31] scale_offset
	flat_load_b32 v20, v98, s[30:31] scale_offset
	;; [unrolled: 1-line block ×12, first 2 shown]
	s_cbranch_scc1 .LBB91_3
; %bb.2:
	v_cmp_eq_u32_e64 s1, 1, v0
	v_cmp_eq_u32_e64 s2, 2, v0
	;; [unrolled: 1-line block ×5, first 2 shown]
	s_wait_loadcnt_dscnt 0x303
	v_cndmask_b32_e64 v30, v2, v3, s1
	v_cmp_eq_u32_e64 s6, 6, v0
	v_cmp_eq_u32_e64 s7, 7, v0
	v_cmp_eq_u32_e64 s8, 8, v0
	v_cmp_eq_u32_e64 s9, 9, v0
	v_cndmask_b32_e64 v30, v30, v4, s2
	v_cmp_eq_u32_e64 s10, 10, v0
	v_cmp_eq_u32_e64 s11, 11, v0
	v_cmp_eq_u32_e64 s12, 12, v0
	v_cmp_eq_u32_e64 s13, 13, v0
	;; [unrolled: 5-line block ×5, first 2 shown]
	v_cndmask_b32_e64 v30, v30, v8, s6
	v_cmp_eq_u32_e64 s26, 26, v0
	v_cmp_eq_u32_e64 s27, 27, v0
	s_delay_alu instid0(VALU_DEP_3) | instskip(NEXT) | instid1(VALU_DEP_1)
	v_cndmask_b32_e64 v30, v30, v9, s7
	v_cndmask_b32_e64 v30, v30, v10, s8
	s_delay_alu instid0(VALU_DEP_1) | instskip(NEXT) | instid1(VALU_DEP_1)
	v_cndmask_b32_e64 v30, v30, v11, s9
	v_cndmask_b32_e64 v30, v30, v12, s10
	s_delay_alu instid0(VALU_DEP_1) | instskip(NEXT) | instid1(VALU_DEP_1)
	;; [unrolled: 3-line block ×8, first 2 shown]
	v_cndmask_b32_e64 v30, v30, v25, s23
	v_cndmask_b32_e64 v30, v30, v26, s24
	s_wait_loadcnt_dscnt 0x202
	s_delay_alu instid0(VALU_DEP_1) | instskip(SKIP_1) | instid1(VALU_DEP_1)
	v_cndmask_b32_e64 v30, v30, v27, s25
	s_wait_loadcnt_dscnt 0x101
	v_cndmask_b32_e64 v30, v30, v28, s26
	s_wait_loadcnt_dscnt 0x0
	s_delay_alu instid0(VALU_DEP_1) | instskip(NEXT) | instid1(VALU_DEP_1)
	v_cndmask_b32_e64 v30, v30, v29, s27
	v_div_scale_f32 v31, null, v30, v30, 1.0
	v_div_scale_f32 v35, vcc_lo, 1.0, v30, 1.0
	s_delay_alu instid0(VALU_DEP_2) | instskip(SKIP_1) | instid1(TRANS32_DEP_1)
	v_rcp_f32_e32 v32, v31
	v_nop
	v_fma_f32 v33, -v31, v32, 1.0
	s_delay_alu instid0(VALU_DEP_1) | instskip(NEXT) | instid1(VALU_DEP_1)
	v_fmac_f32_e32 v32, v33, v32
	v_mul_f32_e32 v33, v35, v32
	s_delay_alu instid0(VALU_DEP_1) | instskip(NEXT) | instid1(VALU_DEP_1)
	v_fma_f32 v36, -v31, v33, v35
	v_fmac_f32_e32 v33, v36, v32
	s_delay_alu instid0(VALU_DEP_1) | instskip(NEXT) | instid1(VALU_DEP_1)
	v_fma_f32 v31, -v31, v33, v35
	v_div_fmas_f32 v31, v31, v32, v33
	s_delay_alu instid0(VALU_DEP_1) | instskip(NEXT) | instid1(VALU_DEP_1)
	v_div_fixup_f32 v30, v31, v30, 1.0
	v_dual_cndmask_b32 v29, v29, v30, s27 :: v_dual_cndmask_b32 v28, v28, v30, s26
	v_dual_cndmask_b32 v27, v27, v30, s25 :: v_dual_cndmask_b32 v26, v26, v30, s24
	v_dual_cndmask_b32 v25, v25, v30, s23 :: v_dual_cndmask_b32 v24, v24, v30, s22
	v_dual_cndmask_b32 v23, v23, v30, s21 :: v_dual_cndmask_b32 v22, v22, v30, s20
	v_dual_cndmask_b32 v21, v21, v30, s19 :: v_dual_cndmask_b32 v20, v20, v30, s18
	v_dual_cndmask_b32 v19, v19, v30, s17 :: v_dual_cndmask_b32 v18, v18, v30, s16
	v_dual_cndmask_b32 v17, v17, v30, s15 :: v_dual_cndmask_b32 v16, v16, v30, s14
	v_dual_cndmask_b32 v15, v15, v30, s13 :: v_dual_cndmask_b32 v14, v14, v30, s12
	v_dual_cndmask_b32 v13, v13, v30, s11 :: v_dual_cndmask_b32 v12, v12, v30, s10
	v_dual_cndmask_b32 v11, v11, v30, s9 :: v_dual_cndmask_b32 v10, v10, v30, s8
	v_dual_cndmask_b32 v9, v9, v30, s7 :: v_dual_cndmask_b32 v8, v8, v30, s6
	v_dual_cndmask_b32 v7, v7, v30, s5 :: v_dual_cndmask_b32 v6, v6, v30, s4
	v_dual_cndmask_b32 v5, v5, v30, s3 :: v_dual_cndmask_b32 v4, v4, v30, s2
	v_dual_cndmask_b32 v3, v3, v30, s1 :: v_dual_cndmask_b32 v2, v2, v30, s0
	v_xor_b32_e32 v35, 0x80000000, v30
.LBB91_3:
	v_dual_ashrrev_i32 v67, 31, v66 :: v_dual_ashrrev_i32 v69, 31, v68
	v_dual_ashrrev_i32 v71, 31, v70 :: v_dual_ashrrev_i32 v73, 31, v72
	;; [unrolled: 1-line block ×12, first 2 shown]
	v_ashrrev_i32_e32 v115, 31, v114
	v_ashrrev_i32_e32 v119, 31, v118
	v_add_nc_u32_e32 v125, 0x70, v34
	s_cmp_eq_u32 s28, 0x79
	ds_store_b32 v34, v35
	s_cbranch_scc1 .LBB91_7
; %bb.4:
	s_wait_loadcnt_dscnt 0x1
	v_mov_b64_e32 v[64:65], v[32:33]
	v_mov_b64_e32 v[62:63], v[30:31]
	;; [unrolled: 1-line block ×16, first 2 shown]
	v_cmp_eq_u32_e64 s0, 27, v0
	ds_store_b32 v125, v28
	s_wait_dscnt 0x0
	s_barrier_signal -1
	s_barrier_wait -1
	s_and_saveexec_b32 s1, s0
	s_cbranch_execz .LBB91_11
; %bb.5:
	s_and_b32 vcc_lo, exec_lo, s33
	s_cbranch_vccz .LBB91_8
; %bb.6:
	v_cmp_eq_u32_e32 vcc_lo, 1, v0
	ds_load_b32 v35, v125
	v_cndmask_b32_e32 v34, v2, v3, vcc_lo
	v_cmp_eq_u32_e32 vcc_lo, 2, v0
	s_delay_alu instid0(VALU_DEP_2) | instskip(SKIP_1) | instid1(VALU_DEP_2)
	v_cndmask_b32_e32 v34, v34, v4, vcc_lo
	v_cmp_eq_u32_e32 vcc_lo, 3, v0
	v_cndmask_b32_e32 v34, v34, v5, vcc_lo
	v_cmp_eq_u32_e32 vcc_lo, 4, v0
	s_delay_alu instid0(VALU_DEP_2) | instskip(SKIP_1) | instid1(VALU_DEP_2)
	v_cndmask_b32_e32 v34, v34, v6, vcc_lo
	v_cmp_eq_u32_e32 vcc_lo, 5, v0
	;; [unrolled: 5-line block ×13, first 2 shown]
	v_cndmask_b32_e32 v34, v34, v29, vcc_lo
	s_wait_dscnt 0x0
	s_delay_alu instid0(VALU_DEP_1)
	v_mul_f32_e32 v57, v34, v35
	s_cbranch_execz .LBB91_9
	s_branch .LBB91_10
.LBB91_7:
                                        ; implicit-def: $vgpr34_vgpr35_vgpr36_vgpr37_vgpr38_vgpr39_vgpr40_vgpr41_vgpr42_vgpr43_vgpr44_vgpr45_vgpr46_vgpr47_vgpr48_vgpr49_vgpr50_vgpr51_vgpr52_vgpr53_vgpr54_vgpr55_vgpr56_vgpr57_vgpr58_vgpr59_vgpr60_vgpr61_vgpr62_vgpr63_vgpr64_vgpr65
	s_cbranch_execnz .LBB91_418
	s_branch .LBB91_691
.LBB91_8:
                                        ; implicit-def: $vgpr57
.LBB91_9:
	ds_load_b32 v57, v125
.LBB91_10:
	v_dual_mov_b32 v38, 0 :: v_dual_mov_b32 v34, v2
	v_dual_mov_b32 v35, v3 :: v_dual_mov_b32 v36, v4
	v_mov_b32_e32 v37, v5
	ds_load_b32 v58, v38 offset:104
	v_dual_mov_b32 v38, v6 :: v_dual_mov_b32 v39, v7
	v_dual_mov_b32 v40, v8 :: v_dual_mov_b32 v41, v9
	;; [unrolled: 1-line block ×9, first 2 shown]
	s_wait_dscnt 0x0
	v_dual_mov_b32 v56, v24 :: v_dual_mul_f32 v60, v57, v58
	v_dual_mov_b32 v58, v26 :: v_dual_mov_b32 v57, v25
	v_dual_mov_b32 v59, v27 :: v_dual_mov_b32 v61, v29
.LBB91_11:
	s_or_b32 exec_lo, exec_lo, s1
	v_cmp_lt_u32_e64 s1, 25, v0
	ds_store_b32 v125, v59
	s_wait_dscnt 0x0
	s_barrier_signal -1
	s_barrier_wait -1
	s_and_saveexec_b32 s2, s1
	s_cbranch_execz .LBB91_17
; %bb.12:
	s_and_not1_b32 vcc_lo, exec_lo, s33
	s_cbranch_vccnz .LBB91_14
; %bb.13:
	v_cmp_eq_u32_e32 vcc_lo, 1, v0
	ds_load_b32 v63, v125
	v_cndmask_b32_e32 v62, v34, v35, vcc_lo
	v_cmp_eq_u32_e32 vcc_lo, 2, v0
	s_delay_alu instid0(VALU_DEP_2) | instskip(SKIP_1) | instid1(VALU_DEP_2)
	v_cndmask_b32_e32 v62, v62, v36, vcc_lo
	v_cmp_eq_u32_e32 vcc_lo, 3, v0
	v_cndmask_b32_e32 v62, v62, v37, vcc_lo
	v_cmp_eq_u32_e32 vcc_lo, 4, v0
	s_delay_alu instid0(VALU_DEP_2) | instskip(SKIP_1) | instid1(VALU_DEP_2)
	v_cndmask_b32_e32 v62, v62, v38, vcc_lo
	v_cmp_eq_u32_e32 vcc_lo, 5, v0
	;; [unrolled: 5-line block ×13, first 2 shown]
	v_cndmask_b32_e32 v59, v59, v61, vcc_lo
	s_wait_dscnt 0x0
	s_delay_alu instid0(VALU_DEP_1)
	v_mul_f32_e32 v59, v59, v63
	s_cbranch_execz .LBB91_15
	s_branch .LBB91_16
.LBB91_14:
                                        ; implicit-def: $vgpr59
.LBB91_15:
	ds_load_b32 v59, v125
.LBB91_16:
	v_mov_b32_e32 v62, 0
	ds_load_2addr_b32 v[62:63], v62 offset0:25 offset1:54
	s_wait_dscnt 0x0
	v_fma_f32 v63, v60, v63, v59
	s_delay_alu instid0(VALU_DEP_1) | instskip(NEXT) | instid1(VALU_DEP_1)
	v_cndmask_b32_e64 v59, v59, v63, s0
	v_mul_f32_e32 v59, v59, v62
.LBB91_17:
	s_or_b32 exec_lo, exec_lo, s2
	v_cmp_lt_u32_e64 s0, 24, v0
	ds_store_b32 v125, v58
	s_wait_dscnt 0x0
	s_barrier_signal -1
	s_barrier_wait -1
	s_and_saveexec_b32 s4, s0
	s_cbranch_execz .LBB91_33
; %bb.18:
	s_and_not1_b32 vcc_lo, exec_lo, s33
	s_cbranch_vccnz .LBB91_20
; %bb.19:
	v_cmp_eq_u32_e32 vcc_lo, 1, v0
	ds_load_b32 v123, v125
	v_cndmask_b32_e32 v122, v34, v35, vcc_lo
	v_cmp_eq_u32_e32 vcc_lo, 2, v0
	s_delay_alu instid0(VALU_DEP_2) | instskip(SKIP_1) | instid1(VALU_DEP_2)
	v_cndmask_b32_e32 v122, v122, v36, vcc_lo
	v_cmp_eq_u32_e32 vcc_lo, 3, v0
	v_cndmask_b32_e32 v122, v122, v37, vcc_lo
	v_cmp_eq_u32_e32 vcc_lo, 4, v0
	s_delay_alu instid0(VALU_DEP_2) | instskip(SKIP_1) | instid1(VALU_DEP_2)
	v_cndmask_b32_e32 v122, v122, v38, vcc_lo
	v_cmp_eq_u32_e32 vcc_lo, 5, v0
	;; [unrolled: 5-line block ×13, first 2 shown]
	v_cndmask_b32_e32 v122, v122, v61, vcc_lo
	s_wait_dscnt 0x0
	s_delay_alu instid0(VALU_DEP_1)
	v_mul_f32_e32 v126, v122, v123
	s_cbranch_execz .LBB91_21
	s_branch .LBB91_22
.LBB91_20:
                                        ; implicit-def: $vgpr126
.LBB91_21:
	ds_load_b32 v126, v125
.LBB91_22:
	s_and_saveexec_b32 s5, s1
	s_cbranch_execz .LBB91_32
; %bb.23:
	v_subrev_nc_u32_e32 v124, 26, v0
	v_mov_b32_e32 v122, 25
	v_subrev_nc_u32_e32 v123, 25, v0
	s_mov_b32 s1, exec_lo
	s_delay_alu instid0(VALU_DEP_3)
	v_cmpx_lt_u32_e32 6, v124
	s_cbranch_execz .LBB91_27
; %bb.24:
	s_delay_alu instid0(VALU_DEP_2) | instskip(SKIP_3) | instid1(VALU_DEP_1)
	v_and_b32_e32 v122, -8, v123
	s_mov_b32 s6, 0
	s_mov_b64 s[2:3], 32
	s_movk_i32 s7, 0xd4
	v_sub_nc_u32_e32 v124, 0, v122
.LBB91_25:                              ; =>This Inner Loop Header: Depth=1
	s_add_co_i32 m0, s2, -7
	v_movrels_b32_e32 v127, v34
	v_mov_b32_e32 v122, s7
	s_add_co_i32 m0, s2, -6
	s_add_co_i32 s7, s7, 32
	v_movrels_b32_e32 v136, v34
	ds_load_2addr_b32 v[128:129], v122 offset1:1
	ds_load_2addr_b32 v[130:131], v122 offset0:2 offset1:3
	s_add_co_i32 m0, s2, -5
	s_wait_dscnt 0x1
	v_fmac_f32_e32 v126, v127, v128
	ds_load_2addr_b32 v[132:133], v122 offset0:4 offset1:5
	ds_load_2addr_b32 v[134:135], v122 offset0:6 offset1:7
	v_movrels_b32_e32 v122, v34
	s_add_co_i32 m0, s2, -4
	v_fmac_f32_e32 v126, v136, v129
	v_movrels_b32_e32 v127, v34
	s_add_co_i32 m0, s2, -3
	s_wait_dscnt 0x2
	s_delay_alu instid0(VALU_DEP_2) | instskip(SKIP_2) | instid1(VALU_DEP_2)
	v_fmac_f32_e32 v126, v122, v130
	v_movrels_b32_e32 v122, v34
	s_add_co_i32 m0, s2, -2
	v_fmac_f32_e32 v126, v127, v131
	v_movrels_b32_e32 v127, v34
	s_add_co_i32 m0, s2, -1
	s_wait_dscnt 0x1
	s_delay_alu instid0(VALU_DEP_2)
	v_fmac_f32_e32 v126, v122, v132
	v_movrels_b32_e32 v122, v34
	s_mov_b32 m0, s2
	s_add_nc_u64 s[2:3], s[2:3], 8
	v_movrels_b32_e32 v128, v34
	v_dual_fmac_f32 v126, v127, v133 :: v_dual_add_nc_u32 v127, s2, v124
	s_add_co_i32 s8, s2, -7
	s_wait_dscnt 0x0
	s_delay_alu instid0(VALU_DEP_1) | instskip(NEXT) | instid1(VALU_DEP_2)
	v_fmac_f32_e32 v126, v122, v134
	v_cmp_eq_u32_e32 vcc_lo, 32, v127
	s_delay_alu instid0(VALU_DEP_2) | instskip(SKIP_1) | instid1(SALU_CYCLE_1)
	v_dual_mov_b32 v122, s8 :: v_dual_fmac_f32 v126, v128, v135
	s_or_b32 s6, vcc_lo, s6
	s_and_not1_b32 exec_lo, exec_lo, s6
	s_cbranch_execnz .LBB91_25
; %bb.26:
	s_or_b32 exec_lo, exec_lo, s6
.LBB91_27:
	s_delay_alu instid0(SALU_CYCLE_1) | instskip(SKIP_3) | instid1(VALU_DEP_1)
	s_or_b32 exec_lo, exec_lo, s1
	v_and_b32_e32 v62, 7, v123
	s_mov_b32 s2, 0
	s_mov_b32 s1, exec_lo
	v_cmpx_ne_u32_e32 0, v62
	s_cbranch_execz .LBB91_31
; %bb.28:
	v_lshl_add_u32 v63, v122, 2, 0x70
	v_mov_b32_e32 v123, 0
.LBB91_29:                              ; =>This Inner Loop Header: Depth=1
	v_cmp_eq_u32_e32 vcc_lo, 1, v122
	ds_load_b32 v65, v63
	v_dual_add_nc_u32 v62, -1, v62 :: v_dual_add_nc_u32 v63, 4, v63
	v_cndmask_b32_e32 v64, v34, v35, vcc_lo
	v_cmp_eq_u32_e32 vcc_lo, 2, v122
	s_delay_alu instid0(VALU_DEP_2) | instskip(SKIP_1) | instid1(VALU_DEP_2)
	v_cndmask_b32_e32 v64, v64, v36, vcc_lo
	v_cmp_eq_u32_e32 vcc_lo, 3, v122
	v_cndmask_b32_e32 v64, v64, v37, vcc_lo
	v_cmp_eq_u32_e32 vcc_lo, 4, v122
	s_delay_alu instid0(VALU_DEP_2) | instskip(SKIP_1) | instid1(VALU_DEP_2)
	v_cndmask_b32_e32 v64, v64, v38, vcc_lo
	v_cmp_eq_u32_e32 vcc_lo, 5, v122
	;; [unrolled: 5-line block ×12, first 2 shown]
	v_cndmask_b32_e32 v64, v64, v59, vcc_lo
	v_cmp_eq_u32_e32 vcc_lo, 26, v122
	s_delay_alu instid0(VALU_DEP_2) | instskip(SKIP_2) | instid1(VALU_DEP_3)
	v_cndmask_b32_e32 v64, v64, v60, vcc_lo
	v_cmp_eq_u32_e32 vcc_lo, 27, v122
	v_add_nc_u64_e32 v[122:123], 1, v[122:123]
	v_cndmask_b32_e32 v64, v64, v61, vcc_lo
	v_cmp_eq_u32_e32 vcc_lo, 0, v62
	s_wait_dscnt 0x0
	s_delay_alu instid0(VALU_DEP_2) | instskip(SKIP_1) | instid1(SALU_CYCLE_1)
	v_fmac_f32_e32 v126, v64, v65
	s_or_b32 s2, vcc_lo, s2
	s_and_not1_b32 exec_lo, exec_lo, s2
	s_cbranch_execnz .LBB91_29
; %bb.30:
	s_or_b32 exec_lo, exec_lo, s2
.LBB91_31:
	s_delay_alu instid0(SALU_CYCLE_1)
	s_or_b32 exec_lo, exec_lo, s1
.LBB91_32:
	s_delay_alu instid0(SALU_CYCLE_1)
	s_or_b32 exec_lo, exec_lo, s5
	v_mov_b32_e32 v58, 0
	ds_load_b32 v58, v58 offset:96
	s_wait_dscnt 0x0
	v_mul_f32_e32 v58, v126, v58
.LBB91_33:
	s_or_b32 exec_lo, exec_lo, s4
	v_cmp_lt_u32_e64 s1, 23, v0
	ds_store_b32 v125, v57
	s_wait_dscnt 0x0
	s_barrier_signal -1
	s_barrier_wait -1
	s_and_saveexec_b32 s4, s1
	s_cbranch_execz .LBB91_49
; %bb.34:
	s_and_not1_b32 vcc_lo, exec_lo, s33
	s_cbranch_vccnz .LBB91_36
; %bb.35:
	v_cmp_eq_u32_e32 vcc_lo, 1, v0
	ds_load_b32 v123, v125
	v_cndmask_b32_e32 v122, v34, v35, vcc_lo
	v_cmp_eq_u32_e32 vcc_lo, 2, v0
	s_delay_alu instid0(VALU_DEP_2) | instskip(SKIP_1) | instid1(VALU_DEP_2)
	v_cndmask_b32_e32 v122, v122, v36, vcc_lo
	v_cmp_eq_u32_e32 vcc_lo, 3, v0
	v_cndmask_b32_e32 v122, v122, v37, vcc_lo
	v_cmp_eq_u32_e32 vcc_lo, 4, v0
	s_delay_alu instid0(VALU_DEP_2) | instskip(SKIP_1) | instid1(VALU_DEP_2)
	v_cndmask_b32_e32 v122, v122, v38, vcc_lo
	v_cmp_eq_u32_e32 vcc_lo, 5, v0
	;; [unrolled: 5-line block ×13, first 2 shown]
	v_cndmask_b32_e32 v122, v122, v61, vcc_lo
	s_wait_dscnt 0x0
	s_delay_alu instid0(VALU_DEP_1)
	v_mul_f32_e32 v126, v122, v123
	s_cbranch_execz .LBB91_37
	s_branch .LBB91_38
.LBB91_36:
                                        ; implicit-def: $vgpr126
.LBB91_37:
	ds_load_b32 v126, v125
.LBB91_38:
	s_and_saveexec_b32 s5, s0
	s_cbranch_execz .LBB91_48
; %bb.39:
	v_subrev_nc_u32_e32 v122, 25, v0
	s_delay_alu instid0(VALU_DEP_1)
	v_cmp_lt_u32_e32 vcc_lo, 6, v122
	v_mov_b32_e32 v122, 24
	s_and_saveexec_b32 s0, vcc_lo
	s_cbranch_execz .LBB91_43
; %bb.40:
	v_and_b32_e32 v122, 24, v0
	s_mov_b32 s6, 0
	s_mov_b64 s[2:3], 31
	s_movk_i32 s7, 0xd0
	s_delay_alu instid0(VALU_DEP_1)
	v_sub_nc_u32_e32 v124, 0, v122
.LBB91_41:                              ; =>This Inner Loop Header: Depth=1
	s_add_co_i32 m0, s2, -7
	v_movrels_b32_e32 v123, v34
	v_mov_b32_e32 v122, s7
	s_add_co_i32 m0, s2, -6
	s_add_co_i32 s7, s7, 32
	v_movrels_b32_e32 v127, v34
	s_add_co_i32 m0, s2, -5
	ds_load_b128 v[128:131], v122
	ds_load_b128 v[132:135], v122 offset:16
	v_movrels_b32_e32 v122, v34
	s_add_co_i32 m0, s2, -4
	s_wait_dscnt 0x1
	v_fmac_f32_e32 v126, v123, v128
	v_movrels_b32_e32 v123, v34
	s_add_co_i32 m0, s2, -3
	s_delay_alu instid0(VALU_DEP_2) | instskip(NEXT) | instid1(VALU_DEP_1)
	v_fmac_f32_e32 v126, v127, v129
	v_fmac_f32_e32 v126, v122, v130
	v_movrels_b32_e32 v122, v34
	s_add_co_i32 m0, s2, -2
	s_delay_alu instid0(VALU_DEP_2) | instskip(SKIP_3) | instid1(VALU_DEP_2)
	v_fmac_f32_e32 v126, v123, v131
	v_movrels_b32_e32 v123, v34
	s_add_co_i32 m0, s2, -1
	s_wait_dscnt 0x0
	v_fmac_f32_e32 v126, v122, v132
	v_movrels_b32_e32 v122, v34
	s_mov_b32 m0, s2
	s_add_nc_u64 s[2:3], s[2:3], 8
	v_movrels_b32_e32 v127, v34
	v_dual_fmac_f32 v126, v123, v133 :: v_dual_add_nc_u32 v123, s2, v124
	s_add_co_i32 s8, s2, -7
	s_delay_alu instid0(VALU_DEP_1) | instskip(NEXT) | instid1(VALU_DEP_2)
	v_fmac_f32_e32 v126, v122, v134
	v_cmp_eq_u32_e32 vcc_lo, 7, v123
	s_delay_alu instid0(VALU_DEP_2) | instskip(SKIP_1) | instid1(SALU_CYCLE_1)
	v_dual_mov_b32 v122, s8 :: v_dual_fmac_f32 v126, v127, v135
	s_or_b32 s6, vcc_lo, s6
	s_and_not1_b32 exec_lo, exec_lo, s6
	s_cbranch_execnz .LBB91_41
; %bb.42:
	s_or_b32 exec_lo, exec_lo, s6
.LBB91_43:
	s_delay_alu instid0(SALU_CYCLE_1) | instskip(SKIP_3) | instid1(VALU_DEP_1)
	s_or_b32 exec_lo, exec_lo, s0
	v_and_b32_e32 v62, 7, v0
	s_mov_b32 s2, 0
	s_mov_b32 s0, exec_lo
	v_cmpx_ne_u32_e32 0, v62
	s_cbranch_execz .LBB91_47
; %bb.44:
	v_lshl_add_u32 v63, v122, 2, 0x70
	v_mov_b32_e32 v123, 0
.LBB91_45:                              ; =>This Inner Loop Header: Depth=1
	v_cmp_eq_u32_e32 vcc_lo, 1, v122
	ds_load_b32 v65, v63
	v_dual_add_nc_u32 v62, -1, v62 :: v_dual_add_nc_u32 v63, 4, v63
	v_cndmask_b32_e32 v64, v34, v35, vcc_lo
	v_cmp_eq_u32_e32 vcc_lo, 2, v122
	s_delay_alu instid0(VALU_DEP_2) | instskip(SKIP_1) | instid1(VALU_DEP_2)
	v_cndmask_b32_e32 v64, v64, v36, vcc_lo
	v_cmp_eq_u32_e32 vcc_lo, 3, v122
	v_cndmask_b32_e32 v64, v64, v37, vcc_lo
	v_cmp_eq_u32_e32 vcc_lo, 4, v122
	s_delay_alu instid0(VALU_DEP_2) | instskip(SKIP_1) | instid1(VALU_DEP_2)
	v_cndmask_b32_e32 v64, v64, v38, vcc_lo
	v_cmp_eq_u32_e32 vcc_lo, 5, v122
	;; [unrolled: 5-line block ×12, first 2 shown]
	v_cndmask_b32_e32 v64, v64, v59, vcc_lo
	v_cmp_eq_u32_e32 vcc_lo, 26, v122
	s_delay_alu instid0(VALU_DEP_2) | instskip(SKIP_2) | instid1(VALU_DEP_3)
	v_cndmask_b32_e32 v64, v64, v60, vcc_lo
	v_cmp_eq_u32_e32 vcc_lo, 27, v122
	v_add_nc_u64_e32 v[122:123], 1, v[122:123]
	v_cndmask_b32_e32 v64, v64, v61, vcc_lo
	v_cmp_eq_u32_e32 vcc_lo, 0, v62
	s_wait_dscnt 0x0
	s_delay_alu instid0(VALU_DEP_2) | instskip(SKIP_1) | instid1(SALU_CYCLE_1)
	v_fmac_f32_e32 v126, v64, v65
	s_or_b32 s2, vcc_lo, s2
	s_and_not1_b32 exec_lo, exec_lo, s2
	s_cbranch_execnz .LBB91_45
; %bb.46:
	s_or_b32 exec_lo, exec_lo, s2
.LBB91_47:
	s_delay_alu instid0(SALU_CYCLE_1)
	s_or_b32 exec_lo, exec_lo, s0
.LBB91_48:
	s_delay_alu instid0(SALU_CYCLE_1)
	s_or_b32 exec_lo, exec_lo, s5
	v_mov_b32_e32 v57, 0
	ds_load_b32 v57, v57 offset:92
	s_wait_dscnt 0x0
	v_mul_f32_e32 v57, v126, v57
.LBB91_49:
	s_or_b32 exec_lo, exec_lo, s4
	v_cmp_lt_u32_e64 s0, 22, v0
	ds_store_b32 v125, v56
	s_wait_dscnt 0x0
	s_barrier_signal -1
	s_barrier_wait -1
	s_and_saveexec_b32 s4, s0
	s_cbranch_execz .LBB91_65
; %bb.50:
	s_and_not1_b32 vcc_lo, exec_lo, s33
	s_cbranch_vccnz .LBB91_52
; %bb.51:
	v_cmp_eq_u32_e32 vcc_lo, 1, v0
	ds_load_b32 v123, v125
	v_cndmask_b32_e32 v122, v34, v35, vcc_lo
	v_cmp_eq_u32_e32 vcc_lo, 2, v0
	s_delay_alu instid0(VALU_DEP_2) | instskip(SKIP_1) | instid1(VALU_DEP_2)
	v_cndmask_b32_e32 v122, v122, v36, vcc_lo
	v_cmp_eq_u32_e32 vcc_lo, 3, v0
	v_cndmask_b32_e32 v122, v122, v37, vcc_lo
	v_cmp_eq_u32_e32 vcc_lo, 4, v0
	s_delay_alu instid0(VALU_DEP_2) | instskip(SKIP_1) | instid1(VALU_DEP_2)
	v_cndmask_b32_e32 v122, v122, v38, vcc_lo
	v_cmp_eq_u32_e32 vcc_lo, 5, v0
	;; [unrolled: 5-line block ×13, first 2 shown]
	v_cndmask_b32_e32 v122, v122, v61, vcc_lo
	s_wait_dscnt 0x0
	s_delay_alu instid0(VALU_DEP_1)
	v_mul_f32_e32 v126, v122, v123
	s_cbranch_execz .LBB91_53
	s_branch .LBB91_54
.LBB91_52:
                                        ; implicit-def: $vgpr126
.LBB91_53:
	ds_load_b32 v126, v125
.LBB91_54:
	s_and_saveexec_b32 s5, s1
	s_cbranch_execz .LBB91_64
; %bb.55:
	v_subrev_nc_u32_e32 v124, 24, v0
	v_mov_b32_e32 v122, 23
	v_subrev_nc_u32_e32 v123, 23, v0
	s_mov_b32 s1, exec_lo
	s_delay_alu instid0(VALU_DEP_3)
	v_cmpx_lt_u32_e32 6, v124
	s_cbranch_execz .LBB91_59
; %bb.56:
	s_delay_alu instid0(VALU_DEP_2) | instskip(SKIP_3) | instid1(VALU_DEP_1)
	v_and_b32_e32 v122, -8, v123
	s_mov_b32 s6, 0
	s_mov_b64 s[2:3], 30
	s_movk_i32 s7, 0xcc
	v_sub_nc_u32_e32 v124, 0, v122
.LBB91_57:                              ; =>This Inner Loop Header: Depth=1
	s_add_co_i32 m0, s2, -7
	v_movrels_b32_e32 v127, v34
	v_mov_b32_e32 v122, s7
	s_add_co_i32 m0, s2, -6
	s_add_co_i32 s7, s7, 32
	v_movrels_b32_e32 v136, v34
	ds_load_2addr_b32 v[128:129], v122 offset1:1
	ds_load_2addr_b32 v[130:131], v122 offset0:2 offset1:3
	s_add_co_i32 m0, s2, -5
	s_wait_dscnt 0x1
	v_fmac_f32_e32 v126, v127, v128
	ds_load_2addr_b32 v[132:133], v122 offset0:4 offset1:5
	ds_load_2addr_b32 v[134:135], v122 offset0:6 offset1:7
	v_movrels_b32_e32 v122, v34
	s_add_co_i32 m0, s2, -4
	v_fmac_f32_e32 v126, v136, v129
	v_movrels_b32_e32 v127, v34
	s_add_co_i32 m0, s2, -3
	s_wait_dscnt 0x2
	s_delay_alu instid0(VALU_DEP_2) | instskip(SKIP_2) | instid1(VALU_DEP_2)
	v_fmac_f32_e32 v126, v122, v130
	v_movrels_b32_e32 v122, v34
	s_add_co_i32 m0, s2, -2
	v_fmac_f32_e32 v126, v127, v131
	v_movrels_b32_e32 v127, v34
	s_add_co_i32 m0, s2, -1
	s_wait_dscnt 0x1
	s_delay_alu instid0(VALU_DEP_2)
	v_fmac_f32_e32 v126, v122, v132
	v_movrels_b32_e32 v122, v34
	s_mov_b32 m0, s2
	s_add_nc_u64 s[2:3], s[2:3], 8
	v_movrels_b32_e32 v128, v34
	v_dual_fmac_f32 v126, v127, v133 :: v_dual_add_nc_u32 v127, s2, v124
	s_add_co_i32 s8, s2, -7
	s_wait_dscnt 0x0
	s_delay_alu instid0(VALU_DEP_1) | instskip(NEXT) | instid1(VALU_DEP_2)
	v_fmac_f32_e32 v126, v122, v134
	v_cmp_eq_u32_e32 vcc_lo, 30, v127
	s_delay_alu instid0(VALU_DEP_2) | instskip(SKIP_1) | instid1(SALU_CYCLE_1)
	v_dual_mov_b32 v122, s8 :: v_dual_fmac_f32 v126, v128, v135
	s_or_b32 s6, vcc_lo, s6
	s_and_not1_b32 exec_lo, exec_lo, s6
	s_cbranch_execnz .LBB91_57
; %bb.58:
	s_or_b32 exec_lo, exec_lo, s6
.LBB91_59:
	s_delay_alu instid0(SALU_CYCLE_1) | instskip(SKIP_3) | instid1(VALU_DEP_1)
	s_or_b32 exec_lo, exec_lo, s1
	v_and_b32_e32 v62, 7, v123
	s_mov_b32 s2, 0
	s_mov_b32 s1, exec_lo
	v_cmpx_ne_u32_e32 0, v62
	s_cbranch_execz .LBB91_63
; %bb.60:
	v_lshl_add_u32 v63, v122, 2, 0x70
	v_mov_b32_e32 v123, 0
.LBB91_61:                              ; =>This Inner Loop Header: Depth=1
	v_cmp_eq_u32_e32 vcc_lo, 1, v122
	ds_load_b32 v65, v63
	v_dual_add_nc_u32 v62, -1, v62 :: v_dual_add_nc_u32 v63, 4, v63
	v_cndmask_b32_e32 v64, v34, v35, vcc_lo
	v_cmp_eq_u32_e32 vcc_lo, 2, v122
	s_delay_alu instid0(VALU_DEP_2) | instskip(SKIP_1) | instid1(VALU_DEP_2)
	v_cndmask_b32_e32 v64, v64, v36, vcc_lo
	v_cmp_eq_u32_e32 vcc_lo, 3, v122
	v_cndmask_b32_e32 v64, v64, v37, vcc_lo
	v_cmp_eq_u32_e32 vcc_lo, 4, v122
	s_delay_alu instid0(VALU_DEP_2) | instskip(SKIP_1) | instid1(VALU_DEP_2)
	v_cndmask_b32_e32 v64, v64, v38, vcc_lo
	v_cmp_eq_u32_e32 vcc_lo, 5, v122
	;; [unrolled: 5-line block ×12, first 2 shown]
	v_cndmask_b32_e32 v64, v64, v59, vcc_lo
	v_cmp_eq_u32_e32 vcc_lo, 26, v122
	s_delay_alu instid0(VALU_DEP_2) | instskip(SKIP_2) | instid1(VALU_DEP_3)
	v_cndmask_b32_e32 v64, v64, v60, vcc_lo
	v_cmp_eq_u32_e32 vcc_lo, 27, v122
	v_add_nc_u64_e32 v[122:123], 1, v[122:123]
	v_cndmask_b32_e32 v64, v64, v61, vcc_lo
	v_cmp_eq_u32_e32 vcc_lo, 0, v62
	s_wait_dscnt 0x0
	s_delay_alu instid0(VALU_DEP_2) | instskip(SKIP_1) | instid1(SALU_CYCLE_1)
	v_fmac_f32_e32 v126, v64, v65
	s_or_b32 s2, vcc_lo, s2
	s_and_not1_b32 exec_lo, exec_lo, s2
	s_cbranch_execnz .LBB91_61
; %bb.62:
	s_or_b32 exec_lo, exec_lo, s2
.LBB91_63:
	s_delay_alu instid0(SALU_CYCLE_1)
	s_or_b32 exec_lo, exec_lo, s1
.LBB91_64:
	s_delay_alu instid0(SALU_CYCLE_1)
	s_or_b32 exec_lo, exec_lo, s5
	v_mov_b32_e32 v56, 0
	ds_load_b32 v56, v56 offset:88
	s_wait_dscnt 0x0
	v_mul_f32_e32 v56, v126, v56
.LBB91_65:
	s_or_b32 exec_lo, exec_lo, s4
	v_cmp_lt_u32_e64 s1, 21, v0
	ds_store_b32 v125, v55
	s_wait_dscnt 0x0
	s_barrier_signal -1
	s_barrier_wait -1
	s_and_saveexec_b32 s4, s1
	s_cbranch_execz .LBB91_81
; %bb.66:
	s_and_not1_b32 vcc_lo, exec_lo, s33
	s_cbranch_vccnz .LBB91_68
; %bb.67:
	v_cmp_eq_u32_e32 vcc_lo, 1, v0
	ds_load_b32 v123, v125
	v_cndmask_b32_e32 v122, v34, v35, vcc_lo
	v_cmp_eq_u32_e32 vcc_lo, 2, v0
	s_delay_alu instid0(VALU_DEP_2) | instskip(SKIP_1) | instid1(VALU_DEP_2)
	v_cndmask_b32_e32 v122, v122, v36, vcc_lo
	v_cmp_eq_u32_e32 vcc_lo, 3, v0
	v_cndmask_b32_e32 v122, v122, v37, vcc_lo
	v_cmp_eq_u32_e32 vcc_lo, 4, v0
	s_delay_alu instid0(VALU_DEP_2) | instskip(SKIP_1) | instid1(VALU_DEP_2)
	v_cndmask_b32_e32 v122, v122, v38, vcc_lo
	v_cmp_eq_u32_e32 vcc_lo, 5, v0
	;; [unrolled: 5-line block ×13, first 2 shown]
	v_cndmask_b32_e32 v122, v122, v61, vcc_lo
	s_wait_dscnt 0x0
	s_delay_alu instid0(VALU_DEP_1)
	v_mul_f32_e32 v126, v122, v123
	s_cbranch_execz .LBB91_69
	s_branch .LBB91_70
.LBB91_68:
                                        ; implicit-def: $vgpr126
.LBB91_69:
	ds_load_b32 v126, v125
.LBB91_70:
	s_and_saveexec_b32 s5, s0
	s_cbranch_execz .LBB91_80
; %bb.71:
	v_subrev_nc_u32_e32 v124, 23, v0
	v_mov_b32_e32 v122, 22
	v_subrev_nc_u32_e32 v123, 22, v0
	s_mov_b32 s0, exec_lo
	s_delay_alu instid0(VALU_DEP_3)
	v_cmpx_lt_u32_e32 6, v124
	s_cbranch_execz .LBB91_75
; %bb.72:
	s_delay_alu instid0(VALU_DEP_2) | instskip(SKIP_3) | instid1(VALU_DEP_1)
	v_and_b32_e32 v122, -8, v123
	s_mov_b32 s6, 0
	s_mov_b64 s[2:3], 29
	s_movk_i32 s7, 0xc8
	v_sub_nc_u32_e32 v124, 0, v122
.LBB91_73:                              ; =>This Inner Loop Header: Depth=1
	s_add_co_i32 m0, s2, -7
	v_movrels_b32_e32 v127, v34
	v_mov_b32_e32 v122, s7
	s_add_co_i32 m0, s2, -6
	s_add_co_i32 s7, s7, 32
	v_movrels_b32_e32 v136, v34
	s_add_co_i32 m0, s2, -5
	ds_load_2addr_b64 v[128:131], v122 offset1:1
	ds_load_2addr_b64 v[132:135], v122 offset0:2 offset1:3
	v_movrels_b32_e32 v122, v34
	s_add_co_i32 m0, s2, -4
	s_wait_dscnt 0x1
	v_fmac_f32_e32 v126, v127, v128
	v_movrels_b32_e32 v127, v34
	s_add_co_i32 m0, s2, -3
	s_delay_alu instid0(VALU_DEP_2) | instskip(NEXT) | instid1(VALU_DEP_1)
	v_fmac_f32_e32 v126, v136, v129
	v_fmac_f32_e32 v126, v122, v130
	v_movrels_b32_e32 v122, v34
	s_add_co_i32 m0, s2, -2
	s_delay_alu instid0(VALU_DEP_2) | instskip(SKIP_3) | instid1(VALU_DEP_2)
	v_fmac_f32_e32 v126, v127, v131
	v_movrels_b32_e32 v127, v34
	s_add_co_i32 m0, s2, -1
	s_wait_dscnt 0x0
	v_fmac_f32_e32 v126, v122, v132
	v_movrels_b32_e32 v122, v34
	s_mov_b32 m0, s2
	s_add_nc_u64 s[2:3], s[2:3], 8
	v_movrels_b32_e32 v128, v34
	v_dual_fmac_f32 v126, v127, v133 :: v_dual_add_nc_u32 v127, s2, v124
	s_add_co_i32 s8, s2, -7
	s_delay_alu instid0(VALU_DEP_1) | instskip(NEXT) | instid1(VALU_DEP_2)
	v_fmac_f32_e32 v126, v122, v134
	v_cmp_eq_u32_e32 vcc_lo, 29, v127
	s_delay_alu instid0(VALU_DEP_2) | instskip(SKIP_1) | instid1(SALU_CYCLE_1)
	v_dual_mov_b32 v122, s8 :: v_dual_fmac_f32 v126, v128, v135
	s_or_b32 s6, vcc_lo, s6
	s_and_not1_b32 exec_lo, exec_lo, s6
	s_cbranch_execnz .LBB91_73
; %bb.74:
	s_or_b32 exec_lo, exec_lo, s6
.LBB91_75:
	s_delay_alu instid0(SALU_CYCLE_1) | instskip(SKIP_3) | instid1(VALU_DEP_1)
	s_or_b32 exec_lo, exec_lo, s0
	v_and_b32_e32 v62, 7, v123
	s_mov_b32 s2, 0
	s_mov_b32 s0, exec_lo
	v_cmpx_ne_u32_e32 0, v62
	s_cbranch_execz .LBB91_79
; %bb.76:
	v_lshl_add_u32 v63, v122, 2, 0x70
	v_mov_b32_e32 v123, 0
.LBB91_77:                              ; =>This Inner Loop Header: Depth=1
	v_cmp_eq_u32_e32 vcc_lo, 1, v122
	ds_load_b32 v65, v63
	v_dual_add_nc_u32 v62, -1, v62 :: v_dual_add_nc_u32 v63, 4, v63
	v_cndmask_b32_e32 v64, v34, v35, vcc_lo
	v_cmp_eq_u32_e32 vcc_lo, 2, v122
	s_delay_alu instid0(VALU_DEP_2) | instskip(SKIP_1) | instid1(VALU_DEP_2)
	v_cndmask_b32_e32 v64, v64, v36, vcc_lo
	v_cmp_eq_u32_e32 vcc_lo, 3, v122
	v_cndmask_b32_e32 v64, v64, v37, vcc_lo
	v_cmp_eq_u32_e32 vcc_lo, 4, v122
	s_delay_alu instid0(VALU_DEP_2) | instskip(SKIP_1) | instid1(VALU_DEP_2)
	v_cndmask_b32_e32 v64, v64, v38, vcc_lo
	v_cmp_eq_u32_e32 vcc_lo, 5, v122
	;; [unrolled: 5-line block ×12, first 2 shown]
	v_cndmask_b32_e32 v64, v64, v59, vcc_lo
	v_cmp_eq_u32_e32 vcc_lo, 26, v122
	s_delay_alu instid0(VALU_DEP_2) | instskip(SKIP_2) | instid1(VALU_DEP_3)
	v_cndmask_b32_e32 v64, v64, v60, vcc_lo
	v_cmp_eq_u32_e32 vcc_lo, 27, v122
	v_add_nc_u64_e32 v[122:123], 1, v[122:123]
	v_cndmask_b32_e32 v64, v64, v61, vcc_lo
	v_cmp_eq_u32_e32 vcc_lo, 0, v62
	s_wait_dscnt 0x0
	s_delay_alu instid0(VALU_DEP_2) | instskip(SKIP_1) | instid1(SALU_CYCLE_1)
	v_fmac_f32_e32 v126, v64, v65
	s_or_b32 s2, vcc_lo, s2
	s_and_not1_b32 exec_lo, exec_lo, s2
	s_cbranch_execnz .LBB91_77
; %bb.78:
	s_or_b32 exec_lo, exec_lo, s2
.LBB91_79:
	s_delay_alu instid0(SALU_CYCLE_1)
	s_or_b32 exec_lo, exec_lo, s0
.LBB91_80:
	s_delay_alu instid0(SALU_CYCLE_1)
	s_or_b32 exec_lo, exec_lo, s5
	v_mov_b32_e32 v55, 0
	ds_load_b32 v55, v55 offset:84
	s_wait_dscnt 0x0
	v_mul_f32_e32 v55, v126, v55
.LBB91_81:
	s_or_b32 exec_lo, exec_lo, s4
	v_cmp_lt_u32_e64 s0, 20, v0
	ds_store_b32 v125, v54
	s_wait_dscnt 0x0
	s_barrier_signal -1
	s_barrier_wait -1
	s_and_saveexec_b32 s4, s0
	s_cbranch_execz .LBB91_97
; %bb.82:
	s_and_not1_b32 vcc_lo, exec_lo, s33
	s_cbranch_vccnz .LBB91_84
; %bb.83:
	v_cmp_eq_u32_e32 vcc_lo, 1, v0
	ds_load_b32 v123, v125
	v_cndmask_b32_e32 v122, v34, v35, vcc_lo
	v_cmp_eq_u32_e32 vcc_lo, 2, v0
	s_delay_alu instid0(VALU_DEP_2) | instskip(SKIP_1) | instid1(VALU_DEP_2)
	v_cndmask_b32_e32 v122, v122, v36, vcc_lo
	v_cmp_eq_u32_e32 vcc_lo, 3, v0
	v_cndmask_b32_e32 v122, v122, v37, vcc_lo
	v_cmp_eq_u32_e32 vcc_lo, 4, v0
	s_delay_alu instid0(VALU_DEP_2) | instskip(SKIP_1) | instid1(VALU_DEP_2)
	v_cndmask_b32_e32 v122, v122, v38, vcc_lo
	v_cmp_eq_u32_e32 vcc_lo, 5, v0
	;; [unrolled: 5-line block ×13, first 2 shown]
	v_cndmask_b32_e32 v122, v122, v61, vcc_lo
	s_wait_dscnt 0x0
	s_delay_alu instid0(VALU_DEP_1)
	v_mul_f32_e32 v126, v122, v123
	s_cbranch_execz .LBB91_85
	s_branch .LBB91_86
.LBB91_84:
                                        ; implicit-def: $vgpr126
.LBB91_85:
	ds_load_b32 v126, v125
.LBB91_86:
	s_and_saveexec_b32 s5, s1
	s_cbranch_execz .LBB91_96
; %bb.87:
	v_subrev_nc_u32_e32 v124, 22, v0
	v_mov_b32_e32 v122, 21
	v_subrev_nc_u32_e32 v123, 21, v0
	s_mov_b32 s1, exec_lo
	s_delay_alu instid0(VALU_DEP_3)
	v_cmpx_lt_u32_e32 6, v124
	s_cbranch_execz .LBB91_91
; %bb.88:
	s_delay_alu instid0(VALU_DEP_2) | instskip(SKIP_3) | instid1(VALU_DEP_1)
	v_and_b32_e32 v122, -8, v123
	s_mov_b32 s6, 0
	s_mov_b64 s[2:3], 28
	s_movk_i32 s7, 0xc4
	v_sub_nc_u32_e32 v124, 0, v122
.LBB91_89:                              ; =>This Inner Loop Header: Depth=1
	s_add_co_i32 m0, s2, -7
	v_movrels_b32_e32 v127, v34
	v_mov_b32_e32 v122, s7
	s_add_co_i32 m0, s2, -6
	s_add_co_i32 s7, s7, 32
	v_movrels_b32_e32 v136, v34
	ds_load_2addr_b32 v[128:129], v122 offset1:1
	ds_load_2addr_b32 v[130:131], v122 offset0:2 offset1:3
	s_add_co_i32 m0, s2, -5
	s_wait_dscnt 0x1
	v_fmac_f32_e32 v126, v127, v128
	ds_load_2addr_b32 v[132:133], v122 offset0:4 offset1:5
	ds_load_2addr_b32 v[134:135], v122 offset0:6 offset1:7
	v_movrels_b32_e32 v122, v34
	s_add_co_i32 m0, s2, -4
	v_fmac_f32_e32 v126, v136, v129
	v_movrels_b32_e32 v127, v34
	s_add_co_i32 m0, s2, -3
	s_wait_dscnt 0x2
	s_delay_alu instid0(VALU_DEP_2) | instskip(SKIP_2) | instid1(VALU_DEP_2)
	v_fmac_f32_e32 v126, v122, v130
	v_movrels_b32_e32 v122, v34
	s_add_co_i32 m0, s2, -2
	v_fmac_f32_e32 v126, v127, v131
	v_movrels_b32_e32 v127, v34
	s_add_co_i32 m0, s2, -1
	s_wait_dscnt 0x1
	s_delay_alu instid0(VALU_DEP_2)
	v_fmac_f32_e32 v126, v122, v132
	v_movrels_b32_e32 v122, v34
	s_mov_b32 m0, s2
	s_add_nc_u64 s[2:3], s[2:3], 8
	v_movrels_b32_e32 v128, v34
	v_dual_fmac_f32 v126, v127, v133 :: v_dual_add_nc_u32 v127, s2, v124
	s_add_co_i32 s8, s2, -7
	s_wait_dscnt 0x0
	s_delay_alu instid0(VALU_DEP_1) | instskip(NEXT) | instid1(VALU_DEP_2)
	v_fmac_f32_e32 v126, v122, v134
	v_cmp_eq_u32_e32 vcc_lo, 28, v127
	s_delay_alu instid0(VALU_DEP_2) | instskip(SKIP_1) | instid1(SALU_CYCLE_1)
	v_dual_mov_b32 v122, s8 :: v_dual_fmac_f32 v126, v128, v135
	s_or_b32 s6, vcc_lo, s6
	s_and_not1_b32 exec_lo, exec_lo, s6
	s_cbranch_execnz .LBB91_89
; %bb.90:
	s_or_b32 exec_lo, exec_lo, s6
.LBB91_91:
	s_delay_alu instid0(SALU_CYCLE_1) | instskip(SKIP_3) | instid1(VALU_DEP_1)
	s_or_b32 exec_lo, exec_lo, s1
	v_and_b32_e32 v62, 7, v123
	s_mov_b32 s2, 0
	s_mov_b32 s1, exec_lo
	v_cmpx_ne_u32_e32 0, v62
	s_cbranch_execz .LBB91_95
; %bb.92:
	v_lshl_add_u32 v63, v122, 2, 0x70
	v_mov_b32_e32 v123, 0
.LBB91_93:                              ; =>This Inner Loop Header: Depth=1
	v_cmp_eq_u32_e32 vcc_lo, 1, v122
	ds_load_b32 v65, v63
	v_dual_add_nc_u32 v62, -1, v62 :: v_dual_add_nc_u32 v63, 4, v63
	v_cndmask_b32_e32 v64, v34, v35, vcc_lo
	v_cmp_eq_u32_e32 vcc_lo, 2, v122
	s_delay_alu instid0(VALU_DEP_2) | instskip(SKIP_1) | instid1(VALU_DEP_2)
	v_cndmask_b32_e32 v64, v64, v36, vcc_lo
	v_cmp_eq_u32_e32 vcc_lo, 3, v122
	v_cndmask_b32_e32 v64, v64, v37, vcc_lo
	v_cmp_eq_u32_e32 vcc_lo, 4, v122
	s_delay_alu instid0(VALU_DEP_2) | instskip(SKIP_1) | instid1(VALU_DEP_2)
	v_cndmask_b32_e32 v64, v64, v38, vcc_lo
	v_cmp_eq_u32_e32 vcc_lo, 5, v122
	;; [unrolled: 5-line block ×12, first 2 shown]
	v_cndmask_b32_e32 v64, v64, v59, vcc_lo
	v_cmp_eq_u32_e32 vcc_lo, 26, v122
	s_delay_alu instid0(VALU_DEP_2) | instskip(SKIP_2) | instid1(VALU_DEP_3)
	v_cndmask_b32_e32 v64, v64, v60, vcc_lo
	v_cmp_eq_u32_e32 vcc_lo, 27, v122
	v_add_nc_u64_e32 v[122:123], 1, v[122:123]
	v_cndmask_b32_e32 v64, v64, v61, vcc_lo
	v_cmp_eq_u32_e32 vcc_lo, 0, v62
	s_wait_dscnt 0x0
	s_delay_alu instid0(VALU_DEP_2) | instskip(SKIP_1) | instid1(SALU_CYCLE_1)
	v_fmac_f32_e32 v126, v64, v65
	s_or_b32 s2, vcc_lo, s2
	s_and_not1_b32 exec_lo, exec_lo, s2
	s_cbranch_execnz .LBB91_93
; %bb.94:
	s_or_b32 exec_lo, exec_lo, s2
.LBB91_95:
	s_delay_alu instid0(SALU_CYCLE_1)
	s_or_b32 exec_lo, exec_lo, s1
.LBB91_96:
	s_delay_alu instid0(SALU_CYCLE_1)
	s_or_b32 exec_lo, exec_lo, s5
	v_mov_b32_e32 v54, 0
	ds_load_b32 v54, v54 offset:80
	s_wait_dscnt 0x0
	v_mul_f32_e32 v54, v126, v54
.LBB91_97:
	s_or_b32 exec_lo, exec_lo, s4
	v_cmp_lt_u32_e64 s1, 19, v0
	ds_store_b32 v125, v53
	s_wait_dscnt 0x0
	s_barrier_signal -1
	s_barrier_wait -1
	s_and_saveexec_b32 s4, s1
	s_cbranch_execz .LBB91_113
; %bb.98:
	s_and_not1_b32 vcc_lo, exec_lo, s33
	s_cbranch_vccnz .LBB91_100
; %bb.99:
	v_cmp_eq_u32_e32 vcc_lo, 1, v0
	ds_load_b32 v123, v125
	v_cndmask_b32_e32 v122, v34, v35, vcc_lo
	v_cmp_eq_u32_e32 vcc_lo, 2, v0
	s_delay_alu instid0(VALU_DEP_2) | instskip(SKIP_1) | instid1(VALU_DEP_2)
	v_cndmask_b32_e32 v122, v122, v36, vcc_lo
	v_cmp_eq_u32_e32 vcc_lo, 3, v0
	v_cndmask_b32_e32 v122, v122, v37, vcc_lo
	v_cmp_eq_u32_e32 vcc_lo, 4, v0
	s_delay_alu instid0(VALU_DEP_2) | instskip(SKIP_1) | instid1(VALU_DEP_2)
	v_cndmask_b32_e32 v122, v122, v38, vcc_lo
	v_cmp_eq_u32_e32 vcc_lo, 5, v0
	;; [unrolled: 5-line block ×13, first 2 shown]
	v_cndmask_b32_e32 v122, v122, v61, vcc_lo
	s_wait_dscnt 0x0
	s_delay_alu instid0(VALU_DEP_1)
	v_mul_f32_e32 v126, v122, v123
	s_cbranch_execz .LBB91_101
	s_branch .LBB91_102
.LBB91_100:
                                        ; implicit-def: $vgpr126
.LBB91_101:
	ds_load_b32 v126, v125
.LBB91_102:
	s_and_saveexec_b32 s5, s0
	s_cbranch_execz .LBB91_112
; %bb.103:
	v_subrev_nc_u32_e32 v124, 21, v0
	v_mov_b32_e32 v122, 20
	v_subrev_nc_u32_e32 v123, 20, v0
	s_mov_b32 s0, exec_lo
	s_delay_alu instid0(VALU_DEP_3)
	v_cmpx_lt_u32_e32 6, v124
	s_cbranch_execz .LBB91_107
; %bb.104:
	s_delay_alu instid0(VALU_DEP_2) | instskip(SKIP_3) | instid1(VALU_DEP_1)
	v_and_b32_e32 v122, -8, v123
	s_mov_b32 s6, 0
	s_mov_b64 s[2:3], 27
	s_movk_i32 s7, 0xc0
	v_sub_nc_u32_e32 v124, 0, v122
.LBB91_105:                             ; =>This Inner Loop Header: Depth=1
	s_add_co_i32 m0, s2, -7
	v_movrels_b32_e32 v127, v34
	v_mov_b32_e32 v122, s7
	s_add_co_i32 m0, s2, -6
	s_add_co_i32 s7, s7, 32
	v_movrels_b32_e32 v136, v34
	s_add_co_i32 m0, s2, -5
	ds_load_b128 v[128:131], v122
	ds_load_b128 v[132:135], v122 offset:16
	v_movrels_b32_e32 v122, v34
	s_add_co_i32 m0, s2, -4
	s_wait_dscnt 0x1
	v_fmac_f32_e32 v126, v127, v128
	v_movrels_b32_e32 v127, v34
	s_add_co_i32 m0, s2, -3
	s_delay_alu instid0(VALU_DEP_2) | instskip(NEXT) | instid1(VALU_DEP_1)
	v_fmac_f32_e32 v126, v136, v129
	v_fmac_f32_e32 v126, v122, v130
	v_movrels_b32_e32 v122, v34
	s_add_co_i32 m0, s2, -2
	s_delay_alu instid0(VALU_DEP_2) | instskip(SKIP_3) | instid1(VALU_DEP_2)
	v_fmac_f32_e32 v126, v127, v131
	v_movrels_b32_e32 v127, v34
	s_add_co_i32 m0, s2, -1
	s_wait_dscnt 0x0
	v_fmac_f32_e32 v126, v122, v132
	v_movrels_b32_e32 v122, v34
	s_mov_b32 m0, s2
	s_add_nc_u64 s[2:3], s[2:3], 8
	v_movrels_b32_e32 v128, v34
	v_dual_fmac_f32 v126, v127, v133 :: v_dual_add_nc_u32 v127, s2, v124
	s_add_co_i32 s8, s2, -7
	s_delay_alu instid0(VALU_DEP_1) | instskip(NEXT) | instid1(VALU_DEP_2)
	v_fmac_f32_e32 v126, v122, v134
	v_cmp_eq_u32_e32 vcc_lo, 27, v127
	s_delay_alu instid0(VALU_DEP_2) | instskip(SKIP_1) | instid1(SALU_CYCLE_1)
	v_dual_mov_b32 v122, s8 :: v_dual_fmac_f32 v126, v128, v135
	s_or_b32 s6, vcc_lo, s6
	s_and_not1_b32 exec_lo, exec_lo, s6
	s_cbranch_execnz .LBB91_105
; %bb.106:
	s_or_b32 exec_lo, exec_lo, s6
.LBB91_107:
	s_delay_alu instid0(SALU_CYCLE_1) | instskip(SKIP_3) | instid1(VALU_DEP_1)
	s_or_b32 exec_lo, exec_lo, s0
	v_and_b32_e32 v62, 7, v123
	s_mov_b32 s2, 0
	s_mov_b32 s0, exec_lo
	v_cmpx_ne_u32_e32 0, v62
	s_cbranch_execz .LBB91_111
; %bb.108:
	v_lshl_add_u32 v63, v122, 2, 0x70
	v_mov_b32_e32 v123, 0
.LBB91_109:                             ; =>This Inner Loop Header: Depth=1
	v_cmp_eq_u32_e32 vcc_lo, 1, v122
	ds_load_b32 v65, v63
	v_dual_add_nc_u32 v62, -1, v62 :: v_dual_add_nc_u32 v63, 4, v63
	v_cndmask_b32_e32 v64, v34, v35, vcc_lo
	v_cmp_eq_u32_e32 vcc_lo, 2, v122
	s_delay_alu instid0(VALU_DEP_2) | instskip(SKIP_1) | instid1(VALU_DEP_2)
	v_cndmask_b32_e32 v64, v64, v36, vcc_lo
	v_cmp_eq_u32_e32 vcc_lo, 3, v122
	v_cndmask_b32_e32 v64, v64, v37, vcc_lo
	v_cmp_eq_u32_e32 vcc_lo, 4, v122
	s_delay_alu instid0(VALU_DEP_2) | instskip(SKIP_1) | instid1(VALU_DEP_2)
	v_cndmask_b32_e32 v64, v64, v38, vcc_lo
	v_cmp_eq_u32_e32 vcc_lo, 5, v122
	;; [unrolled: 5-line block ×12, first 2 shown]
	v_cndmask_b32_e32 v64, v64, v59, vcc_lo
	v_cmp_eq_u32_e32 vcc_lo, 26, v122
	s_delay_alu instid0(VALU_DEP_2) | instskip(SKIP_2) | instid1(VALU_DEP_3)
	v_cndmask_b32_e32 v64, v64, v60, vcc_lo
	v_cmp_eq_u32_e32 vcc_lo, 27, v122
	v_add_nc_u64_e32 v[122:123], 1, v[122:123]
	v_cndmask_b32_e32 v64, v64, v61, vcc_lo
	v_cmp_eq_u32_e32 vcc_lo, 0, v62
	s_wait_dscnt 0x0
	s_delay_alu instid0(VALU_DEP_2) | instskip(SKIP_1) | instid1(SALU_CYCLE_1)
	v_fmac_f32_e32 v126, v64, v65
	s_or_b32 s2, vcc_lo, s2
	s_and_not1_b32 exec_lo, exec_lo, s2
	s_cbranch_execnz .LBB91_109
; %bb.110:
	s_or_b32 exec_lo, exec_lo, s2
.LBB91_111:
	s_delay_alu instid0(SALU_CYCLE_1)
	s_or_b32 exec_lo, exec_lo, s0
.LBB91_112:
	s_delay_alu instid0(SALU_CYCLE_1)
	s_or_b32 exec_lo, exec_lo, s5
	v_mov_b32_e32 v53, 0
	ds_load_b32 v53, v53 offset:76
	s_wait_dscnt 0x0
	v_mul_f32_e32 v53, v126, v53
.LBB91_113:
	s_or_b32 exec_lo, exec_lo, s4
	v_cmp_lt_u32_e64 s0, 18, v0
	ds_store_b32 v125, v52
	s_wait_dscnt 0x0
	s_barrier_signal -1
	s_barrier_wait -1
	s_and_saveexec_b32 s4, s0
	s_cbranch_execz .LBB91_129
; %bb.114:
	s_and_not1_b32 vcc_lo, exec_lo, s33
	s_cbranch_vccnz .LBB91_116
; %bb.115:
	v_cmp_eq_u32_e32 vcc_lo, 1, v0
	ds_load_b32 v123, v125
	v_cndmask_b32_e32 v122, v34, v35, vcc_lo
	v_cmp_eq_u32_e32 vcc_lo, 2, v0
	s_delay_alu instid0(VALU_DEP_2) | instskip(SKIP_1) | instid1(VALU_DEP_2)
	v_cndmask_b32_e32 v122, v122, v36, vcc_lo
	v_cmp_eq_u32_e32 vcc_lo, 3, v0
	v_cndmask_b32_e32 v122, v122, v37, vcc_lo
	v_cmp_eq_u32_e32 vcc_lo, 4, v0
	s_delay_alu instid0(VALU_DEP_2) | instskip(SKIP_1) | instid1(VALU_DEP_2)
	v_cndmask_b32_e32 v122, v122, v38, vcc_lo
	v_cmp_eq_u32_e32 vcc_lo, 5, v0
	;; [unrolled: 5-line block ×13, first 2 shown]
	v_cndmask_b32_e32 v122, v122, v61, vcc_lo
	s_wait_dscnt 0x0
	s_delay_alu instid0(VALU_DEP_1)
	v_mul_f32_e32 v126, v122, v123
	s_cbranch_execz .LBB91_117
	s_branch .LBB91_118
.LBB91_116:
                                        ; implicit-def: $vgpr126
.LBB91_117:
	ds_load_b32 v126, v125
.LBB91_118:
	s_and_saveexec_b32 s5, s1
	s_cbranch_execz .LBB91_128
; %bb.119:
	v_subrev_nc_u32_e32 v124, 20, v0
	v_mov_b32_e32 v122, 19
	v_subrev_nc_u32_e32 v123, 19, v0
	s_mov_b32 s1, exec_lo
	s_delay_alu instid0(VALU_DEP_3)
	v_cmpx_lt_u32_e32 6, v124
	s_cbranch_execz .LBB91_123
; %bb.120:
	s_delay_alu instid0(VALU_DEP_2) | instskip(SKIP_3) | instid1(VALU_DEP_1)
	v_and_b32_e32 v122, -8, v123
	s_mov_b32 s6, 0
	s_mov_b64 s[2:3], 26
	s_movk_i32 s7, 0xbc
	v_sub_nc_u32_e32 v124, 0, v122
.LBB91_121:                             ; =>This Inner Loop Header: Depth=1
	s_add_co_i32 m0, s2, -7
	v_movrels_b32_e32 v127, v34
	v_mov_b32_e32 v122, s7
	s_add_co_i32 m0, s2, -6
	s_add_co_i32 s7, s7, 32
	v_movrels_b32_e32 v136, v34
	ds_load_2addr_b32 v[128:129], v122 offset1:1
	ds_load_2addr_b32 v[130:131], v122 offset0:2 offset1:3
	s_add_co_i32 m0, s2, -5
	s_wait_dscnt 0x1
	v_fmac_f32_e32 v126, v127, v128
	ds_load_2addr_b32 v[132:133], v122 offset0:4 offset1:5
	ds_load_2addr_b32 v[134:135], v122 offset0:6 offset1:7
	v_movrels_b32_e32 v122, v34
	s_add_co_i32 m0, s2, -4
	v_fmac_f32_e32 v126, v136, v129
	v_movrels_b32_e32 v127, v34
	s_add_co_i32 m0, s2, -3
	s_wait_dscnt 0x2
	s_delay_alu instid0(VALU_DEP_2) | instskip(SKIP_2) | instid1(VALU_DEP_2)
	v_fmac_f32_e32 v126, v122, v130
	v_movrels_b32_e32 v122, v34
	s_add_co_i32 m0, s2, -2
	v_fmac_f32_e32 v126, v127, v131
	v_movrels_b32_e32 v127, v34
	s_add_co_i32 m0, s2, -1
	s_wait_dscnt 0x1
	s_delay_alu instid0(VALU_DEP_2)
	v_fmac_f32_e32 v126, v122, v132
	v_movrels_b32_e32 v122, v34
	s_mov_b32 m0, s2
	s_add_nc_u64 s[2:3], s[2:3], 8
	v_movrels_b32_e32 v128, v34
	v_dual_fmac_f32 v126, v127, v133 :: v_dual_add_nc_u32 v127, s2, v124
	s_add_co_i32 s8, s2, -7
	s_wait_dscnt 0x0
	s_delay_alu instid0(VALU_DEP_1) | instskip(NEXT) | instid1(VALU_DEP_2)
	v_fmac_f32_e32 v126, v122, v134
	v_cmp_eq_u32_e32 vcc_lo, 26, v127
	s_delay_alu instid0(VALU_DEP_2) | instskip(SKIP_1) | instid1(SALU_CYCLE_1)
	v_dual_mov_b32 v122, s8 :: v_dual_fmac_f32 v126, v128, v135
	s_or_b32 s6, vcc_lo, s6
	s_and_not1_b32 exec_lo, exec_lo, s6
	s_cbranch_execnz .LBB91_121
; %bb.122:
	s_or_b32 exec_lo, exec_lo, s6
.LBB91_123:
	s_delay_alu instid0(SALU_CYCLE_1) | instskip(SKIP_3) | instid1(VALU_DEP_1)
	s_or_b32 exec_lo, exec_lo, s1
	v_and_b32_e32 v62, 7, v123
	s_mov_b32 s2, 0
	s_mov_b32 s1, exec_lo
	v_cmpx_ne_u32_e32 0, v62
	s_cbranch_execz .LBB91_127
; %bb.124:
	v_lshl_add_u32 v63, v122, 2, 0x70
	v_mov_b32_e32 v123, 0
.LBB91_125:                             ; =>This Inner Loop Header: Depth=1
	v_cmp_eq_u32_e32 vcc_lo, 1, v122
	ds_load_b32 v65, v63
	v_dual_add_nc_u32 v62, -1, v62 :: v_dual_add_nc_u32 v63, 4, v63
	v_cndmask_b32_e32 v64, v34, v35, vcc_lo
	v_cmp_eq_u32_e32 vcc_lo, 2, v122
	s_delay_alu instid0(VALU_DEP_2) | instskip(SKIP_1) | instid1(VALU_DEP_2)
	v_cndmask_b32_e32 v64, v64, v36, vcc_lo
	v_cmp_eq_u32_e32 vcc_lo, 3, v122
	v_cndmask_b32_e32 v64, v64, v37, vcc_lo
	v_cmp_eq_u32_e32 vcc_lo, 4, v122
	s_delay_alu instid0(VALU_DEP_2) | instskip(SKIP_1) | instid1(VALU_DEP_2)
	v_cndmask_b32_e32 v64, v64, v38, vcc_lo
	v_cmp_eq_u32_e32 vcc_lo, 5, v122
	v_cndmask_b32_e32 v64, v64, v39, vcc_lo
	v_cmp_eq_u32_e32 vcc_lo, 6, v122
	s_delay_alu instid0(VALU_DEP_2) | instskip(SKIP_1) | instid1(VALU_DEP_2)
	v_cndmask_b32_e32 v64, v64, v40, vcc_lo
	v_cmp_eq_u32_e32 vcc_lo, 7, v122
	v_cndmask_b32_e32 v64, v64, v41, vcc_lo
	v_cmp_eq_u32_e32 vcc_lo, 8, v122
	s_delay_alu instid0(VALU_DEP_2) | instskip(SKIP_1) | instid1(VALU_DEP_2)
	v_cndmask_b32_e32 v64, v64, v42, vcc_lo
	v_cmp_eq_u32_e32 vcc_lo, 9, v122
	v_cndmask_b32_e32 v64, v64, v43, vcc_lo
	v_cmp_eq_u32_e32 vcc_lo, 10, v122
	s_delay_alu instid0(VALU_DEP_2) | instskip(SKIP_1) | instid1(VALU_DEP_2)
	v_cndmask_b32_e32 v64, v64, v44, vcc_lo
	v_cmp_eq_u32_e32 vcc_lo, 11, v122
	v_cndmask_b32_e32 v64, v64, v45, vcc_lo
	v_cmp_eq_u32_e32 vcc_lo, 12, v122
	s_delay_alu instid0(VALU_DEP_2) | instskip(SKIP_1) | instid1(VALU_DEP_2)
	v_cndmask_b32_e32 v64, v64, v46, vcc_lo
	v_cmp_eq_u32_e32 vcc_lo, 13, v122
	v_cndmask_b32_e32 v64, v64, v47, vcc_lo
	v_cmp_eq_u32_e32 vcc_lo, 14, v122
	s_delay_alu instid0(VALU_DEP_2) | instskip(SKIP_1) | instid1(VALU_DEP_2)
	v_cndmask_b32_e32 v64, v64, v48, vcc_lo
	v_cmp_eq_u32_e32 vcc_lo, 15, v122
	v_cndmask_b32_e32 v64, v64, v49, vcc_lo
	v_cmp_eq_u32_e32 vcc_lo, 16, v122
	s_delay_alu instid0(VALU_DEP_2) | instskip(SKIP_1) | instid1(VALU_DEP_2)
	v_cndmask_b32_e32 v64, v64, v50, vcc_lo
	v_cmp_eq_u32_e32 vcc_lo, 17, v122
	v_cndmask_b32_e32 v64, v64, v51, vcc_lo
	v_cmp_eq_u32_e32 vcc_lo, 18, v122
	s_delay_alu instid0(VALU_DEP_2) | instskip(SKIP_1) | instid1(VALU_DEP_2)
	v_cndmask_b32_e32 v64, v64, v52, vcc_lo
	v_cmp_eq_u32_e32 vcc_lo, 19, v122
	v_cndmask_b32_e32 v64, v64, v53, vcc_lo
	v_cmp_eq_u32_e32 vcc_lo, 20, v122
	s_delay_alu instid0(VALU_DEP_2) | instskip(SKIP_1) | instid1(VALU_DEP_2)
	v_cndmask_b32_e32 v64, v64, v54, vcc_lo
	v_cmp_eq_u32_e32 vcc_lo, 21, v122
	v_cndmask_b32_e32 v64, v64, v55, vcc_lo
	v_cmp_eq_u32_e32 vcc_lo, 22, v122
	s_delay_alu instid0(VALU_DEP_2) | instskip(SKIP_1) | instid1(VALU_DEP_2)
	v_cndmask_b32_e32 v64, v64, v56, vcc_lo
	v_cmp_eq_u32_e32 vcc_lo, 23, v122
	v_cndmask_b32_e32 v64, v64, v57, vcc_lo
	v_cmp_eq_u32_e32 vcc_lo, 24, v122
	s_delay_alu instid0(VALU_DEP_2) | instskip(SKIP_1) | instid1(VALU_DEP_2)
	v_cndmask_b32_e32 v64, v64, v58, vcc_lo
	v_cmp_eq_u32_e32 vcc_lo, 25, v122
	v_cndmask_b32_e32 v64, v64, v59, vcc_lo
	v_cmp_eq_u32_e32 vcc_lo, 26, v122
	s_delay_alu instid0(VALU_DEP_2) | instskip(SKIP_2) | instid1(VALU_DEP_3)
	v_cndmask_b32_e32 v64, v64, v60, vcc_lo
	v_cmp_eq_u32_e32 vcc_lo, 27, v122
	v_add_nc_u64_e32 v[122:123], 1, v[122:123]
	v_cndmask_b32_e32 v64, v64, v61, vcc_lo
	v_cmp_eq_u32_e32 vcc_lo, 0, v62
	s_wait_dscnt 0x0
	s_delay_alu instid0(VALU_DEP_2) | instskip(SKIP_1) | instid1(SALU_CYCLE_1)
	v_fmac_f32_e32 v126, v64, v65
	s_or_b32 s2, vcc_lo, s2
	s_and_not1_b32 exec_lo, exec_lo, s2
	s_cbranch_execnz .LBB91_125
; %bb.126:
	s_or_b32 exec_lo, exec_lo, s2
.LBB91_127:
	s_delay_alu instid0(SALU_CYCLE_1)
	s_or_b32 exec_lo, exec_lo, s1
.LBB91_128:
	s_delay_alu instid0(SALU_CYCLE_1)
	s_or_b32 exec_lo, exec_lo, s5
	v_mov_b32_e32 v52, 0
	ds_load_b32 v52, v52 offset:72
	s_wait_dscnt 0x0
	v_mul_f32_e32 v52, v126, v52
.LBB91_129:
	s_or_b32 exec_lo, exec_lo, s4
	v_cmp_lt_u32_e64 s1, 17, v0
	ds_store_b32 v125, v51
	s_wait_dscnt 0x0
	s_barrier_signal -1
	s_barrier_wait -1
	s_and_saveexec_b32 s4, s1
	s_cbranch_execz .LBB91_145
; %bb.130:
	s_and_not1_b32 vcc_lo, exec_lo, s33
	s_cbranch_vccnz .LBB91_132
; %bb.131:
	v_cmp_eq_u32_e32 vcc_lo, 1, v0
	ds_load_b32 v123, v125
	v_cndmask_b32_e32 v122, v34, v35, vcc_lo
	v_cmp_eq_u32_e32 vcc_lo, 2, v0
	s_delay_alu instid0(VALU_DEP_2) | instskip(SKIP_1) | instid1(VALU_DEP_2)
	v_cndmask_b32_e32 v122, v122, v36, vcc_lo
	v_cmp_eq_u32_e32 vcc_lo, 3, v0
	v_cndmask_b32_e32 v122, v122, v37, vcc_lo
	v_cmp_eq_u32_e32 vcc_lo, 4, v0
	s_delay_alu instid0(VALU_DEP_2) | instskip(SKIP_1) | instid1(VALU_DEP_2)
	v_cndmask_b32_e32 v122, v122, v38, vcc_lo
	v_cmp_eq_u32_e32 vcc_lo, 5, v0
	v_cndmask_b32_e32 v122, v122, v39, vcc_lo
	v_cmp_eq_u32_e32 vcc_lo, 6, v0
	s_delay_alu instid0(VALU_DEP_2) | instskip(SKIP_1) | instid1(VALU_DEP_2)
	v_cndmask_b32_e32 v122, v122, v40, vcc_lo
	v_cmp_eq_u32_e32 vcc_lo, 7, v0
	v_cndmask_b32_e32 v122, v122, v41, vcc_lo
	v_cmp_eq_u32_e32 vcc_lo, 8, v0
	s_delay_alu instid0(VALU_DEP_2) | instskip(SKIP_1) | instid1(VALU_DEP_2)
	v_cndmask_b32_e32 v122, v122, v42, vcc_lo
	v_cmp_eq_u32_e32 vcc_lo, 9, v0
	v_cndmask_b32_e32 v122, v122, v43, vcc_lo
	v_cmp_eq_u32_e32 vcc_lo, 10, v0
	s_delay_alu instid0(VALU_DEP_2) | instskip(SKIP_1) | instid1(VALU_DEP_2)
	v_cndmask_b32_e32 v122, v122, v44, vcc_lo
	v_cmp_eq_u32_e32 vcc_lo, 11, v0
	v_cndmask_b32_e32 v122, v122, v45, vcc_lo
	v_cmp_eq_u32_e32 vcc_lo, 12, v0
	s_delay_alu instid0(VALU_DEP_2) | instskip(SKIP_1) | instid1(VALU_DEP_2)
	v_cndmask_b32_e32 v122, v122, v46, vcc_lo
	v_cmp_eq_u32_e32 vcc_lo, 13, v0
	v_cndmask_b32_e32 v122, v122, v47, vcc_lo
	v_cmp_eq_u32_e32 vcc_lo, 14, v0
	s_delay_alu instid0(VALU_DEP_2) | instskip(SKIP_1) | instid1(VALU_DEP_2)
	v_cndmask_b32_e32 v122, v122, v48, vcc_lo
	v_cmp_eq_u32_e32 vcc_lo, 15, v0
	v_cndmask_b32_e32 v122, v122, v49, vcc_lo
	v_cmp_eq_u32_e32 vcc_lo, 16, v0
	s_delay_alu instid0(VALU_DEP_2) | instskip(SKIP_1) | instid1(VALU_DEP_2)
	v_cndmask_b32_e32 v122, v122, v50, vcc_lo
	v_cmp_eq_u32_e32 vcc_lo, 17, v0
	v_cndmask_b32_e32 v122, v122, v51, vcc_lo
	v_cmp_eq_u32_e32 vcc_lo, 18, v0
	s_delay_alu instid0(VALU_DEP_2) | instskip(SKIP_1) | instid1(VALU_DEP_2)
	v_cndmask_b32_e32 v122, v122, v52, vcc_lo
	v_cmp_eq_u32_e32 vcc_lo, 19, v0
	v_cndmask_b32_e32 v122, v122, v53, vcc_lo
	v_cmp_eq_u32_e32 vcc_lo, 20, v0
	s_delay_alu instid0(VALU_DEP_2) | instskip(SKIP_1) | instid1(VALU_DEP_2)
	v_cndmask_b32_e32 v122, v122, v54, vcc_lo
	v_cmp_eq_u32_e32 vcc_lo, 21, v0
	v_cndmask_b32_e32 v122, v122, v55, vcc_lo
	v_cmp_eq_u32_e32 vcc_lo, 22, v0
	s_delay_alu instid0(VALU_DEP_2) | instskip(SKIP_1) | instid1(VALU_DEP_2)
	v_cndmask_b32_e32 v122, v122, v56, vcc_lo
	v_cmp_eq_u32_e32 vcc_lo, 23, v0
	v_cndmask_b32_e32 v122, v122, v57, vcc_lo
	v_cmp_eq_u32_e32 vcc_lo, 24, v0
	s_delay_alu instid0(VALU_DEP_2) | instskip(SKIP_1) | instid1(VALU_DEP_2)
	v_cndmask_b32_e32 v122, v122, v58, vcc_lo
	v_cmp_eq_u32_e32 vcc_lo, 25, v0
	v_cndmask_b32_e32 v122, v122, v59, vcc_lo
	v_cmp_eq_u32_e32 vcc_lo, 26, v0
	s_delay_alu instid0(VALU_DEP_2) | instskip(SKIP_1) | instid1(VALU_DEP_2)
	v_cndmask_b32_e32 v122, v122, v60, vcc_lo
	v_cmp_eq_u32_e32 vcc_lo, 27, v0
	v_cndmask_b32_e32 v122, v122, v61, vcc_lo
	s_wait_dscnt 0x0
	s_delay_alu instid0(VALU_DEP_1)
	v_mul_f32_e32 v126, v122, v123
	s_cbranch_execz .LBB91_133
	s_branch .LBB91_134
.LBB91_132:
                                        ; implicit-def: $vgpr126
.LBB91_133:
	ds_load_b32 v126, v125
.LBB91_134:
	s_and_saveexec_b32 s5, s0
	s_cbranch_execz .LBB91_144
; %bb.135:
	v_subrev_nc_u32_e32 v124, 19, v0
	v_mov_b32_e32 v122, 18
	v_subrev_nc_u32_e32 v123, 18, v0
	s_mov_b32 s0, exec_lo
	s_delay_alu instid0(VALU_DEP_3)
	v_cmpx_lt_u32_e32 6, v124
	s_cbranch_execz .LBB91_139
; %bb.136:
	s_delay_alu instid0(VALU_DEP_2) | instskip(SKIP_3) | instid1(VALU_DEP_1)
	v_and_b32_e32 v122, -8, v123
	s_mov_b32 s6, 0
	s_mov_b64 s[2:3], 25
	s_movk_i32 s7, 0xb8
	v_sub_nc_u32_e32 v124, 0, v122
.LBB91_137:                             ; =>This Inner Loop Header: Depth=1
	s_add_co_i32 m0, s2, -7
	v_movrels_b32_e32 v127, v34
	v_mov_b32_e32 v122, s7
	s_add_co_i32 m0, s2, -6
	s_add_co_i32 s7, s7, 32
	v_movrels_b32_e32 v136, v34
	s_add_co_i32 m0, s2, -5
	ds_load_2addr_b64 v[128:131], v122 offset1:1
	ds_load_2addr_b64 v[132:135], v122 offset0:2 offset1:3
	v_movrels_b32_e32 v122, v34
	s_add_co_i32 m0, s2, -4
	s_wait_dscnt 0x1
	v_fmac_f32_e32 v126, v127, v128
	v_movrels_b32_e32 v127, v34
	s_add_co_i32 m0, s2, -3
	s_delay_alu instid0(VALU_DEP_2) | instskip(NEXT) | instid1(VALU_DEP_1)
	v_fmac_f32_e32 v126, v136, v129
	v_fmac_f32_e32 v126, v122, v130
	v_movrels_b32_e32 v122, v34
	s_add_co_i32 m0, s2, -2
	s_delay_alu instid0(VALU_DEP_2) | instskip(SKIP_3) | instid1(VALU_DEP_2)
	v_fmac_f32_e32 v126, v127, v131
	v_movrels_b32_e32 v127, v34
	s_add_co_i32 m0, s2, -1
	s_wait_dscnt 0x0
	v_fmac_f32_e32 v126, v122, v132
	v_movrels_b32_e32 v122, v34
	s_mov_b32 m0, s2
	s_add_nc_u64 s[2:3], s[2:3], 8
	v_movrels_b32_e32 v128, v34
	v_dual_fmac_f32 v126, v127, v133 :: v_dual_add_nc_u32 v127, s2, v124
	s_add_co_i32 s8, s2, -7
	s_delay_alu instid0(VALU_DEP_1) | instskip(NEXT) | instid1(VALU_DEP_2)
	v_fmac_f32_e32 v126, v122, v134
	v_cmp_eq_u32_e32 vcc_lo, 25, v127
	s_delay_alu instid0(VALU_DEP_2) | instskip(SKIP_1) | instid1(SALU_CYCLE_1)
	v_dual_mov_b32 v122, s8 :: v_dual_fmac_f32 v126, v128, v135
	s_or_b32 s6, vcc_lo, s6
	s_and_not1_b32 exec_lo, exec_lo, s6
	s_cbranch_execnz .LBB91_137
; %bb.138:
	s_or_b32 exec_lo, exec_lo, s6
.LBB91_139:
	s_delay_alu instid0(SALU_CYCLE_1) | instskip(SKIP_3) | instid1(VALU_DEP_1)
	s_or_b32 exec_lo, exec_lo, s0
	v_and_b32_e32 v62, 7, v123
	s_mov_b32 s2, 0
	s_mov_b32 s0, exec_lo
	v_cmpx_ne_u32_e32 0, v62
	s_cbranch_execz .LBB91_143
; %bb.140:
	v_lshl_add_u32 v63, v122, 2, 0x70
	v_mov_b32_e32 v123, 0
.LBB91_141:                             ; =>This Inner Loop Header: Depth=1
	v_cmp_eq_u32_e32 vcc_lo, 1, v122
	ds_load_b32 v65, v63
	v_dual_add_nc_u32 v62, -1, v62 :: v_dual_add_nc_u32 v63, 4, v63
	v_cndmask_b32_e32 v64, v34, v35, vcc_lo
	v_cmp_eq_u32_e32 vcc_lo, 2, v122
	s_delay_alu instid0(VALU_DEP_2) | instskip(SKIP_1) | instid1(VALU_DEP_2)
	v_cndmask_b32_e32 v64, v64, v36, vcc_lo
	v_cmp_eq_u32_e32 vcc_lo, 3, v122
	v_cndmask_b32_e32 v64, v64, v37, vcc_lo
	v_cmp_eq_u32_e32 vcc_lo, 4, v122
	s_delay_alu instid0(VALU_DEP_2) | instskip(SKIP_1) | instid1(VALU_DEP_2)
	v_cndmask_b32_e32 v64, v64, v38, vcc_lo
	v_cmp_eq_u32_e32 vcc_lo, 5, v122
	;; [unrolled: 5-line block ×12, first 2 shown]
	v_cndmask_b32_e32 v64, v64, v59, vcc_lo
	v_cmp_eq_u32_e32 vcc_lo, 26, v122
	s_delay_alu instid0(VALU_DEP_2) | instskip(SKIP_2) | instid1(VALU_DEP_3)
	v_cndmask_b32_e32 v64, v64, v60, vcc_lo
	v_cmp_eq_u32_e32 vcc_lo, 27, v122
	v_add_nc_u64_e32 v[122:123], 1, v[122:123]
	v_cndmask_b32_e32 v64, v64, v61, vcc_lo
	v_cmp_eq_u32_e32 vcc_lo, 0, v62
	s_wait_dscnt 0x0
	s_delay_alu instid0(VALU_DEP_2) | instskip(SKIP_1) | instid1(SALU_CYCLE_1)
	v_fmac_f32_e32 v126, v64, v65
	s_or_b32 s2, vcc_lo, s2
	s_and_not1_b32 exec_lo, exec_lo, s2
	s_cbranch_execnz .LBB91_141
; %bb.142:
	s_or_b32 exec_lo, exec_lo, s2
.LBB91_143:
	s_delay_alu instid0(SALU_CYCLE_1)
	s_or_b32 exec_lo, exec_lo, s0
.LBB91_144:
	s_delay_alu instid0(SALU_CYCLE_1)
	s_or_b32 exec_lo, exec_lo, s5
	v_mov_b32_e32 v51, 0
	ds_load_b32 v51, v51 offset:68
	s_wait_dscnt 0x0
	v_mul_f32_e32 v51, v126, v51
.LBB91_145:
	s_or_b32 exec_lo, exec_lo, s4
	v_cmp_lt_u32_e64 s0, 16, v0
	ds_store_b32 v125, v50
	s_wait_dscnt 0x0
	s_barrier_signal -1
	s_barrier_wait -1
	s_and_saveexec_b32 s4, s0
	s_cbranch_execz .LBB91_161
; %bb.146:
	s_and_not1_b32 vcc_lo, exec_lo, s33
	s_cbranch_vccnz .LBB91_148
; %bb.147:
	v_cmp_eq_u32_e32 vcc_lo, 1, v0
	ds_load_b32 v123, v125
	v_cndmask_b32_e32 v122, v34, v35, vcc_lo
	v_cmp_eq_u32_e32 vcc_lo, 2, v0
	s_delay_alu instid0(VALU_DEP_2) | instskip(SKIP_1) | instid1(VALU_DEP_2)
	v_cndmask_b32_e32 v122, v122, v36, vcc_lo
	v_cmp_eq_u32_e32 vcc_lo, 3, v0
	v_cndmask_b32_e32 v122, v122, v37, vcc_lo
	v_cmp_eq_u32_e32 vcc_lo, 4, v0
	s_delay_alu instid0(VALU_DEP_2) | instskip(SKIP_1) | instid1(VALU_DEP_2)
	v_cndmask_b32_e32 v122, v122, v38, vcc_lo
	v_cmp_eq_u32_e32 vcc_lo, 5, v0
	;; [unrolled: 5-line block ×13, first 2 shown]
	v_cndmask_b32_e32 v122, v122, v61, vcc_lo
	s_wait_dscnt 0x0
	s_delay_alu instid0(VALU_DEP_1)
	v_mul_f32_e32 v126, v122, v123
	s_cbranch_execz .LBB91_149
	s_branch .LBB91_150
.LBB91_148:
                                        ; implicit-def: $vgpr126
.LBB91_149:
	ds_load_b32 v126, v125
.LBB91_150:
	s_and_saveexec_b32 s5, s1
	s_cbranch_execz .LBB91_160
; %bb.151:
	v_subrev_nc_u32_e32 v124, 18, v0
	v_mov_b32_e32 v122, 17
	v_subrev_nc_u32_e32 v123, 17, v0
	s_mov_b32 s1, exec_lo
	s_delay_alu instid0(VALU_DEP_3)
	v_cmpx_lt_u32_e32 6, v124
	s_cbranch_execz .LBB91_155
; %bb.152:
	s_delay_alu instid0(VALU_DEP_2) | instskip(SKIP_3) | instid1(VALU_DEP_1)
	v_and_b32_e32 v122, -8, v123
	s_mov_b32 s6, 0
	s_mov_b64 s[2:3], 24
	s_movk_i32 s7, 0xb4
	v_sub_nc_u32_e32 v124, 0, v122
.LBB91_153:                             ; =>This Inner Loop Header: Depth=1
	s_add_co_i32 m0, s2, -7
	v_movrels_b32_e32 v127, v34
	v_mov_b32_e32 v122, s7
	s_add_co_i32 m0, s2, -6
	s_add_co_i32 s7, s7, 32
	v_movrels_b32_e32 v136, v34
	ds_load_2addr_b32 v[128:129], v122 offset1:1
	ds_load_2addr_b32 v[130:131], v122 offset0:2 offset1:3
	s_add_co_i32 m0, s2, -5
	s_wait_dscnt 0x1
	v_fmac_f32_e32 v126, v127, v128
	ds_load_2addr_b32 v[132:133], v122 offset0:4 offset1:5
	ds_load_2addr_b32 v[134:135], v122 offset0:6 offset1:7
	v_movrels_b32_e32 v122, v34
	s_add_co_i32 m0, s2, -4
	v_fmac_f32_e32 v126, v136, v129
	v_movrels_b32_e32 v127, v34
	s_add_co_i32 m0, s2, -3
	s_wait_dscnt 0x2
	s_delay_alu instid0(VALU_DEP_2) | instskip(SKIP_2) | instid1(VALU_DEP_2)
	v_fmac_f32_e32 v126, v122, v130
	v_movrels_b32_e32 v122, v34
	s_add_co_i32 m0, s2, -2
	v_fmac_f32_e32 v126, v127, v131
	v_movrels_b32_e32 v127, v34
	s_add_co_i32 m0, s2, -1
	s_wait_dscnt 0x1
	s_delay_alu instid0(VALU_DEP_2)
	v_fmac_f32_e32 v126, v122, v132
	v_movrels_b32_e32 v122, v34
	s_mov_b32 m0, s2
	s_add_nc_u64 s[2:3], s[2:3], 8
	v_movrels_b32_e32 v128, v34
	v_dual_fmac_f32 v126, v127, v133 :: v_dual_add_nc_u32 v127, s2, v124
	s_add_co_i32 s8, s2, -7
	s_wait_dscnt 0x0
	s_delay_alu instid0(VALU_DEP_1) | instskip(NEXT) | instid1(VALU_DEP_2)
	v_fmac_f32_e32 v126, v122, v134
	v_cmp_eq_u32_e32 vcc_lo, 24, v127
	s_delay_alu instid0(VALU_DEP_2) | instskip(SKIP_1) | instid1(SALU_CYCLE_1)
	v_dual_mov_b32 v122, s8 :: v_dual_fmac_f32 v126, v128, v135
	s_or_b32 s6, vcc_lo, s6
	s_and_not1_b32 exec_lo, exec_lo, s6
	s_cbranch_execnz .LBB91_153
; %bb.154:
	s_or_b32 exec_lo, exec_lo, s6
.LBB91_155:
	s_delay_alu instid0(SALU_CYCLE_1) | instskip(SKIP_3) | instid1(VALU_DEP_1)
	s_or_b32 exec_lo, exec_lo, s1
	v_and_b32_e32 v62, 7, v123
	s_mov_b32 s2, 0
	s_mov_b32 s1, exec_lo
	v_cmpx_ne_u32_e32 0, v62
	s_cbranch_execz .LBB91_159
; %bb.156:
	v_lshl_add_u32 v63, v122, 2, 0x70
	v_mov_b32_e32 v123, 0
.LBB91_157:                             ; =>This Inner Loop Header: Depth=1
	v_cmp_eq_u32_e32 vcc_lo, 1, v122
	ds_load_b32 v65, v63
	v_dual_add_nc_u32 v62, -1, v62 :: v_dual_add_nc_u32 v63, 4, v63
	v_cndmask_b32_e32 v64, v34, v35, vcc_lo
	v_cmp_eq_u32_e32 vcc_lo, 2, v122
	s_delay_alu instid0(VALU_DEP_2) | instskip(SKIP_1) | instid1(VALU_DEP_2)
	v_cndmask_b32_e32 v64, v64, v36, vcc_lo
	v_cmp_eq_u32_e32 vcc_lo, 3, v122
	v_cndmask_b32_e32 v64, v64, v37, vcc_lo
	v_cmp_eq_u32_e32 vcc_lo, 4, v122
	s_delay_alu instid0(VALU_DEP_2) | instskip(SKIP_1) | instid1(VALU_DEP_2)
	v_cndmask_b32_e32 v64, v64, v38, vcc_lo
	v_cmp_eq_u32_e32 vcc_lo, 5, v122
	;; [unrolled: 5-line block ×12, first 2 shown]
	v_cndmask_b32_e32 v64, v64, v59, vcc_lo
	v_cmp_eq_u32_e32 vcc_lo, 26, v122
	s_delay_alu instid0(VALU_DEP_2) | instskip(SKIP_2) | instid1(VALU_DEP_3)
	v_cndmask_b32_e32 v64, v64, v60, vcc_lo
	v_cmp_eq_u32_e32 vcc_lo, 27, v122
	v_add_nc_u64_e32 v[122:123], 1, v[122:123]
	v_cndmask_b32_e32 v64, v64, v61, vcc_lo
	v_cmp_eq_u32_e32 vcc_lo, 0, v62
	s_wait_dscnt 0x0
	s_delay_alu instid0(VALU_DEP_2) | instskip(SKIP_1) | instid1(SALU_CYCLE_1)
	v_fmac_f32_e32 v126, v64, v65
	s_or_b32 s2, vcc_lo, s2
	s_and_not1_b32 exec_lo, exec_lo, s2
	s_cbranch_execnz .LBB91_157
; %bb.158:
	s_or_b32 exec_lo, exec_lo, s2
.LBB91_159:
	s_delay_alu instid0(SALU_CYCLE_1)
	s_or_b32 exec_lo, exec_lo, s1
.LBB91_160:
	s_delay_alu instid0(SALU_CYCLE_1)
	s_or_b32 exec_lo, exec_lo, s5
	v_mov_b32_e32 v50, 0
	ds_load_b32 v50, v50 offset:64
	s_wait_dscnt 0x0
	v_mul_f32_e32 v50, v126, v50
.LBB91_161:
	s_or_b32 exec_lo, exec_lo, s4
	v_cmp_lt_u32_e64 s1, 15, v0
	ds_store_b32 v125, v49
	s_wait_dscnt 0x0
	s_barrier_signal -1
	s_barrier_wait -1
	s_and_saveexec_b32 s4, s1
	s_cbranch_execz .LBB91_177
; %bb.162:
	s_and_not1_b32 vcc_lo, exec_lo, s33
	s_cbranch_vccnz .LBB91_164
; %bb.163:
	v_cmp_eq_u32_e32 vcc_lo, 1, v0
	ds_load_b32 v123, v125
	v_cndmask_b32_e32 v122, v34, v35, vcc_lo
	v_cmp_eq_u32_e32 vcc_lo, 2, v0
	s_delay_alu instid0(VALU_DEP_2) | instskip(SKIP_1) | instid1(VALU_DEP_2)
	v_cndmask_b32_e32 v122, v122, v36, vcc_lo
	v_cmp_eq_u32_e32 vcc_lo, 3, v0
	v_cndmask_b32_e32 v122, v122, v37, vcc_lo
	v_cmp_eq_u32_e32 vcc_lo, 4, v0
	s_delay_alu instid0(VALU_DEP_2) | instskip(SKIP_1) | instid1(VALU_DEP_2)
	v_cndmask_b32_e32 v122, v122, v38, vcc_lo
	v_cmp_eq_u32_e32 vcc_lo, 5, v0
	;; [unrolled: 5-line block ×13, first 2 shown]
	v_cndmask_b32_e32 v122, v122, v61, vcc_lo
	s_wait_dscnt 0x0
	s_delay_alu instid0(VALU_DEP_1)
	v_mul_f32_e32 v126, v122, v123
	s_cbranch_execz .LBB91_165
	s_branch .LBB91_166
.LBB91_164:
                                        ; implicit-def: $vgpr126
.LBB91_165:
	ds_load_b32 v126, v125
.LBB91_166:
	s_and_saveexec_b32 s5, s0
	s_cbranch_execz .LBB91_176
; %bb.167:
	v_subrev_nc_u32_e32 v122, 17, v0
	s_delay_alu instid0(VALU_DEP_1)
	v_cmp_lt_u32_e32 vcc_lo, 6, v122
	v_mov_b32_e32 v122, 16
	s_and_saveexec_b32 s0, vcc_lo
	s_cbranch_execz .LBB91_171
; %bb.168:
	v_and_b32_e32 v122, 24, v0
	s_mov_b32 s6, 0
	s_mov_b64 s[2:3], 23
	s_movk_i32 s7, 0xb0
	s_delay_alu instid0(VALU_DEP_1)
	v_sub_nc_u32_e32 v124, 0, v122
.LBB91_169:                             ; =>This Inner Loop Header: Depth=1
	s_add_co_i32 m0, s2, -7
	v_movrels_b32_e32 v123, v34
	v_mov_b32_e32 v122, s7
	s_add_co_i32 m0, s2, -6
	s_add_co_i32 s7, s7, 32
	v_movrels_b32_e32 v127, v34
	s_add_co_i32 m0, s2, -5
	ds_load_b128 v[128:131], v122
	ds_load_b128 v[132:135], v122 offset:16
	v_movrels_b32_e32 v122, v34
	s_add_co_i32 m0, s2, -4
	s_wait_dscnt 0x1
	v_fmac_f32_e32 v126, v123, v128
	v_movrels_b32_e32 v123, v34
	s_add_co_i32 m0, s2, -3
	s_delay_alu instid0(VALU_DEP_2) | instskip(NEXT) | instid1(VALU_DEP_1)
	v_fmac_f32_e32 v126, v127, v129
	v_fmac_f32_e32 v126, v122, v130
	v_movrels_b32_e32 v122, v34
	s_add_co_i32 m0, s2, -2
	s_delay_alu instid0(VALU_DEP_2) | instskip(SKIP_3) | instid1(VALU_DEP_2)
	v_fmac_f32_e32 v126, v123, v131
	v_movrels_b32_e32 v123, v34
	s_add_co_i32 m0, s2, -1
	s_wait_dscnt 0x0
	v_fmac_f32_e32 v126, v122, v132
	v_movrels_b32_e32 v122, v34
	s_mov_b32 m0, s2
	s_add_nc_u64 s[2:3], s[2:3], 8
	v_movrels_b32_e32 v127, v34
	v_dual_fmac_f32 v126, v123, v133 :: v_dual_add_nc_u32 v123, s2, v124
	s_add_co_i32 s8, s2, -7
	s_delay_alu instid0(VALU_DEP_1) | instskip(NEXT) | instid1(VALU_DEP_2)
	v_fmac_f32_e32 v126, v122, v134
	v_cmp_eq_u32_e32 vcc_lo, 7, v123
	s_delay_alu instid0(VALU_DEP_2) | instskip(SKIP_1) | instid1(SALU_CYCLE_1)
	v_dual_mov_b32 v122, s8 :: v_dual_fmac_f32 v126, v127, v135
	s_or_b32 s6, vcc_lo, s6
	s_and_not1_b32 exec_lo, exec_lo, s6
	s_cbranch_execnz .LBB91_169
; %bb.170:
	s_or_b32 exec_lo, exec_lo, s6
.LBB91_171:
	s_delay_alu instid0(SALU_CYCLE_1) | instskip(SKIP_3) | instid1(VALU_DEP_1)
	s_or_b32 exec_lo, exec_lo, s0
	v_and_b32_e32 v62, 7, v0
	s_mov_b32 s2, 0
	s_mov_b32 s0, exec_lo
	v_cmpx_ne_u32_e32 0, v62
	s_cbranch_execz .LBB91_175
; %bb.172:
	v_lshl_add_u32 v63, v122, 2, 0x70
	v_mov_b32_e32 v123, 0
.LBB91_173:                             ; =>This Inner Loop Header: Depth=1
	v_cmp_eq_u32_e32 vcc_lo, 1, v122
	ds_load_b32 v65, v63
	v_dual_add_nc_u32 v62, -1, v62 :: v_dual_add_nc_u32 v63, 4, v63
	v_cndmask_b32_e32 v64, v34, v35, vcc_lo
	v_cmp_eq_u32_e32 vcc_lo, 2, v122
	s_delay_alu instid0(VALU_DEP_2) | instskip(SKIP_1) | instid1(VALU_DEP_2)
	v_cndmask_b32_e32 v64, v64, v36, vcc_lo
	v_cmp_eq_u32_e32 vcc_lo, 3, v122
	v_cndmask_b32_e32 v64, v64, v37, vcc_lo
	v_cmp_eq_u32_e32 vcc_lo, 4, v122
	s_delay_alu instid0(VALU_DEP_2) | instskip(SKIP_1) | instid1(VALU_DEP_2)
	v_cndmask_b32_e32 v64, v64, v38, vcc_lo
	v_cmp_eq_u32_e32 vcc_lo, 5, v122
	;; [unrolled: 5-line block ×12, first 2 shown]
	v_cndmask_b32_e32 v64, v64, v59, vcc_lo
	v_cmp_eq_u32_e32 vcc_lo, 26, v122
	s_delay_alu instid0(VALU_DEP_2) | instskip(SKIP_2) | instid1(VALU_DEP_3)
	v_cndmask_b32_e32 v64, v64, v60, vcc_lo
	v_cmp_eq_u32_e32 vcc_lo, 27, v122
	v_add_nc_u64_e32 v[122:123], 1, v[122:123]
	v_cndmask_b32_e32 v64, v64, v61, vcc_lo
	v_cmp_eq_u32_e32 vcc_lo, 0, v62
	s_wait_dscnt 0x0
	s_delay_alu instid0(VALU_DEP_2) | instskip(SKIP_1) | instid1(SALU_CYCLE_1)
	v_fmac_f32_e32 v126, v64, v65
	s_or_b32 s2, vcc_lo, s2
	s_and_not1_b32 exec_lo, exec_lo, s2
	s_cbranch_execnz .LBB91_173
; %bb.174:
	s_or_b32 exec_lo, exec_lo, s2
.LBB91_175:
	s_delay_alu instid0(SALU_CYCLE_1)
	s_or_b32 exec_lo, exec_lo, s0
.LBB91_176:
	s_delay_alu instid0(SALU_CYCLE_1)
	s_or_b32 exec_lo, exec_lo, s5
	v_mov_b32_e32 v49, 0
	ds_load_b32 v49, v49 offset:60
	s_wait_dscnt 0x0
	v_mul_f32_e32 v49, v126, v49
.LBB91_177:
	s_or_b32 exec_lo, exec_lo, s4
	v_cmp_lt_u32_e64 s0, 14, v0
	ds_store_b32 v125, v48
	s_wait_dscnt 0x0
	s_barrier_signal -1
	s_barrier_wait -1
	s_and_saveexec_b32 s4, s0
	s_cbranch_execz .LBB91_193
; %bb.178:
	s_and_not1_b32 vcc_lo, exec_lo, s33
	s_cbranch_vccnz .LBB91_180
; %bb.179:
	v_cmp_eq_u32_e32 vcc_lo, 1, v0
	ds_load_b32 v123, v125
	v_cndmask_b32_e32 v122, v34, v35, vcc_lo
	v_cmp_eq_u32_e32 vcc_lo, 2, v0
	s_delay_alu instid0(VALU_DEP_2) | instskip(SKIP_1) | instid1(VALU_DEP_2)
	v_cndmask_b32_e32 v122, v122, v36, vcc_lo
	v_cmp_eq_u32_e32 vcc_lo, 3, v0
	v_cndmask_b32_e32 v122, v122, v37, vcc_lo
	v_cmp_eq_u32_e32 vcc_lo, 4, v0
	s_delay_alu instid0(VALU_DEP_2) | instskip(SKIP_1) | instid1(VALU_DEP_2)
	v_cndmask_b32_e32 v122, v122, v38, vcc_lo
	v_cmp_eq_u32_e32 vcc_lo, 5, v0
	;; [unrolled: 5-line block ×13, first 2 shown]
	v_cndmask_b32_e32 v122, v122, v61, vcc_lo
	s_wait_dscnt 0x0
	s_delay_alu instid0(VALU_DEP_1)
	v_mul_f32_e32 v126, v122, v123
	s_cbranch_execz .LBB91_181
	s_branch .LBB91_182
.LBB91_180:
                                        ; implicit-def: $vgpr126
.LBB91_181:
	ds_load_b32 v126, v125
.LBB91_182:
	s_and_saveexec_b32 s5, s1
	s_cbranch_execz .LBB91_192
; %bb.183:
	v_dual_add_nc_u32 v122, -16, v0 :: v_dual_add_nc_u32 v123, -15, v0
	s_delay_alu instid0(VALU_DEP_1)
	v_cmp_lt_u32_e32 vcc_lo, 6, v122
	v_mov_b32_e32 v122, 15
	s_and_saveexec_b32 s1, vcc_lo
	s_cbranch_execz .LBB91_187
; %bb.184:
	v_and_b32_e32 v122, -8, v123
	s_mov_b32 s6, 0
	s_mov_b64 s[2:3], 22
	s_movk_i32 s7, 0xac
	s_delay_alu instid0(VALU_DEP_1)
	v_sub_nc_u32_e32 v124, 0, v122
.LBB91_185:                             ; =>This Inner Loop Header: Depth=1
	s_add_co_i32 m0, s2, -7
	v_movrels_b32_e32 v127, v34
	v_mov_b32_e32 v122, s7
	s_add_co_i32 m0, s2, -6
	s_add_co_i32 s7, s7, 32
	v_movrels_b32_e32 v136, v34
	ds_load_2addr_b32 v[128:129], v122 offset1:1
	ds_load_2addr_b32 v[130:131], v122 offset0:2 offset1:3
	s_add_co_i32 m0, s2, -5
	s_wait_dscnt 0x1
	v_fmac_f32_e32 v126, v127, v128
	ds_load_2addr_b32 v[132:133], v122 offset0:4 offset1:5
	ds_load_2addr_b32 v[134:135], v122 offset0:6 offset1:7
	v_movrels_b32_e32 v122, v34
	s_add_co_i32 m0, s2, -4
	v_fmac_f32_e32 v126, v136, v129
	v_movrels_b32_e32 v127, v34
	s_add_co_i32 m0, s2, -3
	s_wait_dscnt 0x2
	s_delay_alu instid0(VALU_DEP_2) | instskip(SKIP_2) | instid1(VALU_DEP_2)
	v_fmac_f32_e32 v126, v122, v130
	v_movrels_b32_e32 v122, v34
	s_add_co_i32 m0, s2, -2
	v_fmac_f32_e32 v126, v127, v131
	v_movrels_b32_e32 v127, v34
	s_add_co_i32 m0, s2, -1
	s_wait_dscnt 0x1
	s_delay_alu instid0(VALU_DEP_2)
	v_fmac_f32_e32 v126, v122, v132
	v_movrels_b32_e32 v122, v34
	s_mov_b32 m0, s2
	s_add_nc_u64 s[2:3], s[2:3], 8
	v_movrels_b32_e32 v128, v34
	v_dual_fmac_f32 v126, v127, v133 :: v_dual_add_nc_u32 v127, s2, v124
	s_add_co_i32 s8, s2, -7
	s_wait_dscnt 0x0
	s_delay_alu instid0(VALU_DEP_1) | instskip(NEXT) | instid1(VALU_DEP_2)
	v_fmac_f32_e32 v126, v122, v134
	v_cmp_eq_u32_e32 vcc_lo, 22, v127
	s_delay_alu instid0(VALU_DEP_2) | instskip(SKIP_1) | instid1(SALU_CYCLE_1)
	v_dual_mov_b32 v122, s8 :: v_dual_fmac_f32 v126, v128, v135
	s_or_b32 s6, vcc_lo, s6
	s_and_not1_b32 exec_lo, exec_lo, s6
	s_cbranch_execnz .LBB91_185
; %bb.186:
	s_or_b32 exec_lo, exec_lo, s6
.LBB91_187:
	s_delay_alu instid0(SALU_CYCLE_1) | instskip(SKIP_3) | instid1(VALU_DEP_1)
	s_or_b32 exec_lo, exec_lo, s1
	v_and_b32_e32 v62, 7, v123
	s_mov_b32 s2, 0
	s_mov_b32 s1, exec_lo
	v_cmpx_ne_u32_e32 0, v62
	s_cbranch_execz .LBB91_191
; %bb.188:
	v_lshl_add_u32 v63, v122, 2, 0x70
	v_mov_b32_e32 v123, 0
.LBB91_189:                             ; =>This Inner Loop Header: Depth=1
	v_cmp_eq_u32_e32 vcc_lo, 1, v122
	ds_load_b32 v65, v63
	v_dual_add_nc_u32 v62, -1, v62 :: v_dual_add_nc_u32 v63, 4, v63
	v_cndmask_b32_e32 v64, v34, v35, vcc_lo
	v_cmp_eq_u32_e32 vcc_lo, 2, v122
	s_delay_alu instid0(VALU_DEP_2) | instskip(SKIP_1) | instid1(VALU_DEP_2)
	v_cndmask_b32_e32 v64, v64, v36, vcc_lo
	v_cmp_eq_u32_e32 vcc_lo, 3, v122
	v_cndmask_b32_e32 v64, v64, v37, vcc_lo
	v_cmp_eq_u32_e32 vcc_lo, 4, v122
	s_delay_alu instid0(VALU_DEP_2) | instskip(SKIP_1) | instid1(VALU_DEP_2)
	v_cndmask_b32_e32 v64, v64, v38, vcc_lo
	v_cmp_eq_u32_e32 vcc_lo, 5, v122
	;; [unrolled: 5-line block ×12, first 2 shown]
	v_cndmask_b32_e32 v64, v64, v59, vcc_lo
	v_cmp_eq_u32_e32 vcc_lo, 26, v122
	s_delay_alu instid0(VALU_DEP_2) | instskip(SKIP_2) | instid1(VALU_DEP_3)
	v_cndmask_b32_e32 v64, v64, v60, vcc_lo
	v_cmp_eq_u32_e32 vcc_lo, 27, v122
	v_add_nc_u64_e32 v[122:123], 1, v[122:123]
	v_cndmask_b32_e32 v64, v64, v61, vcc_lo
	v_cmp_eq_u32_e32 vcc_lo, 0, v62
	s_wait_dscnt 0x0
	s_delay_alu instid0(VALU_DEP_2) | instskip(SKIP_1) | instid1(SALU_CYCLE_1)
	v_fmac_f32_e32 v126, v64, v65
	s_or_b32 s2, vcc_lo, s2
	s_and_not1_b32 exec_lo, exec_lo, s2
	s_cbranch_execnz .LBB91_189
; %bb.190:
	s_or_b32 exec_lo, exec_lo, s2
.LBB91_191:
	s_delay_alu instid0(SALU_CYCLE_1)
	s_or_b32 exec_lo, exec_lo, s1
.LBB91_192:
	s_delay_alu instid0(SALU_CYCLE_1)
	s_or_b32 exec_lo, exec_lo, s5
	v_mov_b32_e32 v48, 0
	ds_load_b32 v48, v48 offset:56
	s_wait_dscnt 0x0
	v_mul_f32_e32 v48, v126, v48
.LBB91_193:
	s_or_b32 exec_lo, exec_lo, s4
	v_cmp_lt_u32_e64 s1, 13, v0
	ds_store_b32 v125, v47
	s_wait_dscnt 0x0
	s_barrier_signal -1
	s_barrier_wait -1
	s_and_saveexec_b32 s4, s1
	s_cbranch_execz .LBB91_209
; %bb.194:
	s_and_not1_b32 vcc_lo, exec_lo, s33
	s_cbranch_vccnz .LBB91_196
; %bb.195:
	v_cmp_eq_u32_e32 vcc_lo, 1, v0
	ds_load_b32 v123, v125
	v_cndmask_b32_e32 v122, v34, v35, vcc_lo
	v_cmp_eq_u32_e32 vcc_lo, 2, v0
	s_delay_alu instid0(VALU_DEP_2) | instskip(SKIP_1) | instid1(VALU_DEP_2)
	v_cndmask_b32_e32 v122, v122, v36, vcc_lo
	v_cmp_eq_u32_e32 vcc_lo, 3, v0
	v_cndmask_b32_e32 v122, v122, v37, vcc_lo
	v_cmp_eq_u32_e32 vcc_lo, 4, v0
	s_delay_alu instid0(VALU_DEP_2) | instskip(SKIP_1) | instid1(VALU_DEP_2)
	v_cndmask_b32_e32 v122, v122, v38, vcc_lo
	v_cmp_eq_u32_e32 vcc_lo, 5, v0
	;; [unrolled: 5-line block ×13, first 2 shown]
	v_cndmask_b32_e32 v122, v122, v61, vcc_lo
	s_wait_dscnt 0x0
	s_delay_alu instid0(VALU_DEP_1)
	v_mul_f32_e32 v126, v122, v123
	s_cbranch_execz .LBB91_197
	s_branch .LBB91_198
.LBB91_196:
                                        ; implicit-def: $vgpr126
.LBB91_197:
	ds_load_b32 v126, v125
.LBB91_198:
	s_and_saveexec_b32 s5, s0
	s_cbranch_execz .LBB91_208
; %bb.199:
	v_dual_add_nc_u32 v122, -15, v0 :: v_dual_add_nc_u32 v123, -14, v0
	s_delay_alu instid0(VALU_DEP_1)
	v_cmp_lt_u32_e32 vcc_lo, 6, v122
	v_mov_b32_e32 v122, 14
	s_and_saveexec_b32 s0, vcc_lo
	s_cbranch_execz .LBB91_203
; %bb.200:
	v_and_b32_e32 v122, -8, v123
	s_mov_b32 s6, 0
	s_mov_b64 s[2:3], 21
	s_movk_i32 s7, 0xa8
	s_delay_alu instid0(VALU_DEP_1)
	v_sub_nc_u32_e32 v124, 0, v122
.LBB91_201:                             ; =>This Inner Loop Header: Depth=1
	s_add_co_i32 m0, s2, -7
	v_movrels_b32_e32 v127, v34
	v_mov_b32_e32 v122, s7
	s_add_co_i32 m0, s2, -6
	s_add_co_i32 s7, s7, 32
	v_movrels_b32_e32 v136, v34
	s_add_co_i32 m0, s2, -5
	ds_load_2addr_b64 v[128:131], v122 offset1:1
	ds_load_2addr_b64 v[132:135], v122 offset0:2 offset1:3
	v_movrels_b32_e32 v122, v34
	s_add_co_i32 m0, s2, -4
	s_wait_dscnt 0x1
	v_fmac_f32_e32 v126, v127, v128
	v_movrels_b32_e32 v127, v34
	s_add_co_i32 m0, s2, -3
	s_delay_alu instid0(VALU_DEP_2) | instskip(NEXT) | instid1(VALU_DEP_1)
	v_fmac_f32_e32 v126, v136, v129
	v_fmac_f32_e32 v126, v122, v130
	v_movrels_b32_e32 v122, v34
	s_add_co_i32 m0, s2, -2
	s_delay_alu instid0(VALU_DEP_2) | instskip(SKIP_3) | instid1(VALU_DEP_2)
	v_fmac_f32_e32 v126, v127, v131
	v_movrels_b32_e32 v127, v34
	s_add_co_i32 m0, s2, -1
	s_wait_dscnt 0x0
	v_fmac_f32_e32 v126, v122, v132
	v_movrels_b32_e32 v122, v34
	s_mov_b32 m0, s2
	s_add_nc_u64 s[2:3], s[2:3], 8
	v_movrels_b32_e32 v128, v34
	v_dual_fmac_f32 v126, v127, v133 :: v_dual_add_nc_u32 v127, s2, v124
	s_add_co_i32 s8, s2, -7
	s_delay_alu instid0(VALU_DEP_1) | instskip(NEXT) | instid1(VALU_DEP_2)
	v_fmac_f32_e32 v126, v122, v134
	v_cmp_eq_u32_e32 vcc_lo, 21, v127
	s_delay_alu instid0(VALU_DEP_2) | instskip(SKIP_1) | instid1(SALU_CYCLE_1)
	v_dual_mov_b32 v122, s8 :: v_dual_fmac_f32 v126, v128, v135
	s_or_b32 s6, vcc_lo, s6
	s_and_not1_b32 exec_lo, exec_lo, s6
	s_cbranch_execnz .LBB91_201
; %bb.202:
	s_or_b32 exec_lo, exec_lo, s6
.LBB91_203:
	s_delay_alu instid0(SALU_CYCLE_1) | instskip(SKIP_3) | instid1(VALU_DEP_1)
	s_or_b32 exec_lo, exec_lo, s0
	v_and_b32_e32 v62, 7, v123
	s_mov_b32 s2, 0
	s_mov_b32 s0, exec_lo
	v_cmpx_ne_u32_e32 0, v62
	s_cbranch_execz .LBB91_207
; %bb.204:
	v_lshl_add_u32 v63, v122, 2, 0x70
	v_mov_b32_e32 v123, 0
.LBB91_205:                             ; =>This Inner Loop Header: Depth=1
	v_cmp_eq_u32_e32 vcc_lo, 1, v122
	ds_load_b32 v65, v63
	v_dual_add_nc_u32 v62, -1, v62 :: v_dual_add_nc_u32 v63, 4, v63
	v_cndmask_b32_e32 v64, v34, v35, vcc_lo
	v_cmp_eq_u32_e32 vcc_lo, 2, v122
	s_delay_alu instid0(VALU_DEP_2) | instskip(SKIP_1) | instid1(VALU_DEP_2)
	v_cndmask_b32_e32 v64, v64, v36, vcc_lo
	v_cmp_eq_u32_e32 vcc_lo, 3, v122
	v_cndmask_b32_e32 v64, v64, v37, vcc_lo
	v_cmp_eq_u32_e32 vcc_lo, 4, v122
	s_delay_alu instid0(VALU_DEP_2) | instskip(SKIP_1) | instid1(VALU_DEP_2)
	v_cndmask_b32_e32 v64, v64, v38, vcc_lo
	v_cmp_eq_u32_e32 vcc_lo, 5, v122
	v_cndmask_b32_e32 v64, v64, v39, vcc_lo
	v_cmp_eq_u32_e32 vcc_lo, 6, v122
	s_delay_alu instid0(VALU_DEP_2) | instskip(SKIP_1) | instid1(VALU_DEP_2)
	v_cndmask_b32_e32 v64, v64, v40, vcc_lo
	v_cmp_eq_u32_e32 vcc_lo, 7, v122
	v_cndmask_b32_e32 v64, v64, v41, vcc_lo
	v_cmp_eq_u32_e32 vcc_lo, 8, v122
	s_delay_alu instid0(VALU_DEP_2) | instskip(SKIP_1) | instid1(VALU_DEP_2)
	v_cndmask_b32_e32 v64, v64, v42, vcc_lo
	v_cmp_eq_u32_e32 vcc_lo, 9, v122
	v_cndmask_b32_e32 v64, v64, v43, vcc_lo
	v_cmp_eq_u32_e32 vcc_lo, 10, v122
	s_delay_alu instid0(VALU_DEP_2) | instskip(SKIP_1) | instid1(VALU_DEP_2)
	v_cndmask_b32_e32 v64, v64, v44, vcc_lo
	v_cmp_eq_u32_e32 vcc_lo, 11, v122
	v_cndmask_b32_e32 v64, v64, v45, vcc_lo
	v_cmp_eq_u32_e32 vcc_lo, 12, v122
	s_delay_alu instid0(VALU_DEP_2) | instskip(SKIP_1) | instid1(VALU_DEP_2)
	v_cndmask_b32_e32 v64, v64, v46, vcc_lo
	v_cmp_eq_u32_e32 vcc_lo, 13, v122
	v_cndmask_b32_e32 v64, v64, v47, vcc_lo
	v_cmp_eq_u32_e32 vcc_lo, 14, v122
	s_delay_alu instid0(VALU_DEP_2) | instskip(SKIP_1) | instid1(VALU_DEP_2)
	v_cndmask_b32_e32 v64, v64, v48, vcc_lo
	v_cmp_eq_u32_e32 vcc_lo, 15, v122
	v_cndmask_b32_e32 v64, v64, v49, vcc_lo
	v_cmp_eq_u32_e32 vcc_lo, 16, v122
	s_delay_alu instid0(VALU_DEP_2) | instskip(SKIP_1) | instid1(VALU_DEP_2)
	v_cndmask_b32_e32 v64, v64, v50, vcc_lo
	v_cmp_eq_u32_e32 vcc_lo, 17, v122
	v_cndmask_b32_e32 v64, v64, v51, vcc_lo
	v_cmp_eq_u32_e32 vcc_lo, 18, v122
	s_delay_alu instid0(VALU_DEP_2) | instskip(SKIP_1) | instid1(VALU_DEP_2)
	v_cndmask_b32_e32 v64, v64, v52, vcc_lo
	v_cmp_eq_u32_e32 vcc_lo, 19, v122
	v_cndmask_b32_e32 v64, v64, v53, vcc_lo
	v_cmp_eq_u32_e32 vcc_lo, 20, v122
	s_delay_alu instid0(VALU_DEP_2) | instskip(SKIP_1) | instid1(VALU_DEP_2)
	v_cndmask_b32_e32 v64, v64, v54, vcc_lo
	v_cmp_eq_u32_e32 vcc_lo, 21, v122
	v_cndmask_b32_e32 v64, v64, v55, vcc_lo
	v_cmp_eq_u32_e32 vcc_lo, 22, v122
	s_delay_alu instid0(VALU_DEP_2) | instskip(SKIP_1) | instid1(VALU_DEP_2)
	v_cndmask_b32_e32 v64, v64, v56, vcc_lo
	v_cmp_eq_u32_e32 vcc_lo, 23, v122
	v_cndmask_b32_e32 v64, v64, v57, vcc_lo
	v_cmp_eq_u32_e32 vcc_lo, 24, v122
	s_delay_alu instid0(VALU_DEP_2) | instskip(SKIP_1) | instid1(VALU_DEP_2)
	v_cndmask_b32_e32 v64, v64, v58, vcc_lo
	v_cmp_eq_u32_e32 vcc_lo, 25, v122
	v_cndmask_b32_e32 v64, v64, v59, vcc_lo
	v_cmp_eq_u32_e32 vcc_lo, 26, v122
	s_delay_alu instid0(VALU_DEP_2) | instskip(SKIP_2) | instid1(VALU_DEP_3)
	v_cndmask_b32_e32 v64, v64, v60, vcc_lo
	v_cmp_eq_u32_e32 vcc_lo, 27, v122
	v_add_nc_u64_e32 v[122:123], 1, v[122:123]
	v_cndmask_b32_e32 v64, v64, v61, vcc_lo
	v_cmp_eq_u32_e32 vcc_lo, 0, v62
	s_wait_dscnt 0x0
	s_delay_alu instid0(VALU_DEP_2) | instskip(SKIP_1) | instid1(SALU_CYCLE_1)
	v_fmac_f32_e32 v126, v64, v65
	s_or_b32 s2, vcc_lo, s2
	s_and_not1_b32 exec_lo, exec_lo, s2
	s_cbranch_execnz .LBB91_205
; %bb.206:
	s_or_b32 exec_lo, exec_lo, s2
.LBB91_207:
	s_delay_alu instid0(SALU_CYCLE_1)
	s_or_b32 exec_lo, exec_lo, s0
.LBB91_208:
	s_delay_alu instid0(SALU_CYCLE_1)
	s_or_b32 exec_lo, exec_lo, s5
	v_mov_b32_e32 v47, 0
	ds_load_b32 v47, v47 offset:52
	s_wait_dscnt 0x0
	v_mul_f32_e32 v47, v126, v47
.LBB91_209:
	s_or_b32 exec_lo, exec_lo, s4
	v_cmp_lt_u32_e64 s0, 12, v0
	ds_store_b32 v125, v46
	s_wait_dscnt 0x0
	s_barrier_signal -1
	s_barrier_wait -1
	s_and_saveexec_b32 s4, s0
	s_cbranch_execz .LBB91_225
; %bb.210:
	s_and_not1_b32 vcc_lo, exec_lo, s33
	s_cbranch_vccnz .LBB91_212
; %bb.211:
	v_cmp_eq_u32_e32 vcc_lo, 1, v0
	ds_load_b32 v123, v125
	v_cndmask_b32_e32 v122, v34, v35, vcc_lo
	v_cmp_eq_u32_e32 vcc_lo, 2, v0
	s_delay_alu instid0(VALU_DEP_2) | instskip(SKIP_1) | instid1(VALU_DEP_2)
	v_cndmask_b32_e32 v122, v122, v36, vcc_lo
	v_cmp_eq_u32_e32 vcc_lo, 3, v0
	v_cndmask_b32_e32 v122, v122, v37, vcc_lo
	v_cmp_eq_u32_e32 vcc_lo, 4, v0
	s_delay_alu instid0(VALU_DEP_2) | instskip(SKIP_1) | instid1(VALU_DEP_2)
	v_cndmask_b32_e32 v122, v122, v38, vcc_lo
	v_cmp_eq_u32_e32 vcc_lo, 5, v0
	;; [unrolled: 5-line block ×13, first 2 shown]
	v_cndmask_b32_e32 v122, v122, v61, vcc_lo
	s_wait_dscnt 0x0
	s_delay_alu instid0(VALU_DEP_1)
	v_mul_f32_e32 v126, v122, v123
	s_cbranch_execz .LBB91_213
	s_branch .LBB91_214
.LBB91_212:
                                        ; implicit-def: $vgpr126
.LBB91_213:
	ds_load_b32 v126, v125
.LBB91_214:
	s_and_saveexec_b32 s5, s1
	s_cbranch_execz .LBB91_224
; %bb.215:
	v_dual_add_nc_u32 v122, -14, v0 :: v_dual_add_nc_u32 v123, -13, v0
	s_delay_alu instid0(VALU_DEP_1)
	v_cmp_lt_u32_e32 vcc_lo, 6, v122
	v_mov_b32_e32 v122, 13
	s_and_saveexec_b32 s1, vcc_lo
	s_cbranch_execz .LBB91_219
; %bb.216:
	v_and_b32_e32 v122, -8, v123
	s_mov_b32 s6, 0
	s_mov_b64 s[2:3], 20
	s_movk_i32 s7, 0xa4
	s_delay_alu instid0(VALU_DEP_1)
	v_sub_nc_u32_e32 v124, 0, v122
.LBB91_217:                             ; =>This Inner Loop Header: Depth=1
	s_add_co_i32 m0, s2, -7
	v_movrels_b32_e32 v127, v34
	v_mov_b32_e32 v122, s7
	s_add_co_i32 m0, s2, -6
	s_add_co_i32 s7, s7, 32
	v_movrels_b32_e32 v136, v34
	ds_load_2addr_b32 v[128:129], v122 offset1:1
	ds_load_2addr_b32 v[130:131], v122 offset0:2 offset1:3
	s_add_co_i32 m0, s2, -5
	s_wait_dscnt 0x1
	v_fmac_f32_e32 v126, v127, v128
	ds_load_2addr_b32 v[132:133], v122 offset0:4 offset1:5
	ds_load_2addr_b32 v[134:135], v122 offset0:6 offset1:7
	v_movrels_b32_e32 v122, v34
	s_add_co_i32 m0, s2, -4
	v_fmac_f32_e32 v126, v136, v129
	v_movrels_b32_e32 v127, v34
	s_add_co_i32 m0, s2, -3
	s_wait_dscnt 0x2
	s_delay_alu instid0(VALU_DEP_2) | instskip(SKIP_2) | instid1(VALU_DEP_2)
	v_fmac_f32_e32 v126, v122, v130
	v_movrels_b32_e32 v122, v34
	s_add_co_i32 m0, s2, -2
	v_fmac_f32_e32 v126, v127, v131
	v_movrels_b32_e32 v127, v34
	s_add_co_i32 m0, s2, -1
	s_wait_dscnt 0x1
	s_delay_alu instid0(VALU_DEP_2)
	v_fmac_f32_e32 v126, v122, v132
	v_movrels_b32_e32 v122, v34
	s_mov_b32 m0, s2
	s_add_nc_u64 s[2:3], s[2:3], 8
	v_movrels_b32_e32 v128, v34
	v_dual_fmac_f32 v126, v127, v133 :: v_dual_add_nc_u32 v127, s2, v124
	s_add_co_i32 s8, s2, -7
	s_wait_dscnt 0x0
	s_delay_alu instid0(VALU_DEP_1) | instskip(NEXT) | instid1(VALU_DEP_2)
	v_fmac_f32_e32 v126, v122, v134
	v_cmp_eq_u32_e32 vcc_lo, 20, v127
	s_delay_alu instid0(VALU_DEP_2) | instskip(SKIP_1) | instid1(SALU_CYCLE_1)
	v_dual_mov_b32 v122, s8 :: v_dual_fmac_f32 v126, v128, v135
	s_or_b32 s6, vcc_lo, s6
	s_and_not1_b32 exec_lo, exec_lo, s6
	s_cbranch_execnz .LBB91_217
; %bb.218:
	s_or_b32 exec_lo, exec_lo, s6
.LBB91_219:
	s_delay_alu instid0(SALU_CYCLE_1) | instskip(SKIP_3) | instid1(VALU_DEP_1)
	s_or_b32 exec_lo, exec_lo, s1
	v_and_b32_e32 v62, 7, v123
	s_mov_b32 s2, 0
	s_mov_b32 s1, exec_lo
	v_cmpx_ne_u32_e32 0, v62
	s_cbranch_execz .LBB91_223
; %bb.220:
	v_lshl_add_u32 v63, v122, 2, 0x70
	v_mov_b32_e32 v123, 0
.LBB91_221:                             ; =>This Inner Loop Header: Depth=1
	v_cmp_eq_u32_e32 vcc_lo, 1, v122
	ds_load_b32 v65, v63
	v_dual_add_nc_u32 v62, -1, v62 :: v_dual_add_nc_u32 v63, 4, v63
	v_cndmask_b32_e32 v64, v34, v35, vcc_lo
	v_cmp_eq_u32_e32 vcc_lo, 2, v122
	s_delay_alu instid0(VALU_DEP_2) | instskip(SKIP_1) | instid1(VALU_DEP_2)
	v_cndmask_b32_e32 v64, v64, v36, vcc_lo
	v_cmp_eq_u32_e32 vcc_lo, 3, v122
	v_cndmask_b32_e32 v64, v64, v37, vcc_lo
	v_cmp_eq_u32_e32 vcc_lo, 4, v122
	s_delay_alu instid0(VALU_DEP_2) | instskip(SKIP_1) | instid1(VALU_DEP_2)
	v_cndmask_b32_e32 v64, v64, v38, vcc_lo
	v_cmp_eq_u32_e32 vcc_lo, 5, v122
	;; [unrolled: 5-line block ×12, first 2 shown]
	v_cndmask_b32_e32 v64, v64, v59, vcc_lo
	v_cmp_eq_u32_e32 vcc_lo, 26, v122
	s_delay_alu instid0(VALU_DEP_2) | instskip(SKIP_2) | instid1(VALU_DEP_3)
	v_cndmask_b32_e32 v64, v64, v60, vcc_lo
	v_cmp_eq_u32_e32 vcc_lo, 27, v122
	v_add_nc_u64_e32 v[122:123], 1, v[122:123]
	v_cndmask_b32_e32 v64, v64, v61, vcc_lo
	v_cmp_eq_u32_e32 vcc_lo, 0, v62
	s_wait_dscnt 0x0
	s_delay_alu instid0(VALU_DEP_2) | instskip(SKIP_1) | instid1(SALU_CYCLE_1)
	v_fmac_f32_e32 v126, v64, v65
	s_or_b32 s2, vcc_lo, s2
	s_and_not1_b32 exec_lo, exec_lo, s2
	s_cbranch_execnz .LBB91_221
; %bb.222:
	s_or_b32 exec_lo, exec_lo, s2
.LBB91_223:
	s_delay_alu instid0(SALU_CYCLE_1)
	s_or_b32 exec_lo, exec_lo, s1
.LBB91_224:
	s_delay_alu instid0(SALU_CYCLE_1)
	s_or_b32 exec_lo, exec_lo, s5
	v_mov_b32_e32 v46, 0
	ds_load_b32 v46, v46 offset:48
	s_wait_dscnt 0x0
	v_mul_f32_e32 v46, v126, v46
.LBB91_225:
	s_or_b32 exec_lo, exec_lo, s4
	v_cmp_lt_u32_e64 s1, 11, v0
	ds_store_b32 v125, v45
	s_wait_dscnt 0x0
	s_barrier_signal -1
	s_barrier_wait -1
	s_and_saveexec_b32 s4, s1
	s_cbranch_execz .LBB91_241
; %bb.226:
	s_and_not1_b32 vcc_lo, exec_lo, s33
	s_cbranch_vccnz .LBB91_228
; %bb.227:
	v_cmp_eq_u32_e32 vcc_lo, 1, v0
	ds_load_b32 v123, v125
	v_cndmask_b32_e32 v122, v34, v35, vcc_lo
	v_cmp_eq_u32_e32 vcc_lo, 2, v0
	s_delay_alu instid0(VALU_DEP_2) | instskip(SKIP_1) | instid1(VALU_DEP_2)
	v_cndmask_b32_e32 v122, v122, v36, vcc_lo
	v_cmp_eq_u32_e32 vcc_lo, 3, v0
	v_cndmask_b32_e32 v122, v122, v37, vcc_lo
	v_cmp_eq_u32_e32 vcc_lo, 4, v0
	s_delay_alu instid0(VALU_DEP_2) | instskip(SKIP_1) | instid1(VALU_DEP_2)
	v_cndmask_b32_e32 v122, v122, v38, vcc_lo
	v_cmp_eq_u32_e32 vcc_lo, 5, v0
	;; [unrolled: 5-line block ×13, first 2 shown]
	v_cndmask_b32_e32 v122, v122, v61, vcc_lo
	s_wait_dscnt 0x0
	s_delay_alu instid0(VALU_DEP_1)
	v_mul_f32_e32 v126, v122, v123
	s_cbranch_execz .LBB91_229
	s_branch .LBB91_230
.LBB91_228:
                                        ; implicit-def: $vgpr126
.LBB91_229:
	ds_load_b32 v126, v125
.LBB91_230:
	s_and_saveexec_b32 s5, s0
	s_cbranch_execz .LBB91_240
; %bb.231:
	v_dual_add_nc_u32 v122, -13, v0 :: v_dual_add_nc_u32 v123, -12, v0
	s_delay_alu instid0(VALU_DEP_1)
	v_cmp_lt_u32_e32 vcc_lo, 6, v122
	v_mov_b32_e32 v122, 12
	s_and_saveexec_b32 s0, vcc_lo
	s_cbranch_execz .LBB91_235
; %bb.232:
	v_and_b32_e32 v122, -8, v123
	s_mov_b32 s6, 0
	s_mov_b64 s[2:3], 19
	s_movk_i32 s7, 0xa0
	s_delay_alu instid0(VALU_DEP_1)
	v_sub_nc_u32_e32 v124, 0, v122
.LBB91_233:                             ; =>This Inner Loop Header: Depth=1
	s_add_co_i32 m0, s2, -7
	v_movrels_b32_e32 v127, v34
	v_mov_b32_e32 v122, s7
	s_add_co_i32 m0, s2, -6
	s_add_co_i32 s7, s7, 32
	v_movrels_b32_e32 v136, v34
	s_add_co_i32 m0, s2, -5
	ds_load_b128 v[128:131], v122
	ds_load_b128 v[132:135], v122 offset:16
	v_movrels_b32_e32 v122, v34
	s_add_co_i32 m0, s2, -4
	s_wait_dscnt 0x1
	v_fmac_f32_e32 v126, v127, v128
	v_movrels_b32_e32 v127, v34
	s_add_co_i32 m0, s2, -3
	s_delay_alu instid0(VALU_DEP_2) | instskip(NEXT) | instid1(VALU_DEP_1)
	v_fmac_f32_e32 v126, v136, v129
	v_fmac_f32_e32 v126, v122, v130
	v_movrels_b32_e32 v122, v34
	s_add_co_i32 m0, s2, -2
	s_delay_alu instid0(VALU_DEP_2) | instskip(SKIP_3) | instid1(VALU_DEP_2)
	v_fmac_f32_e32 v126, v127, v131
	v_movrels_b32_e32 v127, v34
	s_add_co_i32 m0, s2, -1
	s_wait_dscnt 0x0
	v_fmac_f32_e32 v126, v122, v132
	v_movrels_b32_e32 v122, v34
	s_mov_b32 m0, s2
	s_add_nc_u64 s[2:3], s[2:3], 8
	v_movrels_b32_e32 v128, v34
	v_dual_fmac_f32 v126, v127, v133 :: v_dual_add_nc_u32 v127, s2, v124
	s_add_co_i32 s8, s2, -7
	s_delay_alu instid0(VALU_DEP_1) | instskip(NEXT) | instid1(VALU_DEP_2)
	v_fmac_f32_e32 v126, v122, v134
	v_cmp_eq_u32_e32 vcc_lo, 19, v127
	s_delay_alu instid0(VALU_DEP_2) | instskip(SKIP_1) | instid1(SALU_CYCLE_1)
	v_dual_mov_b32 v122, s8 :: v_dual_fmac_f32 v126, v128, v135
	s_or_b32 s6, vcc_lo, s6
	s_and_not1_b32 exec_lo, exec_lo, s6
	s_cbranch_execnz .LBB91_233
; %bb.234:
	s_or_b32 exec_lo, exec_lo, s6
.LBB91_235:
	s_delay_alu instid0(SALU_CYCLE_1) | instskip(SKIP_3) | instid1(VALU_DEP_1)
	s_or_b32 exec_lo, exec_lo, s0
	v_and_b32_e32 v62, 7, v123
	s_mov_b32 s2, 0
	s_mov_b32 s0, exec_lo
	v_cmpx_ne_u32_e32 0, v62
	s_cbranch_execz .LBB91_239
; %bb.236:
	v_lshl_add_u32 v63, v122, 2, 0x70
	v_mov_b32_e32 v123, 0
.LBB91_237:                             ; =>This Inner Loop Header: Depth=1
	v_cmp_eq_u32_e32 vcc_lo, 1, v122
	ds_load_b32 v65, v63
	v_dual_add_nc_u32 v62, -1, v62 :: v_dual_add_nc_u32 v63, 4, v63
	v_cndmask_b32_e32 v64, v34, v35, vcc_lo
	v_cmp_eq_u32_e32 vcc_lo, 2, v122
	s_delay_alu instid0(VALU_DEP_2) | instskip(SKIP_1) | instid1(VALU_DEP_2)
	v_cndmask_b32_e32 v64, v64, v36, vcc_lo
	v_cmp_eq_u32_e32 vcc_lo, 3, v122
	v_cndmask_b32_e32 v64, v64, v37, vcc_lo
	v_cmp_eq_u32_e32 vcc_lo, 4, v122
	s_delay_alu instid0(VALU_DEP_2) | instskip(SKIP_1) | instid1(VALU_DEP_2)
	v_cndmask_b32_e32 v64, v64, v38, vcc_lo
	v_cmp_eq_u32_e32 vcc_lo, 5, v122
	;; [unrolled: 5-line block ×12, first 2 shown]
	v_cndmask_b32_e32 v64, v64, v59, vcc_lo
	v_cmp_eq_u32_e32 vcc_lo, 26, v122
	s_delay_alu instid0(VALU_DEP_2) | instskip(SKIP_2) | instid1(VALU_DEP_3)
	v_cndmask_b32_e32 v64, v64, v60, vcc_lo
	v_cmp_eq_u32_e32 vcc_lo, 27, v122
	v_add_nc_u64_e32 v[122:123], 1, v[122:123]
	v_cndmask_b32_e32 v64, v64, v61, vcc_lo
	v_cmp_eq_u32_e32 vcc_lo, 0, v62
	s_wait_dscnt 0x0
	s_delay_alu instid0(VALU_DEP_2) | instskip(SKIP_1) | instid1(SALU_CYCLE_1)
	v_fmac_f32_e32 v126, v64, v65
	s_or_b32 s2, vcc_lo, s2
	s_and_not1_b32 exec_lo, exec_lo, s2
	s_cbranch_execnz .LBB91_237
; %bb.238:
	s_or_b32 exec_lo, exec_lo, s2
.LBB91_239:
	s_delay_alu instid0(SALU_CYCLE_1)
	s_or_b32 exec_lo, exec_lo, s0
.LBB91_240:
	s_delay_alu instid0(SALU_CYCLE_1)
	s_or_b32 exec_lo, exec_lo, s5
	v_mov_b32_e32 v45, 0
	ds_load_b32 v45, v45 offset:44
	s_wait_dscnt 0x0
	v_mul_f32_e32 v45, v126, v45
.LBB91_241:
	s_or_b32 exec_lo, exec_lo, s4
	v_cmp_lt_u32_e64 s0, 10, v0
	ds_store_b32 v125, v44
	s_wait_dscnt 0x0
	s_barrier_signal -1
	s_barrier_wait -1
	s_and_saveexec_b32 s4, s0
	s_cbranch_execz .LBB91_257
; %bb.242:
	s_and_not1_b32 vcc_lo, exec_lo, s33
	s_cbranch_vccnz .LBB91_244
; %bb.243:
	v_cmp_eq_u32_e32 vcc_lo, 1, v0
	ds_load_b32 v123, v125
	v_cndmask_b32_e32 v122, v34, v35, vcc_lo
	v_cmp_eq_u32_e32 vcc_lo, 2, v0
	s_delay_alu instid0(VALU_DEP_2) | instskip(SKIP_1) | instid1(VALU_DEP_2)
	v_cndmask_b32_e32 v122, v122, v36, vcc_lo
	v_cmp_eq_u32_e32 vcc_lo, 3, v0
	v_cndmask_b32_e32 v122, v122, v37, vcc_lo
	v_cmp_eq_u32_e32 vcc_lo, 4, v0
	s_delay_alu instid0(VALU_DEP_2) | instskip(SKIP_1) | instid1(VALU_DEP_2)
	v_cndmask_b32_e32 v122, v122, v38, vcc_lo
	v_cmp_eq_u32_e32 vcc_lo, 5, v0
	;; [unrolled: 5-line block ×13, first 2 shown]
	v_cndmask_b32_e32 v122, v122, v61, vcc_lo
	s_wait_dscnt 0x0
	s_delay_alu instid0(VALU_DEP_1)
	v_mul_f32_e32 v126, v122, v123
	s_cbranch_execz .LBB91_245
	s_branch .LBB91_246
.LBB91_244:
                                        ; implicit-def: $vgpr126
.LBB91_245:
	ds_load_b32 v126, v125
.LBB91_246:
	s_and_saveexec_b32 s5, s1
	s_cbranch_execz .LBB91_256
; %bb.247:
	v_dual_add_nc_u32 v122, -12, v0 :: v_dual_add_nc_u32 v123, -11, v0
	s_delay_alu instid0(VALU_DEP_1)
	v_cmp_lt_u32_e32 vcc_lo, 6, v122
	v_mov_b32_e32 v122, 11
	s_and_saveexec_b32 s1, vcc_lo
	s_cbranch_execz .LBB91_251
; %bb.248:
	v_and_b32_e32 v122, -8, v123
	s_mov_b32 s6, 0
	s_mov_b64 s[2:3], 18
	s_movk_i32 s7, 0x9c
	s_delay_alu instid0(VALU_DEP_1)
	v_sub_nc_u32_e32 v124, 0, v122
.LBB91_249:                             ; =>This Inner Loop Header: Depth=1
	s_add_co_i32 m0, s2, -7
	v_movrels_b32_e32 v127, v34
	v_mov_b32_e32 v122, s7
	s_add_co_i32 m0, s2, -6
	s_add_co_i32 s7, s7, 32
	v_movrels_b32_e32 v136, v34
	ds_load_2addr_b32 v[128:129], v122 offset1:1
	ds_load_2addr_b32 v[130:131], v122 offset0:2 offset1:3
	s_add_co_i32 m0, s2, -5
	s_wait_dscnt 0x1
	v_fmac_f32_e32 v126, v127, v128
	ds_load_2addr_b32 v[132:133], v122 offset0:4 offset1:5
	ds_load_2addr_b32 v[134:135], v122 offset0:6 offset1:7
	v_movrels_b32_e32 v122, v34
	s_add_co_i32 m0, s2, -4
	v_fmac_f32_e32 v126, v136, v129
	v_movrels_b32_e32 v127, v34
	s_add_co_i32 m0, s2, -3
	s_wait_dscnt 0x2
	s_delay_alu instid0(VALU_DEP_2) | instskip(SKIP_2) | instid1(VALU_DEP_2)
	v_fmac_f32_e32 v126, v122, v130
	v_movrels_b32_e32 v122, v34
	s_add_co_i32 m0, s2, -2
	v_fmac_f32_e32 v126, v127, v131
	v_movrels_b32_e32 v127, v34
	s_add_co_i32 m0, s2, -1
	s_wait_dscnt 0x1
	s_delay_alu instid0(VALU_DEP_2)
	v_fmac_f32_e32 v126, v122, v132
	v_movrels_b32_e32 v122, v34
	s_mov_b32 m0, s2
	s_add_nc_u64 s[2:3], s[2:3], 8
	v_movrels_b32_e32 v128, v34
	v_dual_fmac_f32 v126, v127, v133 :: v_dual_add_nc_u32 v127, s2, v124
	s_add_co_i32 s8, s2, -7
	s_wait_dscnt 0x0
	s_delay_alu instid0(VALU_DEP_1) | instskip(NEXT) | instid1(VALU_DEP_2)
	v_fmac_f32_e32 v126, v122, v134
	v_cmp_eq_u32_e32 vcc_lo, 18, v127
	s_delay_alu instid0(VALU_DEP_2) | instskip(SKIP_1) | instid1(SALU_CYCLE_1)
	v_dual_mov_b32 v122, s8 :: v_dual_fmac_f32 v126, v128, v135
	s_or_b32 s6, vcc_lo, s6
	s_and_not1_b32 exec_lo, exec_lo, s6
	s_cbranch_execnz .LBB91_249
; %bb.250:
	s_or_b32 exec_lo, exec_lo, s6
.LBB91_251:
	s_delay_alu instid0(SALU_CYCLE_1) | instskip(SKIP_3) | instid1(VALU_DEP_1)
	s_or_b32 exec_lo, exec_lo, s1
	v_and_b32_e32 v62, 7, v123
	s_mov_b32 s2, 0
	s_mov_b32 s1, exec_lo
	v_cmpx_ne_u32_e32 0, v62
	s_cbranch_execz .LBB91_255
; %bb.252:
	v_lshl_add_u32 v63, v122, 2, 0x70
	v_mov_b32_e32 v123, 0
.LBB91_253:                             ; =>This Inner Loop Header: Depth=1
	v_cmp_eq_u32_e32 vcc_lo, 1, v122
	ds_load_b32 v65, v63
	v_dual_add_nc_u32 v62, -1, v62 :: v_dual_add_nc_u32 v63, 4, v63
	v_cndmask_b32_e32 v64, v34, v35, vcc_lo
	v_cmp_eq_u32_e32 vcc_lo, 2, v122
	s_delay_alu instid0(VALU_DEP_2) | instskip(SKIP_1) | instid1(VALU_DEP_2)
	v_cndmask_b32_e32 v64, v64, v36, vcc_lo
	v_cmp_eq_u32_e32 vcc_lo, 3, v122
	v_cndmask_b32_e32 v64, v64, v37, vcc_lo
	v_cmp_eq_u32_e32 vcc_lo, 4, v122
	s_delay_alu instid0(VALU_DEP_2) | instskip(SKIP_1) | instid1(VALU_DEP_2)
	v_cndmask_b32_e32 v64, v64, v38, vcc_lo
	v_cmp_eq_u32_e32 vcc_lo, 5, v122
	;; [unrolled: 5-line block ×12, first 2 shown]
	v_cndmask_b32_e32 v64, v64, v59, vcc_lo
	v_cmp_eq_u32_e32 vcc_lo, 26, v122
	s_delay_alu instid0(VALU_DEP_2) | instskip(SKIP_2) | instid1(VALU_DEP_3)
	v_cndmask_b32_e32 v64, v64, v60, vcc_lo
	v_cmp_eq_u32_e32 vcc_lo, 27, v122
	v_add_nc_u64_e32 v[122:123], 1, v[122:123]
	v_cndmask_b32_e32 v64, v64, v61, vcc_lo
	v_cmp_eq_u32_e32 vcc_lo, 0, v62
	s_wait_dscnt 0x0
	s_delay_alu instid0(VALU_DEP_2) | instskip(SKIP_1) | instid1(SALU_CYCLE_1)
	v_fmac_f32_e32 v126, v64, v65
	s_or_b32 s2, vcc_lo, s2
	s_and_not1_b32 exec_lo, exec_lo, s2
	s_cbranch_execnz .LBB91_253
; %bb.254:
	s_or_b32 exec_lo, exec_lo, s2
.LBB91_255:
	s_delay_alu instid0(SALU_CYCLE_1)
	s_or_b32 exec_lo, exec_lo, s1
.LBB91_256:
	s_delay_alu instid0(SALU_CYCLE_1)
	s_or_b32 exec_lo, exec_lo, s5
	v_mov_b32_e32 v44, 0
	ds_load_b32 v44, v44 offset:40
	s_wait_dscnt 0x0
	v_mul_f32_e32 v44, v126, v44
.LBB91_257:
	s_or_b32 exec_lo, exec_lo, s4
	v_cmp_lt_u32_e64 s1, 9, v0
	ds_store_b32 v125, v43
	s_wait_dscnt 0x0
	s_barrier_signal -1
	s_barrier_wait -1
	s_and_saveexec_b32 s4, s1
	s_cbranch_execz .LBB91_273
; %bb.258:
	s_and_not1_b32 vcc_lo, exec_lo, s33
	s_cbranch_vccnz .LBB91_260
; %bb.259:
	v_cmp_eq_u32_e32 vcc_lo, 1, v0
	ds_load_b32 v123, v125
	v_cndmask_b32_e32 v122, v34, v35, vcc_lo
	v_cmp_eq_u32_e32 vcc_lo, 2, v0
	s_delay_alu instid0(VALU_DEP_2) | instskip(SKIP_1) | instid1(VALU_DEP_2)
	v_cndmask_b32_e32 v122, v122, v36, vcc_lo
	v_cmp_eq_u32_e32 vcc_lo, 3, v0
	v_cndmask_b32_e32 v122, v122, v37, vcc_lo
	v_cmp_eq_u32_e32 vcc_lo, 4, v0
	s_delay_alu instid0(VALU_DEP_2) | instskip(SKIP_1) | instid1(VALU_DEP_2)
	v_cndmask_b32_e32 v122, v122, v38, vcc_lo
	v_cmp_eq_u32_e32 vcc_lo, 5, v0
	;; [unrolled: 5-line block ×13, first 2 shown]
	v_cndmask_b32_e32 v122, v122, v61, vcc_lo
	s_wait_dscnt 0x0
	s_delay_alu instid0(VALU_DEP_1)
	v_mul_f32_e32 v126, v122, v123
	s_cbranch_execz .LBB91_261
	s_branch .LBB91_262
.LBB91_260:
                                        ; implicit-def: $vgpr126
.LBB91_261:
	ds_load_b32 v126, v125
.LBB91_262:
	s_and_saveexec_b32 s5, s0
	s_cbranch_execz .LBB91_272
; %bb.263:
	v_dual_add_nc_u32 v122, -11, v0 :: v_dual_add_nc_u32 v123, -10, v0
	s_delay_alu instid0(VALU_DEP_1)
	v_cmp_lt_u32_e32 vcc_lo, 6, v122
	v_mov_b32_e32 v122, 10
	s_and_saveexec_b32 s0, vcc_lo
	s_cbranch_execz .LBB91_267
; %bb.264:
	v_and_b32_e32 v122, -8, v123
	s_mov_b32 s6, 0
	s_mov_b64 s[2:3], 17
	s_movk_i32 s7, 0x98
	s_delay_alu instid0(VALU_DEP_1)
	v_sub_nc_u32_e32 v124, 0, v122
.LBB91_265:                             ; =>This Inner Loop Header: Depth=1
	s_add_co_i32 m0, s2, -7
	v_movrels_b32_e32 v127, v34
	v_mov_b32_e32 v122, s7
	s_add_co_i32 m0, s2, -6
	s_add_co_i32 s7, s7, 32
	v_movrels_b32_e32 v136, v34
	s_add_co_i32 m0, s2, -5
	ds_load_2addr_b64 v[128:131], v122 offset1:1
	ds_load_2addr_b64 v[132:135], v122 offset0:2 offset1:3
	v_movrels_b32_e32 v122, v34
	s_add_co_i32 m0, s2, -4
	s_wait_dscnt 0x1
	v_fmac_f32_e32 v126, v127, v128
	v_movrels_b32_e32 v127, v34
	s_add_co_i32 m0, s2, -3
	s_delay_alu instid0(VALU_DEP_2) | instskip(NEXT) | instid1(VALU_DEP_1)
	v_fmac_f32_e32 v126, v136, v129
	v_fmac_f32_e32 v126, v122, v130
	v_movrels_b32_e32 v122, v34
	s_add_co_i32 m0, s2, -2
	s_delay_alu instid0(VALU_DEP_2) | instskip(SKIP_3) | instid1(VALU_DEP_2)
	v_fmac_f32_e32 v126, v127, v131
	v_movrels_b32_e32 v127, v34
	s_add_co_i32 m0, s2, -1
	s_wait_dscnt 0x0
	v_fmac_f32_e32 v126, v122, v132
	v_movrels_b32_e32 v122, v34
	s_mov_b32 m0, s2
	s_add_nc_u64 s[2:3], s[2:3], 8
	v_movrels_b32_e32 v128, v34
	v_dual_fmac_f32 v126, v127, v133 :: v_dual_add_nc_u32 v127, s2, v124
	s_add_co_i32 s8, s2, -7
	s_delay_alu instid0(VALU_DEP_1) | instskip(NEXT) | instid1(VALU_DEP_2)
	v_fmac_f32_e32 v126, v122, v134
	v_cmp_eq_u32_e32 vcc_lo, 17, v127
	s_delay_alu instid0(VALU_DEP_2) | instskip(SKIP_1) | instid1(SALU_CYCLE_1)
	v_dual_mov_b32 v122, s8 :: v_dual_fmac_f32 v126, v128, v135
	s_or_b32 s6, vcc_lo, s6
	s_and_not1_b32 exec_lo, exec_lo, s6
	s_cbranch_execnz .LBB91_265
; %bb.266:
	s_or_b32 exec_lo, exec_lo, s6
.LBB91_267:
	s_delay_alu instid0(SALU_CYCLE_1) | instskip(SKIP_3) | instid1(VALU_DEP_1)
	s_or_b32 exec_lo, exec_lo, s0
	v_and_b32_e32 v62, 7, v123
	s_mov_b32 s2, 0
	s_mov_b32 s0, exec_lo
	v_cmpx_ne_u32_e32 0, v62
	s_cbranch_execz .LBB91_271
; %bb.268:
	v_lshl_add_u32 v63, v122, 2, 0x70
	v_mov_b32_e32 v123, 0
.LBB91_269:                             ; =>This Inner Loop Header: Depth=1
	v_cmp_eq_u32_e32 vcc_lo, 1, v122
	ds_load_b32 v65, v63
	v_dual_add_nc_u32 v62, -1, v62 :: v_dual_add_nc_u32 v63, 4, v63
	v_cndmask_b32_e32 v64, v34, v35, vcc_lo
	v_cmp_eq_u32_e32 vcc_lo, 2, v122
	s_delay_alu instid0(VALU_DEP_2) | instskip(SKIP_1) | instid1(VALU_DEP_2)
	v_cndmask_b32_e32 v64, v64, v36, vcc_lo
	v_cmp_eq_u32_e32 vcc_lo, 3, v122
	v_cndmask_b32_e32 v64, v64, v37, vcc_lo
	v_cmp_eq_u32_e32 vcc_lo, 4, v122
	s_delay_alu instid0(VALU_DEP_2) | instskip(SKIP_1) | instid1(VALU_DEP_2)
	v_cndmask_b32_e32 v64, v64, v38, vcc_lo
	v_cmp_eq_u32_e32 vcc_lo, 5, v122
	;; [unrolled: 5-line block ×12, first 2 shown]
	v_cndmask_b32_e32 v64, v64, v59, vcc_lo
	v_cmp_eq_u32_e32 vcc_lo, 26, v122
	s_delay_alu instid0(VALU_DEP_2) | instskip(SKIP_2) | instid1(VALU_DEP_3)
	v_cndmask_b32_e32 v64, v64, v60, vcc_lo
	v_cmp_eq_u32_e32 vcc_lo, 27, v122
	v_add_nc_u64_e32 v[122:123], 1, v[122:123]
	v_cndmask_b32_e32 v64, v64, v61, vcc_lo
	v_cmp_eq_u32_e32 vcc_lo, 0, v62
	s_wait_dscnt 0x0
	s_delay_alu instid0(VALU_DEP_2) | instskip(SKIP_1) | instid1(SALU_CYCLE_1)
	v_fmac_f32_e32 v126, v64, v65
	s_or_b32 s2, vcc_lo, s2
	s_and_not1_b32 exec_lo, exec_lo, s2
	s_cbranch_execnz .LBB91_269
; %bb.270:
	s_or_b32 exec_lo, exec_lo, s2
.LBB91_271:
	s_delay_alu instid0(SALU_CYCLE_1)
	s_or_b32 exec_lo, exec_lo, s0
.LBB91_272:
	s_delay_alu instid0(SALU_CYCLE_1)
	s_or_b32 exec_lo, exec_lo, s5
	v_mov_b32_e32 v43, 0
	ds_load_b32 v43, v43 offset:36
	s_wait_dscnt 0x0
	v_mul_f32_e32 v43, v126, v43
.LBB91_273:
	s_or_b32 exec_lo, exec_lo, s4
	v_cmp_lt_u32_e64 s0, 8, v0
	ds_store_b32 v125, v42
	s_wait_dscnt 0x0
	s_barrier_signal -1
	s_barrier_wait -1
	s_and_saveexec_b32 s4, s0
	s_cbranch_execz .LBB91_289
; %bb.274:
	s_and_not1_b32 vcc_lo, exec_lo, s33
	s_cbranch_vccnz .LBB91_276
; %bb.275:
	v_cmp_eq_u32_e32 vcc_lo, 1, v0
	ds_load_b32 v123, v125
	v_cndmask_b32_e32 v122, v34, v35, vcc_lo
	v_cmp_eq_u32_e32 vcc_lo, 2, v0
	s_delay_alu instid0(VALU_DEP_2) | instskip(SKIP_1) | instid1(VALU_DEP_2)
	v_cndmask_b32_e32 v122, v122, v36, vcc_lo
	v_cmp_eq_u32_e32 vcc_lo, 3, v0
	v_cndmask_b32_e32 v122, v122, v37, vcc_lo
	v_cmp_eq_u32_e32 vcc_lo, 4, v0
	s_delay_alu instid0(VALU_DEP_2) | instskip(SKIP_1) | instid1(VALU_DEP_2)
	v_cndmask_b32_e32 v122, v122, v38, vcc_lo
	v_cmp_eq_u32_e32 vcc_lo, 5, v0
	v_cndmask_b32_e32 v122, v122, v39, vcc_lo
	v_cmp_eq_u32_e32 vcc_lo, 6, v0
	s_delay_alu instid0(VALU_DEP_2) | instskip(SKIP_1) | instid1(VALU_DEP_2)
	v_cndmask_b32_e32 v122, v122, v40, vcc_lo
	v_cmp_eq_u32_e32 vcc_lo, 7, v0
	v_cndmask_b32_e32 v122, v122, v41, vcc_lo
	v_cmp_eq_u32_e32 vcc_lo, 8, v0
	s_delay_alu instid0(VALU_DEP_2) | instskip(SKIP_1) | instid1(VALU_DEP_2)
	v_cndmask_b32_e32 v122, v122, v42, vcc_lo
	v_cmp_eq_u32_e32 vcc_lo, 9, v0
	v_cndmask_b32_e32 v122, v122, v43, vcc_lo
	v_cmp_eq_u32_e32 vcc_lo, 10, v0
	s_delay_alu instid0(VALU_DEP_2) | instskip(SKIP_1) | instid1(VALU_DEP_2)
	v_cndmask_b32_e32 v122, v122, v44, vcc_lo
	v_cmp_eq_u32_e32 vcc_lo, 11, v0
	v_cndmask_b32_e32 v122, v122, v45, vcc_lo
	v_cmp_eq_u32_e32 vcc_lo, 12, v0
	s_delay_alu instid0(VALU_DEP_2) | instskip(SKIP_1) | instid1(VALU_DEP_2)
	v_cndmask_b32_e32 v122, v122, v46, vcc_lo
	v_cmp_eq_u32_e32 vcc_lo, 13, v0
	v_cndmask_b32_e32 v122, v122, v47, vcc_lo
	v_cmp_eq_u32_e32 vcc_lo, 14, v0
	s_delay_alu instid0(VALU_DEP_2) | instskip(SKIP_1) | instid1(VALU_DEP_2)
	v_cndmask_b32_e32 v122, v122, v48, vcc_lo
	v_cmp_eq_u32_e32 vcc_lo, 15, v0
	v_cndmask_b32_e32 v122, v122, v49, vcc_lo
	v_cmp_eq_u32_e32 vcc_lo, 16, v0
	s_delay_alu instid0(VALU_DEP_2) | instskip(SKIP_1) | instid1(VALU_DEP_2)
	v_cndmask_b32_e32 v122, v122, v50, vcc_lo
	v_cmp_eq_u32_e32 vcc_lo, 17, v0
	v_cndmask_b32_e32 v122, v122, v51, vcc_lo
	v_cmp_eq_u32_e32 vcc_lo, 18, v0
	s_delay_alu instid0(VALU_DEP_2) | instskip(SKIP_1) | instid1(VALU_DEP_2)
	v_cndmask_b32_e32 v122, v122, v52, vcc_lo
	v_cmp_eq_u32_e32 vcc_lo, 19, v0
	v_cndmask_b32_e32 v122, v122, v53, vcc_lo
	v_cmp_eq_u32_e32 vcc_lo, 20, v0
	s_delay_alu instid0(VALU_DEP_2) | instskip(SKIP_1) | instid1(VALU_DEP_2)
	v_cndmask_b32_e32 v122, v122, v54, vcc_lo
	v_cmp_eq_u32_e32 vcc_lo, 21, v0
	v_cndmask_b32_e32 v122, v122, v55, vcc_lo
	v_cmp_eq_u32_e32 vcc_lo, 22, v0
	s_delay_alu instid0(VALU_DEP_2) | instskip(SKIP_1) | instid1(VALU_DEP_2)
	v_cndmask_b32_e32 v122, v122, v56, vcc_lo
	v_cmp_eq_u32_e32 vcc_lo, 23, v0
	v_cndmask_b32_e32 v122, v122, v57, vcc_lo
	v_cmp_eq_u32_e32 vcc_lo, 24, v0
	s_delay_alu instid0(VALU_DEP_2) | instskip(SKIP_1) | instid1(VALU_DEP_2)
	v_cndmask_b32_e32 v122, v122, v58, vcc_lo
	v_cmp_eq_u32_e32 vcc_lo, 25, v0
	v_cndmask_b32_e32 v122, v122, v59, vcc_lo
	v_cmp_eq_u32_e32 vcc_lo, 26, v0
	s_delay_alu instid0(VALU_DEP_2) | instskip(SKIP_1) | instid1(VALU_DEP_2)
	v_cndmask_b32_e32 v122, v122, v60, vcc_lo
	v_cmp_eq_u32_e32 vcc_lo, 27, v0
	v_cndmask_b32_e32 v122, v122, v61, vcc_lo
	s_wait_dscnt 0x0
	s_delay_alu instid0(VALU_DEP_1)
	v_mul_f32_e32 v126, v122, v123
	s_cbranch_execz .LBB91_277
	s_branch .LBB91_278
.LBB91_276:
                                        ; implicit-def: $vgpr126
.LBB91_277:
	ds_load_b32 v126, v125
.LBB91_278:
	s_and_saveexec_b32 s5, s1
	s_cbranch_execz .LBB91_288
; %bb.279:
	v_dual_add_nc_u32 v122, -10, v0 :: v_dual_add_nc_u32 v123, -9, v0
	s_delay_alu instid0(VALU_DEP_1)
	v_cmp_lt_u32_e32 vcc_lo, 6, v122
	v_mov_b32_e32 v122, 9
	s_and_saveexec_b32 s1, vcc_lo
	s_cbranch_execz .LBB91_283
; %bb.280:
	v_and_b32_e32 v122, -8, v123
	s_mov_b32 s6, 0
	s_mov_b64 s[2:3], 16
	s_movk_i32 s7, 0x94
	s_delay_alu instid0(VALU_DEP_1)
	v_sub_nc_u32_e32 v124, 0, v122
.LBB91_281:                             ; =>This Inner Loop Header: Depth=1
	s_add_co_i32 m0, s2, -7
	v_movrels_b32_e32 v127, v34
	v_mov_b32_e32 v122, s7
	s_add_co_i32 m0, s2, -6
	s_add_co_i32 s7, s7, 32
	v_movrels_b32_e32 v136, v34
	ds_load_2addr_b32 v[128:129], v122 offset1:1
	ds_load_2addr_b32 v[130:131], v122 offset0:2 offset1:3
	s_add_co_i32 m0, s2, -5
	s_wait_dscnt 0x1
	v_fmac_f32_e32 v126, v127, v128
	ds_load_2addr_b32 v[132:133], v122 offset0:4 offset1:5
	ds_load_2addr_b32 v[134:135], v122 offset0:6 offset1:7
	v_movrels_b32_e32 v122, v34
	s_add_co_i32 m0, s2, -4
	v_fmac_f32_e32 v126, v136, v129
	v_movrels_b32_e32 v127, v34
	s_add_co_i32 m0, s2, -3
	s_wait_dscnt 0x2
	s_delay_alu instid0(VALU_DEP_2) | instskip(SKIP_2) | instid1(VALU_DEP_2)
	v_fmac_f32_e32 v126, v122, v130
	v_movrels_b32_e32 v122, v34
	s_add_co_i32 m0, s2, -2
	v_fmac_f32_e32 v126, v127, v131
	v_movrels_b32_e32 v127, v34
	s_add_co_i32 m0, s2, -1
	s_wait_dscnt 0x1
	s_delay_alu instid0(VALU_DEP_2)
	v_fmac_f32_e32 v126, v122, v132
	v_movrels_b32_e32 v122, v34
	s_mov_b32 m0, s2
	s_add_nc_u64 s[2:3], s[2:3], 8
	v_movrels_b32_e32 v128, v34
	v_dual_fmac_f32 v126, v127, v133 :: v_dual_add_nc_u32 v127, s2, v124
	s_add_co_i32 s8, s2, -7
	s_wait_dscnt 0x0
	s_delay_alu instid0(VALU_DEP_1) | instskip(NEXT) | instid1(VALU_DEP_2)
	v_fmac_f32_e32 v126, v122, v134
	v_cmp_eq_u32_e32 vcc_lo, 16, v127
	s_delay_alu instid0(VALU_DEP_2) | instskip(SKIP_1) | instid1(SALU_CYCLE_1)
	v_dual_mov_b32 v122, s8 :: v_dual_fmac_f32 v126, v128, v135
	s_or_b32 s6, vcc_lo, s6
	s_and_not1_b32 exec_lo, exec_lo, s6
	s_cbranch_execnz .LBB91_281
; %bb.282:
	s_or_b32 exec_lo, exec_lo, s6
.LBB91_283:
	s_delay_alu instid0(SALU_CYCLE_1) | instskip(SKIP_3) | instid1(VALU_DEP_1)
	s_or_b32 exec_lo, exec_lo, s1
	v_and_b32_e32 v62, 7, v123
	s_mov_b32 s2, 0
	s_mov_b32 s1, exec_lo
	v_cmpx_ne_u32_e32 0, v62
	s_cbranch_execz .LBB91_287
; %bb.284:
	v_lshl_add_u32 v63, v122, 2, 0x70
	v_mov_b32_e32 v123, 0
.LBB91_285:                             ; =>This Inner Loop Header: Depth=1
	v_cmp_eq_u32_e32 vcc_lo, 1, v122
	ds_load_b32 v65, v63
	v_dual_add_nc_u32 v62, -1, v62 :: v_dual_add_nc_u32 v63, 4, v63
	v_cndmask_b32_e32 v64, v34, v35, vcc_lo
	v_cmp_eq_u32_e32 vcc_lo, 2, v122
	s_delay_alu instid0(VALU_DEP_2) | instskip(SKIP_1) | instid1(VALU_DEP_2)
	v_cndmask_b32_e32 v64, v64, v36, vcc_lo
	v_cmp_eq_u32_e32 vcc_lo, 3, v122
	v_cndmask_b32_e32 v64, v64, v37, vcc_lo
	v_cmp_eq_u32_e32 vcc_lo, 4, v122
	s_delay_alu instid0(VALU_DEP_2) | instskip(SKIP_1) | instid1(VALU_DEP_2)
	v_cndmask_b32_e32 v64, v64, v38, vcc_lo
	v_cmp_eq_u32_e32 vcc_lo, 5, v122
	;; [unrolled: 5-line block ×12, first 2 shown]
	v_cndmask_b32_e32 v64, v64, v59, vcc_lo
	v_cmp_eq_u32_e32 vcc_lo, 26, v122
	s_delay_alu instid0(VALU_DEP_2) | instskip(SKIP_2) | instid1(VALU_DEP_3)
	v_cndmask_b32_e32 v64, v64, v60, vcc_lo
	v_cmp_eq_u32_e32 vcc_lo, 27, v122
	v_add_nc_u64_e32 v[122:123], 1, v[122:123]
	v_cndmask_b32_e32 v64, v64, v61, vcc_lo
	v_cmp_eq_u32_e32 vcc_lo, 0, v62
	s_wait_dscnt 0x0
	s_delay_alu instid0(VALU_DEP_2) | instskip(SKIP_1) | instid1(SALU_CYCLE_1)
	v_fmac_f32_e32 v126, v64, v65
	s_or_b32 s2, vcc_lo, s2
	s_and_not1_b32 exec_lo, exec_lo, s2
	s_cbranch_execnz .LBB91_285
; %bb.286:
	s_or_b32 exec_lo, exec_lo, s2
.LBB91_287:
	s_delay_alu instid0(SALU_CYCLE_1)
	s_or_b32 exec_lo, exec_lo, s1
.LBB91_288:
	s_delay_alu instid0(SALU_CYCLE_1)
	s_or_b32 exec_lo, exec_lo, s5
	v_mov_b32_e32 v42, 0
	ds_load_b32 v42, v42 offset:32
	s_wait_dscnt 0x0
	v_mul_f32_e32 v42, v126, v42
.LBB91_289:
	s_or_b32 exec_lo, exec_lo, s4
	v_cmp_lt_u32_e64 s1, 7, v0
	ds_store_b32 v125, v41
	s_wait_dscnt 0x0
	s_barrier_signal -1
	s_barrier_wait -1
	s_and_saveexec_b32 s4, s1
	s_cbranch_execz .LBB91_305
; %bb.290:
	s_and_not1_b32 vcc_lo, exec_lo, s33
	s_cbranch_vccnz .LBB91_292
; %bb.291:
	v_cmp_eq_u32_e32 vcc_lo, 1, v0
	ds_load_b32 v123, v125
	v_cndmask_b32_e32 v122, v34, v35, vcc_lo
	v_cmp_eq_u32_e32 vcc_lo, 2, v0
	s_delay_alu instid0(VALU_DEP_2) | instskip(SKIP_1) | instid1(VALU_DEP_2)
	v_cndmask_b32_e32 v122, v122, v36, vcc_lo
	v_cmp_eq_u32_e32 vcc_lo, 3, v0
	v_cndmask_b32_e32 v122, v122, v37, vcc_lo
	v_cmp_eq_u32_e32 vcc_lo, 4, v0
	s_delay_alu instid0(VALU_DEP_2) | instskip(SKIP_1) | instid1(VALU_DEP_2)
	v_cndmask_b32_e32 v122, v122, v38, vcc_lo
	v_cmp_eq_u32_e32 vcc_lo, 5, v0
	;; [unrolled: 5-line block ×13, first 2 shown]
	v_cndmask_b32_e32 v122, v122, v61, vcc_lo
	s_wait_dscnt 0x0
	s_delay_alu instid0(VALU_DEP_1)
	v_mul_f32_e32 v126, v122, v123
	s_cbranch_execz .LBB91_293
	s_branch .LBB91_294
.LBB91_292:
                                        ; implicit-def: $vgpr126
.LBB91_293:
	ds_load_b32 v126, v125
.LBB91_294:
	s_and_saveexec_b32 s5, s0
	s_cbranch_execz .LBB91_304
; %bb.295:
	v_add_nc_u32_e32 v122, -9, v0
	s_delay_alu instid0(VALU_DEP_1)
	v_cmp_lt_u32_e32 vcc_lo, 6, v122
	v_mov_b32_e32 v122, 8
	s_and_saveexec_b32 s0, vcc_lo
	s_cbranch_execz .LBB91_299
; %bb.296:
	v_and_b32_e32 v122, 24, v0
	s_mov_b32 s6, 0
	s_mov_b64 s[2:3], 15
	s_movk_i32 s7, 0x90
	s_delay_alu instid0(VALU_DEP_1)
	v_sub_nc_u32_e32 v124, 0, v122
.LBB91_297:                             ; =>This Inner Loop Header: Depth=1
	s_add_co_i32 m0, s2, -7
	v_movrels_b32_e32 v123, v34
	v_mov_b32_e32 v122, s7
	s_add_co_i32 m0, s2, -6
	s_add_co_i32 s7, s7, 32
	v_movrels_b32_e32 v127, v34
	s_add_co_i32 m0, s2, -5
	ds_load_b128 v[128:131], v122
	ds_load_b128 v[132:135], v122 offset:16
	v_movrels_b32_e32 v122, v34
	s_add_co_i32 m0, s2, -4
	s_wait_dscnt 0x1
	v_fmac_f32_e32 v126, v123, v128
	v_movrels_b32_e32 v123, v34
	s_add_co_i32 m0, s2, -3
	s_delay_alu instid0(VALU_DEP_2) | instskip(NEXT) | instid1(VALU_DEP_1)
	v_fmac_f32_e32 v126, v127, v129
	v_fmac_f32_e32 v126, v122, v130
	v_movrels_b32_e32 v122, v34
	s_add_co_i32 m0, s2, -2
	s_delay_alu instid0(VALU_DEP_2) | instskip(SKIP_3) | instid1(VALU_DEP_2)
	v_fmac_f32_e32 v126, v123, v131
	v_movrels_b32_e32 v123, v34
	s_add_co_i32 m0, s2, -1
	s_wait_dscnt 0x0
	v_fmac_f32_e32 v126, v122, v132
	v_movrels_b32_e32 v122, v34
	s_mov_b32 m0, s2
	s_add_nc_u64 s[2:3], s[2:3], 8
	v_movrels_b32_e32 v127, v34
	v_dual_fmac_f32 v126, v123, v133 :: v_dual_add_nc_u32 v123, s2, v124
	s_add_co_i32 s8, s2, -7
	s_delay_alu instid0(VALU_DEP_1) | instskip(NEXT) | instid1(VALU_DEP_2)
	v_fmac_f32_e32 v126, v122, v134
	v_cmp_eq_u32_e32 vcc_lo, 7, v123
	s_delay_alu instid0(VALU_DEP_2) | instskip(SKIP_1) | instid1(SALU_CYCLE_1)
	v_dual_mov_b32 v122, s8 :: v_dual_fmac_f32 v126, v127, v135
	s_or_b32 s6, vcc_lo, s6
	s_and_not1_b32 exec_lo, exec_lo, s6
	s_cbranch_execnz .LBB91_297
; %bb.298:
	s_or_b32 exec_lo, exec_lo, s6
.LBB91_299:
	s_delay_alu instid0(SALU_CYCLE_1) | instskip(SKIP_3) | instid1(VALU_DEP_1)
	s_or_b32 exec_lo, exec_lo, s0
	v_and_b32_e32 v62, 7, v0
	s_mov_b32 s2, 0
	s_mov_b32 s0, exec_lo
	v_cmpx_ne_u32_e32 0, v62
	s_cbranch_execz .LBB91_303
; %bb.300:
	v_lshl_add_u32 v63, v122, 2, 0x70
	v_mov_b32_e32 v123, 0
.LBB91_301:                             ; =>This Inner Loop Header: Depth=1
	v_cmp_eq_u32_e32 vcc_lo, 1, v122
	ds_load_b32 v65, v63
	v_dual_add_nc_u32 v62, -1, v62 :: v_dual_add_nc_u32 v63, 4, v63
	v_cndmask_b32_e32 v64, v34, v35, vcc_lo
	v_cmp_eq_u32_e32 vcc_lo, 2, v122
	s_delay_alu instid0(VALU_DEP_2) | instskip(SKIP_1) | instid1(VALU_DEP_2)
	v_cndmask_b32_e32 v64, v64, v36, vcc_lo
	v_cmp_eq_u32_e32 vcc_lo, 3, v122
	v_cndmask_b32_e32 v64, v64, v37, vcc_lo
	v_cmp_eq_u32_e32 vcc_lo, 4, v122
	s_delay_alu instid0(VALU_DEP_2) | instskip(SKIP_1) | instid1(VALU_DEP_2)
	v_cndmask_b32_e32 v64, v64, v38, vcc_lo
	v_cmp_eq_u32_e32 vcc_lo, 5, v122
	;; [unrolled: 5-line block ×12, first 2 shown]
	v_cndmask_b32_e32 v64, v64, v59, vcc_lo
	v_cmp_eq_u32_e32 vcc_lo, 26, v122
	s_delay_alu instid0(VALU_DEP_2) | instskip(SKIP_2) | instid1(VALU_DEP_3)
	v_cndmask_b32_e32 v64, v64, v60, vcc_lo
	v_cmp_eq_u32_e32 vcc_lo, 27, v122
	v_add_nc_u64_e32 v[122:123], 1, v[122:123]
	v_cndmask_b32_e32 v64, v64, v61, vcc_lo
	v_cmp_eq_u32_e32 vcc_lo, 0, v62
	s_wait_dscnt 0x0
	s_delay_alu instid0(VALU_DEP_2) | instskip(SKIP_1) | instid1(SALU_CYCLE_1)
	v_fmac_f32_e32 v126, v64, v65
	s_or_b32 s2, vcc_lo, s2
	s_and_not1_b32 exec_lo, exec_lo, s2
	s_cbranch_execnz .LBB91_301
; %bb.302:
	s_or_b32 exec_lo, exec_lo, s2
.LBB91_303:
	s_delay_alu instid0(SALU_CYCLE_1)
	s_or_b32 exec_lo, exec_lo, s0
.LBB91_304:
	s_delay_alu instid0(SALU_CYCLE_1)
	s_or_b32 exec_lo, exec_lo, s5
	v_mov_b32_e32 v41, 0
	ds_load_b32 v41, v41 offset:28
	s_wait_dscnt 0x0
	v_mul_f32_e32 v41, v126, v41
.LBB91_305:
	s_or_b32 exec_lo, exec_lo, s4
	v_cmp_lt_u32_e64 s0, 6, v0
	ds_store_b32 v125, v40
	s_wait_dscnt 0x0
	s_barrier_signal -1
	s_barrier_wait -1
	s_and_saveexec_b32 s4, s0
	s_cbranch_execz .LBB91_321
; %bb.306:
	s_and_not1_b32 vcc_lo, exec_lo, s33
	s_cbranch_vccnz .LBB91_308
; %bb.307:
	v_cmp_eq_u32_e32 vcc_lo, 1, v0
	ds_load_b32 v123, v125
	v_cndmask_b32_e32 v122, v34, v35, vcc_lo
	v_cmp_eq_u32_e32 vcc_lo, 2, v0
	s_delay_alu instid0(VALU_DEP_2) | instskip(SKIP_1) | instid1(VALU_DEP_2)
	v_cndmask_b32_e32 v122, v122, v36, vcc_lo
	v_cmp_eq_u32_e32 vcc_lo, 3, v0
	v_cndmask_b32_e32 v122, v122, v37, vcc_lo
	v_cmp_eq_u32_e32 vcc_lo, 4, v0
	s_delay_alu instid0(VALU_DEP_2) | instskip(SKIP_1) | instid1(VALU_DEP_2)
	v_cndmask_b32_e32 v122, v122, v38, vcc_lo
	v_cmp_eq_u32_e32 vcc_lo, 5, v0
	;; [unrolled: 5-line block ×13, first 2 shown]
	v_cndmask_b32_e32 v122, v122, v61, vcc_lo
	s_wait_dscnt 0x0
	s_delay_alu instid0(VALU_DEP_1)
	v_mul_f32_e32 v126, v122, v123
	s_cbranch_execz .LBB91_309
	s_branch .LBB91_310
.LBB91_308:
                                        ; implicit-def: $vgpr126
.LBB91_309:
	ds_load_b32 v126, v125
.LBB91_310:
	s_and_saveexec_b32 s5, s1
	s_cbranch_execz .LBB91_320
; %bb.311:
	v_dual_add_nc_u32 v122, -8, v0 :: v_dual_add_nc_u32 v123, -7, v0
	s_delay_alu instid0(VALU_DEP_1)
	v_cmp_lt_u32_e32 vcc_lo, 6, v122
	v_mov_b32_e32 v122, 7
	s_and_saveexec_b32 s1, vcc_lo
	s_cbranch_execz .LBB91_315
; %bb.312:
	v_and_b32_e32 v122, -8, v123
	s_mov_b32 s6, 0
	s_mov_b64 s[2:3], 14
	s_movk_i32 s7, 0x8c
	s_delay_alu instid0(VALU_DEP_1)
	v_sub_nc_u32_e32 v124, 0, v122
.LBB91_313:                             ; =>This Inner Loop Header: Depth=1
	s_add_co_i32 m0, s2, -7
	v_movrels_b32_e32 v127, v34
	v_mov_b32_e32 v122, s7
	s_add_co_i32 m0, s2, -6
	s_add_co_i32 s7, s7, 32
	v_movrels_b32_e32 v136, v34
	ds_load_2addr_b32 v[128:129], v122 offset1:1
	ds_load_2addr_b32 v[130:131], v122 offset0:2 offset1:3
	s_add_co_i32 m0, s2, -5
	s_wait_dscnt 0x1
	v_fmac_f32_e32 v126, v127, v128
	ds_load_2addr_b32 v[132:133], v122 offset0:4 offset1:5
	ds_load_2addr_b32 v[134:135], v122 offset0:6 offset1:7
	v_movrels_b32_e32 v122, v34
	s_add_co_i32 m0, s2, -4
	v_fmac_f32_e32 v126, v136, v129
	v_movrels_b32_e32 v127, v34
	s_add_co_i32 m0, s2, -3
	s_wait_dscnt 0x2
	s_delay_alu instid0(VALU_DEP_2) | instskip(SKIP_2) | instid1(VALU_DEP_2)
	v_fmac_f32_e32 v126, v122, v130
	v_movrels_b32_e32 v122, v34
	s_add_co_i32 m0, s2, -2
	v_fmac_f32_e32 v126, v127, v131
	v_movrels_b32_e32 v127, v34
	s_add_co_i32 m0, s2, -1
	s_wait_dscnt 0x1
	s_delay_alu instid0(VALU_DEP_2)
	v_fmac_f32_e32 v126, v122, v132
	v_movrels_b32_e32 v122, v34
	s_mov_b32 m0, s2
	s_add_nc_u64 s[2:3], s[2:3], 8
	v_movrels_b32_e32 v128, v34
	v_dual_fmac_f32 v126, v127, v133 :: v_dual_add_nc_u32 v127, s2, v124
	s_add_co_i32 s8, s2, -7
	s_wait_dscnt 0x0
	s_delay_alu instid0(VALU_DEP_1) | instskip(NEXT) | instid1(VALU_DEP_2)
	v_fmac_f32_e32 v126, v122, v134
	v_cmp_eq_u32_e32 vcc_lo, 14, v127
	s_delay_alu instid0(VALU_DEP_2) | instskip(SKIP_1) | instid1(SALU_CYCLE_1)
	v_dual_mov_b32 v122, s8 :: v_dual_fmac_f32 v126, v128, v135
	s_or_b32 s6, vcc_lo, s6
	s_and_not1_b32 exec_lo, exec_lo, s6
	s_cbranch_execnz .LBB91_313
; %bb.314:
	s_or_b32 exec_lo, exec_lo, s6
.LBB91_315:
	s_delay_alu instid0(SALU_CYCLE_1) | instskip(SKIP_3) | instid1(VALU_DEP_1)
	s_or_b32 exec_lo, exec_lo, s1
	v_and_b32_e32 v62, 7, v123
	s_mov_b32 s2, 0
	s_mov_b32 s1, exec_lo
	v_cmpx_ne_u32_e32 0, v62
	s_cbranch_execz .LBB91_319
; %bb.316:
	v_lshl_add_u32 v63, v122, 2, 0x70
	v_mov_b32_e32 v123, 0
.LBB91_317:                             ; =>This Inner Loop Header: Depth=1
	v_cmp_eq_u32_e32 vcc_lo, 1, v122
	ds_load_b32 v65, v63
	v_dual_add_nc_u32 v62, -1, v62 :: v_dual_add_nc_u32 v63, 4, v63
	v_cndmask_b32_e32 v64, v34, v35, vcc_lo
	v_cmp_eq_u32_e32 vcc_lo, 2, v122
	s_delay_alu instid0(VALU_DEP_2) | instskip(SKIP_1) | instid1(VALU_DEP_2)
	v_cndmask_b32_e32 v64, v64, v36, vcc_lo
	v_cmp_eq_u32_e32 vcc_lo, 3, v122
	v_cndmask_b32_e32 v64, v64, v37, vcc_lo
	v_cmp_eq_u32_e32 vcc_lo, 4, v122
	s_delay_alu instid0(VALU_DEP_2) | instskip(SKIP_1) | instid1(VALU_DEP_2)
	v_cndmask_b32_e32 v64, v64, v38, vcc_lo
	v_cmp_eq_u32_e32 vcc_lo, 5, v122
	;; [unrolled: 5-line block ×12, first 2 shown]
	v_cndmask_b32_e32 v64, v64, v59, vcc_lo
	v_cmp_eq_u32_e32 vcc_lo, 26, v122
	s_delay_alu instid0(VALU_DEP_2) | instskip(SKIP_2) | instid1(VALU_DEP_3)
	v_cndmask_b32_e32 v64, v64, v60, vcc_lo
	v_cmp_eq_u32_e32 vcc_lo, 27, v122
	v_add_nc_u64_e32 v[122:123], 1, v[122:123]
	v_cndmask_b32_e32 v64, v64, v61, vcc_lo
	v_cmp_eq_u32_e32 vcc_lo, 0, v62
	s_wait_dscnt 0x0
	s_delay_alu instid0(VALU_DEP_2) | instskip(SKIP_1) | instid1(SALU_CYCLE_1)
	v_fmac_f32_e32 v126, v64, v65
	s_or_b32 s2, vcc_lo, s2
	s_and_not1_b32 exec_lo, exec_lo, s2
	s_cbranch_execnz .LBB91_317
; %bb.318:
	s_or_b32 exec_lo, exec_lo, s2
.LBB91_319:
	s_delay_alu instid0(SALU_CYCLE_1)
	s_or_b32 exec_lo, exec_lo, s1
.LBB91_320:
	s_delay_alu instid0(SALU_CYCLE_1)
	s_or_b32 exec_lo, exec_lo, s5
	v_mov_b32_e32 v40, 0
	ds_load_b32 v40, v40 offset:24
	s_wait_dscnt 0x0
	v_mul_f32_e32 v40, v126, v40
.LBB91_321:
	s_or_b32 exec_lo, exec_lo, s4
	v_cmp_lt_u32_e64 s1, 5, v0
	ds_store_b32 v125, v39
	s_wait_dscnt 0x0
	s_barrier_signal -1
	s_barrier_wait -1
	s_and_saveexec_b32 s4, s1
	s_cbranch_execz .LBB91_337
; %bb.322:
	s_and_not1_b32 vcc_lo, exec_lo, s33
	s_cbranch_vccnz .LBB91_324
; %bb.323:
	v_cmp_eq_u32_e32 vcc_lo, 1, v0
	ds_load_b32 v123, v125
	v_cndmask_b32_e32 v122, v34, v35, vcc_lo
	v_cmp_eq_u32_e32 vcc_lo, 2, v0
	s_delay_alu instid0(VALU_DEP_2) | instskip(SKIP_1) | instid1(VALU_DEP_2)
	v_cndmask_b32_e32 v122, v122, v36, vcc_lo
	v_cmp_eq_u32_e32 vcc_lo, 3, v0
	v_cndmask_b32_e32 v122, v122, v37, vcc_lo
	v_cmp_eq_u32_e32 vcc_lo, 4, v0
	s_delay_alu instid0(VALU_DEP_2) | instskip(SKIP_1) | instid1(VALU_DEP_2)
	v_cndmask_b32_e32 v122, v122, v38, vcc_lo
	v_cmp_eq_u32_e32 vcc_lo, 5, v0
	;; [unrolled: 5-line block ×13, first 2 shown]
	v_cndmask_b32_e32 v122, v122, v61, vcc_lo
	s_wait_dscnt 0x0
	s_delay_alu instid0(VALU_DEP_1)
	v_mul_f32_e32 v126, v122, v123
	s_cbranch_execz .LBB91_325
	s_branch .LBB91_326
.LBB91_324:
                                        ; implicit-def: $vgpr126
.LBB91_325:
	ds_load_b32 v126, v125
.LBB91_326:
	s_and_saveexec_b32 s5, s0
	s_cbranch_execz .LBB91_336
; %bb.327:
	v_dual_add_nc_u32 v124, -7, v0 :: v_dual_add_nc_u32 v123, -6, v0
	v_mov_b32_e32 v122, 6
	s_mov_b32 s0, exec_lo
	s_delay_alu instid0(VALU_DEP_2)
	v_cmpx_lt_u32_e32 6, v124
	s_cbranch_execz .LBB91_331
; %bb.328:
	v_and_b32_e32 v122, -8, v123
	s_mov_b32 s6, 0
	s_mov_b64 s[2:3], 13
	s_movk_i32 s7, 0x88
	s_delay_alu instid0(VALU_DEP_1)
	v_sub_nc_u32_e32 v124, 0, v122
.LBB91_329:                             ; =>This Inner Loop Header: Depth=1
	s_add_co_i32 m0, s2, -7
	v_movrels_b32_e32 v127, v34
	v_mov_b32_e32 v122, s7
	s_add_co_i32 m0, s2, -6
	s_add_co_i32 s7, s7, 32
	v_movrels_b32_e32 v136, v34
	s_add_co_i32 m0, s2, -5
	ds_load_2addr_b64 v[128:131], v122 offset1:1
	ds_load_2addr_b64 v[132:135], v122 offset0:2 offset1:3
	v_movrels_b32_e32 v122, v34
	s_add_co_i32 m0, s2, -4
	s_wait_dscnt 0x1
	v_fmac_f32_e32 v126, v127, v128
	v_movrels_b32_e32 v127, v34
	s_add_co_i32 m0, s2, -3
	s_delay_alu instid0(VALU_DEP_2) | instskip(NEXT) | instid1(VALU_DEP_1)
	v_fmac_f32_e32 v126, v136, v129
	v_fmac_f32_e32 v126, v122, v130
	v_movrels_b32_e32 v122, v34
	s_add_co_i32 m0, s2, -2
	s_delay_alu instid0(VALU_DEP_2) | instskip(SKIP_3) | instid1(VALU_DEP_2)
	v_fmac_f32_e32 v126, v127, v131
	v_movrels_b32_e32 v127, v34
	s_add_co_i32 m0, s2, -1
	s_wait_dscnt 0x0
	v_fmac_f32_e32 v126, v122, v132
	v_movrels_b32_e32 v122, v34
	s_mov_b32 m0, s2
	s_add_nc_u64 s[2:3], s[2:3], 8
	v_movrels_b32_e32 v128, v34
	v_dual_fmac_f32 v126, v127, v133 :: v_dual_add_nc_u32 v127, s2, v124
	s_add_co_i32 s8, s2, -7
	s_delay_alu instid0(VALU_DEP_1) | instskip(NEXT) | instid1(VALU_DEP_2)
	v_fmac_f32_e32 v126, v122, v134
	v_cmp_eq_u32_e32 vcc_lo, 13, v127
	s_delay_alu instid0(VALU_DEP_2) | instskip(SKIP_1) | instid1(SALU_CYCLE_1)
	v_dual_mov_b32 v122, s8 :: v_dual_fmac_f32 v126, v128, v135
	s_or_b32 s6, vcc_lo, s6
	s_and_not1_b32 exec_lo, exec_lo, s6
	s_cbranch_execnz .LBB91_329
; %bb.330:
	s_or_b32 exec_lo, exec_lo, s6
.LBB91_331:
	s_delay_alu instid0(SALU_CYCLE_1) | instskip(SKIP_3) | instid1(VALU_DEP_1)
	s_or_b32 exec_lo, exec_lo, s0
	v_and_b32_e32 v62, 7, v123
	s_mov_b32 s2, 0
	s_mov_b32 s0, exec_lo
	v_cmpx_ne_u32_e32 0, v62
	s_cbranch_execz .LBB91_335
; %bb.332:
	v_lshl_add_u32 v63, v122, 2, 0x70
	v_mov_b32_e32 v123, 0
.LBB91_333:                             ; =>This Inner Loop Header: Depth=1
	v_cmp_eq_u32_e32 vcc_lo, 1, v122
	ds_load_b32 v65, v63
	v_dual_add_nc_u32 v62, -1, v62 :: v_dual_add_nc_u32 v63, 4, v63
	v_cndmask_b32_e32 v64, v34, v35, vcc_lo
	v_cmp_eq_u32_e32 vcc_lo, 2, v122
	s_delay_alu instid0(VALU_DEP_2) | instskip(SKIP_1) | instid1(VALU_DEP_2)
	v_cndmask_b32_e32 v64, v64, v36, vcc_lo
	v_cmp_eq_u32_e32 vcc_lo, 3, v122
	v_cndmask_b32_e32 v64, v64, v37, vcc_lo
	v_cmp_eq_u32_e32 vcc_lo, 4, v122
	s_delay_alu instid0(VALU_DEP_2) | instskip(SKIP_1) | instid1(VALU_DEP_2)
	v_cndmask_b32_e32 v64, v64, v38, vcc_lo
	v_cmp_eq_u32_e32 vcc_lo, 5, v122
	;; [unrolled: 5-line block ×12, first 2 shown]
	v_cndmask_b32_e32 v64, v64, v59, vcc_lo
	v_cmp_eq_u32_e32 vcc_lo, 26, v122
	s_delay_alu instid0(VALU_DEP_2) | instskip(SKIP_2) | instid1(VALU_DEP_3)
	v_cndmask_b32_e32 v64, v64, v60, vcc_lo
	v_cmp_eq_u32_e32 vcc_lo, 27, v122
	v_add_nc_u64_e32 v[122:123], 1, v[122:123]
	v_cndmask_b32_e32 v64, v64, v61, vcc_lo
	v_cmp_eq_u32_e32 vcc_lo, 0, v62
	s_wait_dscnt 0x0
	s_delay_alu instid0(VALU_DEP_2) | instskip(SKIP_1) | instid1(SALU_CYCLE_1)
	v_fmac_f32_e32 v126, v64, v65
	s_or_b32 s2, vcc_lo, s2
	s_and_not1_b32 exec_lo, exec_lo, s2
	s_cbranch_execnz .LBB91_333
; %bb.334:
	s_or_b32 exec_lo, exec_lo, s2
.LBB91_335:
	s_delay_alu instid0(SALU_CYCLE_1)
	s_or_b32 exec_lo, exec_lo, s0
.LBB91_336:
	s_delay_alu instid0(SALU_CYCLE_1)
	s_or_b32 exec_lo, exec_lo, s5
	v_mov_b32_e32 v39, 0
	ds_load_b32 v39, v39 offset:20
	s_wait_dscnt 0x0
	v_mul_f32_e32 v39, v126, v39
.LBB91_337:
	s_or_b32 exec_lo, exec_lo, s4
	v_cmp_lt_u32_e64 s0, 4, v0
	ds_store_b32 v125, v38
	s_wait_dscnt 0x0
	s_barrier_signal -1
	s_barrier_wait -1
	s_and_saveexec_b32 s4, s0
	s_cbranch_execz .LBB91_353
; %bb.338:
	s_and_not1_b32 vcc_lo, exec_lo, s33
	s_cbranch_vccnz .LBB91_340
; %bb.339:
	v_cmp_eq_u32_e32 vcc_lo, 1, v0
	ds_load_b32 v123, v125
	v_cndmask_b32_e32 v122, v34, v35, vcc_lo
	v_cmp_eq_u32_e32 vcc_lo, 2, v0
	s_delay_alu instid0(VALU_DEP_2) | instskip(SKIP_1) | instid1(VALU_DEP_2)
	v_cndmask_b32_e32 v122, v122, v36, vcc_lo
	v_cmp_eq_u32_e32 vcc_lo, 3, v0
	v_cndmask_b32_e32 v122, v122, v37, vcc_lo
	v_cmp_eq_u32_e32 vcc_lo, 4, v0
	s_delay_alu instid0(VALU_DEP_2) | instskip(SKIP_1) | instid1(VALU_DEP_2)
	v_cndmask_b32_e32 v122, v122, v38, vcc_lo
	v_cmp_eq_u32_e32 vcc_lo, 5, v0
	;; [unrolled: 5-line block ×13, first 2 shown]
	v_cndmask_b32_e32 v122, v122, v61, vcc_lo
	s_wait_dscnt 0x0
	s_delay_alu instid0(VALU_DEP_1)
	v_mul_f32_e32 v126, v122, v123
	s_cbranch_execz .LBB91_341
	s_branch .LBB91_342
.LBB91_340:
                                        ; implicit-def: $vgpr126
.LBB91_341:
	ds_load_b32 v126, v125
.LBB91_342:
	s_and_saveexec_b32 s5, s1
	s_cbranch_execz .LBB91_352
; %bb.343:
	v_dual_add_nc_u32 v122, -6, v0 :: v_dual_add_nc_u32 v123, -5, v0
	s_delay_alu instid0(VALU_DEP_1)
	v_cmp_lt_u32_e32 vcc_lo, 6, v122
	v_mov_b32_e32 v122, 5
	s_and_saveexec_b32 s1, vcc_lo
	s_cbranch_execz .LBB91_347
; %bb.344:
	v_and_b32_e32 v122, -8, v123
	s_mov_b32 s6, 0
	s_mov_b64 s[2:3], 12
	s_movk_i32 s7, 0x84
	s_delay_alu instid0(VALU_DEP_1)
	v_sub_nc_u32_e32 v124, 0, v122
.LBB91_345:                             ; =>This Inner Loop Header: Depth=1
	s_add_co_i32 m0, s2, -7
	v_movrels_b32_e32 v127, v34
	v_mov_b32_e32 v122, s7
	s_add_co_i32 m0, s2, -6
	s_add_co_i32 s7, s7, 32
	v_movrels_b32_e32 v136, v34
	ds_load_2addr_b32 v[128:129], v122 offset1:1
	ds_load_2addr_b32 v[130:131], v122 offset0:2 offset1:3
	s_add_co_i32 m0, s2, -5
	s_wait_dscnt 0x1
	v_fmac_f32_e32 v126, v127, v128
	ds_load_2addr_b32 v[132:133], v122 offset0:4 offset1:5
	ds_load_2addr_b32 v[134:135], v122 offset0:6 offset1:7
	v_movrels_b32_e32 v122, v34
	s_add_co_i32 m0, s2, -4
	v_fmac_f32_e32 v126, v136, v129
	v_movrels_b32_e32 v127, v34
	s_add_co_i32 m0, s2, -3
	s_wait_dscnt 0x2
	s_delay_alu instid0(VALU_DEP_2) | instskip(SKIP_2) | instid1(VALU_DEP_2)
	v_fmac_f32_e32 v126, v122, v130
	v_movrels_b32_e32 v122, v34
	s_add_co_i32 m0, s2, -2
	v_fmac_f32_e32 v126, v127, v131
	v_movrels_b32_e32 v127, v34
	s_add_co_i32 m0, s2, -1
	s_wait_dscnt 0x1
	s_delay_alu instid0(VALU_DEP_2)
	v_fmac_f32_e32 v126, v122, v132
	v_movrels_b32_e32 v122, v34
	s_mov_b32 m0, s2
	s_add_nc_u64 s[2:3], s[2:3], 8
	v_movrels_b32_e32 v128, v34
	v_dual_fmac_f32 v126, v127, v133 :: v_dual_add_nc_u32 v127, s2, v124
	s_add_co_i32 s8, s2, -7
	s_wait_dscnt 0x0
	s_delay_alu instid0(VALU_DEP_1) | instskip(NEXT) | instid1(VALU_DEP_2)
	v_fmac_f32_e32 v126, v122, v134
	v_cmp_eq_u32_e32 vcc_lo, 12, v127
	s_delay_alu instid0(VALU_DEP_2) | instskip(SKIP_1) | instid1(SALU_CYCLE_1)
	v_dual_mov_b32 v122, s8 :: v_dual_fmac_f32 v126, v128, v135
	s_or_b32 s6, vcc_lo, s6
	s_and_not1_b32 exec_lo, exec_lo, s6
	s_cbranch_execnz .LBB91_345
; %bb.346:
	s_or_b32 exec_lo, exec_lo, s6
.LBB91_347:
	s_delay_alu instid0(SALU_CYCLE_1) | instskip(SKIP_3) | instid1(VALU_DEP_1)
	s_or_b32 exec_lo, exec_lo, s1
	v_and_b32_e32 v62, 7, v123
	s_mov_b32 s2, 0
	s_mov_b32 s1, exec_lo
	v_cmpx_ne_u32_e32 0, v62
	s_cbranch_execz .LBB91_351
; %bb.348:
	v_lshl_add_u32 v63, v122, 2, 0x70
	v_mov_b32_e32 v123, 0
.LBB91_349:                             ; =>This Inner Loop Header: Depth=1
	v_cmp_eq_u32_e32 vcc_lo, 1, v122
	ds_load_b32 v65, v63
	v_dual_add_nc_u32 v62, -1, v62 :: v_dual_add_nc_u32 v63, 4, v63
	v_cndmask_b32_e32 v64, v34, v35, vcc_lo
	v_cmp_eq_u32_e32 vcc_lo, 2, v122
	s_delay_alu instid0(VALU_DEP_2) | instskip(SKIP_1) | instid1(VALU_DEP_2)
	v_cndmask_b32_e32 v64, v64, v36, vcc_lo
	v_cmp_eq_u32_e32 vcc_lo, 3, v122
	v_cndmask_b32_e32 v64, v64, v37, vcc_lo
	v_cmp_eq_u32_e32 vcc_lo, 4, v122
	s_delay_alu instid0(VALU_DEP_2) | instskip(SKIP_1) | instid1(VALU_DEP_2)
	v_cndmask_b32_e32 v64, v64, v38, vcc_lo
	v_cmp_eq_u32_e32 vcc_lo, 5, v122
	;; [unrolled: 5-line block ×12, first 2 shown]
	v_cndmask_b32_e32 v64, v64, v59, vcc_lo
	v_cmp_eq_u32_e32 vcc_lo, 26, v122
	s_delay_alu instid0(VALU_DEP_2) | instskip(SKIP_2) | instid1(VALU_DEP_3)
	v_cndmask_b32_e32 v64, v64, v60, vcc_lo
	v_cmp_eq_u32_e32 vcc_lo, 27, v122
	v_add_nc_u64_e32 v[122:123], 1, v[122:123]
	v_cndmask_b32_e32 v64, v64, v61, vcc_lo
	v_cmp_eq_u32_e32 vcc_lo, 0, v62
	s_wait_dscnt 0x0
	s_delay_alu instid0(VALU_DEP_2) | instskip(SKIP_1) | instid1(SALU_CYCLE_1)
	v_fmac_f32_e32 v126, v64, v65
	s_or_b32 s2, vcc_lo, s2
	s_and_not1_b32 exec_lo, exec_lo, s2
	s_cbranch_execnz .LBB91_349
; %bb.350:
	s_or_b32 exec_lo, exec_lo, s2
.LBB91_351:
	s_delay_alu instid0(SALU_CYCLE_1)
	s_or_b32 exec_lo, exec_lo, s1
.LBB91_352:
	s_delay_alu instid0(SALU_CYCLE_1)
	s_or_b32 exec_lo, exec_lo, s5
	v_mov_b32_e32 v38, 0
	ds_load_b32 v38, v38 offset:16
	s_wait_dscnt 0x0
	v_mul_f32_e32 v38, v126, v38
.LBB91_353:
	s_or_b32 exec_lo, exec_lo, s4
	v_cmp_lt_u32_e64 s1, 3, v0
	ds_store_b32 v125, v37
	s_wait_dscnt 0x0
	s_barrier_signal -1
	s_barrier_wait -1
	s_and_saveexec_b32 s4, s1
	s_cbranch_execz .LBB91_369
; %bb.354:
	s_and_not1_b32 vcc_lo, exec_lo, s33
	s_cbranch_vccnz .LBB91_356
; %bb.355:
	v_cmp_eq_u32_e32 vcc_lo, 1, v0
	ds_load_b32 v123, v125
	v_cndmask_b32_e32 v122, v34, v35, vcc_lo
	v_cmp_eq_u32_e32 vcc_lo, 2, v0
	s_delay_alu instid0(VALU_DEP_2) | instskip(SKIP_1) | instid1(VALU_DEP_2)
	v_cndmask_b32_e32 v122, v122, v36, vcc_lo
	v_cmp_eq_u32_e32 vcc_lo, 3, v0
	v_cndmask_b32_e32 v122, v122, v37, vcc_lo
	v_cmp_eq_u32_e32 vcc_lo, 4, v0
	s_delay_alu instid0(VALU_DEP_2) | instskip(SKIP_1) | instid1(VALU_DEP_2)
	v_cndmask_b32_e32 v122, v122, v38, vcc_lo
	v_cmp_eq_u32_e32 vcc_lo, 5, v0
	;; [unrolled: 5-line block ×13, first 2 shown]
	v_cndmask_b32_e32 v122, v122, v61, vcc_lo
	s_wait_dscnt 0x0
	s_delay_alu instid0(VALU_DEP_1)
	v_mul_f32_e32 v126, v122, v123
	s_cbranch_execz .LBB91_357
	s_branch .LBB91_358
.LBB91_356:
                                        ; implicit-def: $vgpr126
.LBB91_357:
	ds_load_b32 v126, v125
.LBB91_358:
	s_and_saveexec_b32 s5, s0
	s_cbranch_execz .LBB91_368
; %bb.359:
	v_dual_add_nc_u32 v122, -5, v0 :: v_dual_add_nc_u32 v123, -4, v0
	s_delay_alu instid0(VALU_DEP_1)
	v_cmp_lt_u32_e32 vcc_lo, 6, v122
	v_mov_b32_e32 v122, 4
	s_and_saveexec_b32 s0, vcc_lo
	s_cbranch_execz .LBB91_363
; %bb.360:
	v_and_b32_e32 v122, -8, v123
	s_mov_b32 s6, 0
	s_mov_b64 s[2:3], 5
	s_movk_i32 s7, 0x80
	s_delay_alu instid0(VALU_DEP_1)
	v_sub_nc_u32_e32 v124, 0, v122
.LBB91_361:                             ; =>This Inner Loop Header: Depth=1
	s_add_co_i32 m0, s2, -1
	v_movrels_b32_e32 v127, v34
	v_mov_b32_e32 v122, s7
	s_mov_b32 m0, s2
	s_add_co_i32 s7, s7, 32
	v_movrels_b32_e32 v136, v34
	s_add_co_i32 m0, s2, 1
	ds_load_b128 v[128:131], v122
	ds_load_b128 v[132:135], v122 offset:16
	v_movrels_b32_e32 v122, v34
	s_add_co_i32 m0, s2, 2
	s_wait_dscnt 0x1
	v_fmac_f32_e32 v126, v127, v128
	v_movrels_b32_e32 v127, v34
	s_add_co_i32 m0, s2, 3
	s_delay_alu instid0(VALU_DEP_2) | instskip(NEXT) | instid1(VALU_DEP_1)
	v_fmac_f32_e32 v126, v136, v129
	v_fmac_f32_e32 v126, v122, v130
	v_movrels_b32_e32 v122, v34
	s_add_co_i32 m0, s2, 4
	s_delay_alu instid0(VALU_DEP_2) | instskip(SKIP_3) | instid1(VALU_DEP_2)
	v_fmac_f32_e32 v126, v127, v131
	v_movrels_b32_e32 v127, v34
	s_add_co_i32 m0, s2, 5
	s_wait_dscnt 0x0
	v_fmac_f32_e32 v126, v122, v132
	v_movrels_b32_e32 v122, v34
	s_add_co_i32 m0, s2, 6
	s_add_nc_u64 s[2:3], s[2:3], 8
	v_movrels_b32_e32 v128, v34
	v_dual_fmac_f32 v126, v127, v133 :: v_dual_add_nc_u32 v127, s2, v124
	s_add_co_i32 s8, s2, -1
	s_delay_alu instid0(VALU_DEP_1) | instskip(NEXT) | instid1(VALU_DEP_2)
	v_fmac_f32_e32 v126, v122, v134
	v_cmp_eq_u32_e32 vcc_lo, 5, v127
	s_delay_alu instid0(VALU_DEP_2) | instskip(SKIP_1) | instid1(SALU_CYCLE_1)
	v_dual_mov_b32 v122, s8 :: v_dual_fmac_f32 v126, v128, v135
	s_or_b32 s6, vcc_lo, s6
	s_and_not1_b32 exec_lo, exec_lo, s6
	s_cbranch_execnz .LBB91_361
; %bb.362:
	s_or_b32 exec_lo, exec_lo, s6
.LBB91_363:
	s_delay_alu instid0(SALU_CYCLE_1) | instskip(SKIP_3) | instid1(VALU_DEP_1)
	s_or_b32 exec_lo, exec_lo, s0
	v_and_b32_e32 v62, 7, v123
	s_mov_b32 s2, 0
	s_mov_b32 s0, exec_lo
	v_cmpx_ne_u32_e32 0, v62
	s_cbranch_execz .LBB91_367
; %bb.364:
	v_lshl_add_u32 v63, v122, 2, 0x70
	v_mov_b32_e32 v123, 0
.LBB91_365:                             ; =>This Inner Loop Header: Depth=1
	v_cmp_eq_u32_e32 vcc_lo, 1, v122
	ds_load_b32 v65, v63
	v_dual_add_nc_u32 v62, -1, v62 :: v_dual_add_nc_u32 v63, 4, v63
	v_cndmask_b32_e32 v64, v34, v35, vcc_lo
	v_cmp_eq_u32_e32 vcc_lo, 2, v122
	s_delay_alu instid0(VALU_DEP_2) | instskip(SKIP_1) | instid1(VALU_DEP_2)
	v_cndmask_b32_e32 v64, v64, v36, vcc_lo
	v_cmp_eq_u32_e32 vcc_lo, 3, v122
	v_cndmask_b32_e32 v64, v64, v37, vcc_lo
	v_cmp_eq_u32_e32 vcc_lo, 4, v122
	s_delay_alu instid0(VALU_DEP_2) | instskip(SKIP_1) | instid1(VALU_DEP_2)
	v_cndmask_b32_e32 v64, v64, v38, vcc_lo
	v_cmp_eq_u32_e32 vcc_lo, 5, v122
	v_cndmask_b32_e32 v64, v64, v39, vcc_lo
	v_cmp_eq_u32_e32 vcc_lo, 6, v122
	s_delay_alu instid0(VALU_DEP_2) | instskip(SKIP_1) | instid1(VALU_DEP_2)
	v_cndmask_b32_e32 v64, v64, v40, vcc_lo
	v_cmp_eq_u32_e32 vcc_lo, 7, v122
	v_cndmask_b32_e32 v64, v64, v41, vcc_lo
	v_cmp_eq_u32_e32 vcc_lo, 8, v122
	s_delay_alu instid0(VALU_DEP_2) | instskip(SKIP_1) | instid1(VALU_DEP_2)
	v_cndmask_b32_e32 v64, v64, v42, vcc_lo
	v_cmp_eq_u32_e32 vcc_lo, 9, v122
	v_cndmask_b32_e32 v64, v64, v43, vcc_lo
	v_cmp_eq_u32_e32 vcc_lo, 10, v122
	s_delay_alu instid0(VALU_DEP_2) | instskip(SKIP_1) | instid1(VALU_DEP_2)
	v_cndmask_b32_e32 v64, v64, v44, vcc_lo
	v_cmp_eq_u32_e32 vcc_lo, 11, v122
	v_cndmask_b32_e32 v64, v64, v45, vcc_lo
	v_cmp_eq_u32_e32 vcc_lo, 12, v122
	s_delay_alu instid0(VALU_DEP_2) | instskip(SKIP_1) | instid1(VALU_DEP_2)
	v_cndmask_b32_e32 v64, v64, v46, vcc_lo
	v_cmp_eq_u32_e32 vcc_lo, 13, v122
	v_cndmask_b32_e32 v64, v64, v47, vcc_lo
	v_cmp_eq_u32_e32 vcc_lo, 14, v122
	s_delay_alu instid0(VALU_DEP_2) | instskip(SKIP_1) | instid1(VALU_DEP_2)
	v_cndmask_b32_e32 v64, v64, v48, vcc_lo
	v_cmp_eq_u32_e32 vcc_lo, 15, v122
	v_cndmask_b32_e32 v64, v64, v49, vcc_lo
	v_cmp_eq_u32_e32 vcc_lo, 16, v122
	s_delay_alu instid0(VALU_DEP_2) | instskip(SKIP_1) | instid1(VALU_DEP_2)
	v_cndmask_b32_e32 v64, v64, v50, vcc_lo
	v_cmp_eq_u32_e32 vcc_lo, 17, v122
	v_cndmask_b32_e32 v64, v64, v51, vcc_lo
	v_cmp_eq_u32_e32 vcc_lo, 18, v122
	s_delay_alu instid0(VALU_DEP_2) | instskip(SKIP_1) | instid1(VALU_DEP_2)
	v_cndmask_b32_e32 v64, v64, v52, vcc_lo
	v_cmp_eq_u32_e32 vcc_lo, 19, v122
	v_cndmask_b32_e32 v64, v64, v53, vcc_lo
	v_cmp_eq_u32_e32 vcc_lo, 20, v122
	s_delay_alu instid0(VALU_DEP_2) | instskip(SKIP_1) | instid1(VALU_DEP_2)
	v_cndmask_b32_e32 v64, v64, v54, vcc_lo
	v_cmp_eq_u32_e32 vcc_lo, 21, v122
	v_cndmask_b32_e32 v64, v64, v55, vcc_lo
	v_cmp_eq_u32_e32 vcc_lo, 22, v122
	s_delay_alu instid0(VALU_DEP_2) | instskip(SKIP_1) | instid1(VALU_DEP_2)
	v_cndmask_b32_e32 v64, v64, v56, vcc_lo
	v_cmp_eq_u32_e32 vcc_lo, 23, v122
	v_cndmask_b32_e32 v64, v64, v57, vcc_lo
	v_cmp_eq_u32_e32 vcc_lo, 24, v122
	s_delay_alu instid0(VALU_DEP_2) | instskip(SKIP_1) | instid1(VALU_DEP_2)
	v_cndmask_b32_e32 v64, v64, v58, vcc_lo
	v_cmp_eq_u32_e32 vcc_lo, 25, v122
	v_cndmask_b32_e32 v64, v64, v59, vcc_lo
	v_cmp_eq_u32_e32 vcc_lo, 26, v122
	s_delay_alu instid0(VALU_DEP_2) | instskip(SKIP_2) | instid1(VALU_DEP_3)
	v_cndmask_b32_e32 v64, v64, v60, vcc_lo
	v_cmp_eq_u32_e32 vcc_lo, 27, v122
	v_add_nc_u64_e32 v[122:123], 1, v[122:123]
	v_cndmask_b32_e32 v64, v64, v61, vcc_lo
	v_cmp_eq_u32_e32 vcc_lo, 0, v62
	s_wait_dscnt 0x0
	s_delay_alu instid0(VALU_DEP_2) | instskip(SKIP_1) | instid1(SALU_CYCLE_1)
	v_fmac_f32_e32 v126, v64, v65
	s_or_b32 s2, vcc_lo, s2
	s_and_not1_b32 exec_lo, exec_lo, s2
	s_cbranch_execnz .LBB91_365
; %bb.366:
	s_or_b32 exec_lo, exec_lo, s2
.LBB91_367:
	s_delay_alu instid0(SALU_CYCLE_1)
	s_or_b32 exec_lo, exec_lo, s0
.LBB91_368:
	s_delay_alu instid0(SALU_CYCLE_1)
	s_or_b32 exec_lo, exec_lo, s5
	v_mov_b32_e32 v37, 0
	ds_load_b32 v37, v37 offset:12
	s_wait_dscnt 0x0
	v_mul_f32_e32 v37, v126, v37
.LBB91_369:
	s_or_b32 exec_lo, exec_lo, s4
	v_cmp_lt_u32_e64 s0, 2, v0
	ds_store_b32 v125, v36
	s_wait_dscnt 0x0
	s_barrier_signal -1
	s_barrier_wait -1
	s_and_saveexec_b32 s4, s0
	s_cbranch_execz .LBB91_385
; %bb.370:
	s_and_not1_b32 vcc_lo, exec_lo, s33
	s_cbranch_vccnz .LBB91_372
; %bb.371:
	v_cmp_eq_u32_e32 vcc_lo, 1, v0
	ds_load_b32 v123, v125
	v_cndmask_b32_e32 v122, v34, v35, vcc_lo
	v_cmp_eq_u32_e32 vcc_lo, 2, v0
	s_delay_alu instid0(VALU_DEP_2) | instskip(SKIP_1) | instid1(VALU_DEP_2)
	v_cndmask_b32_e32 v122, v122, v36, vcc_lo
	v_cmp_eq_u32_e32 vcc_lo, 3, v0
	v_cndmask_b32_e32 v122, v122, v37, vcc_lo
	v_cmp_eq_u32_e32 vcc_lo, 4, v0
	s_delay_alu instid0(VALU_DEP_2) | instskip(SKIP_1) | instid1(VALU_DEP_2)
	v_cndmask_b32_e32 v122, v122, v38, vcc_lo
	v_cmp_eq_u32_e32 vcc_lo, 5, v0
	;; [unrolled: 5-line block ×13, first 2 shown]
	v_cndmask_b32_e32 v122, v122, v61, vcc_lo
	s_wait_dscnt 0x0
	s_delay_alu instid0(VALU_DEP_1)
	v_mul_f32_e32 v126, v122, v123
	s_cbranch_execz .LBB91_373
	s_branch .LBB91_374
.LBB91_372:
                                        ; implicit-def: $vgpr126
.LBB91_373:
	ds_load_b32 v126, v125
.LBB91_374:
	s_and_saveexec_b32 s5, s1
	s_cbranch_execz .LBB91_384
; %bb.375:
	v_dual_add_nc_u32 v122, -4, v0 :: v_dual_add_nc_u32 v123, -3, v0
	s_delay_alu instid0(VALU_DEP_1)
	v_cmp_lt_u32_e32 vcc_lo, 6, v122
	v_mov_b32_e32 v122, 3
	s_and_saveexec_b32 s1, vcc_lo
	s_cbranch_execz .LBB91_379
; %bb.376:
	v_and_b32_e32 v122, -8, v123
	s_mov_b32 s6, 0
	s_mov_b64 s[2:3], 10
	s_movk_i32 s7, 0x7c
	s_delay_alu instid0(VALU_DEP_1)
	v_sub_nc_u32_e32 v124, 0, v122
.LBB91_377:                             ; =>This Inner Loop Header: Depth=1
	s_add_co_i32 m0, s2, -7
	v_movrels_b32_e32 v127, v34
	v_mov_b32_e32 v122, s7
	s_add_co_i32 m0, s2, -6
	s_add_co_i32 s7, s7, 32
	v_movrels_b32_e32 v136, v34
	ds_load_2addr_b32 v[128:129], v122 offset1:1
	ds_load_2addr_b32 v[130:131], v122 offset0:2 offset1:3
	s_add_co_i32 m0, s2, -5
	s_wait_dscnt 0x1
	v_fmac_f32_e32 v126, v127, v128
	ds_load_2addr_b32 v[132:133], v122 offset0:4 offset1:5
	ds_load_2addr_b32 v[134:135], v122 offset0:6 offset1:7
	v_movrels_b32_e32 v122, v34
	s_add_co_i32 m0, s2, -4
	v_fmac_f32_e32 v126, v136, v129
	v_movrels_b32_e32 v127, v34
	s_add_co_i32 m0, s2, -3
	s_wait_dscnt 0x2
	s_delay_alu instid0(VALU_DEP_2) | instskip(SKIP_2) | instid1(VALU_DEP_2)
	v_fmac_f32_e32 v126, v122, v130
	v_movrels_b32_e32 v122, v34
	s_add_co_i32 m0, s2, -2
	v_fmac_f32_e32 v126, v127, v131
	v_movrels_b32_e32 v127, v34
	s_add_co_i32 m0, s2, -1
	s_wait_dscnt 0x1
	s_delay_alu instid0(VALU_DEP_2)
	v_fmac_f32_e32 v126, v122, v132
	v_movrels_b32_e32 v122, v34
	s_mov_b32 m0, s2
	s_add_nc_u64 s[2:3], s[2:3], 8
	v_movrels_b32_e32 v128, v34
	v_dual_fmac_f32 v126, v127, v133 :: v_dual_add_nc_u32 v127, s2, v124
	s_add_co_i32 s8, s2, -7
	s_wait_dscnt 0x0
	s_delay_alu instid0(VALU_DEP_1) | instskip(NEXT) | instid1(VALU_DEP_2)
	v_fmac_f32_e32 v126, v122, v134
	v_cmp_eq_u32_e32 vcc_lo, 10, v127
	s_delay_alu instid0(VALU_DEP_2) | instskip(SKIP_1) | instid1(SALU_CYCLE_1)
	v_dual_mov_b32 v122, s8 :: v_dual_fmac_f32 v126, v128, v135
	s_or_b32 s6, vcc_lo, s6
	s_and_not1_b32 exec_lo, exec_lo, s6
	s_cbranch_execnz .LBB91_377
; %bb.378:
	s_or_b32 exec_lo, exec_lo, s6
.LBB91_379:
	s_delay_alu instid0(SALU_CYCLE_1) | instskip(SKIP_3) | instid1(VALU_DEP_1)
	s_or_b32 exec_lo, exec_lo, s1
	v_and_b32_e32 v62, 7, v123
	s_mov_b32 s2, 0
	s_mov_b32 s1, exec_lo
	v_cmpx_ne_u32_e32 0, v62
	s_cbranch_execz .LBB91_383
; %bb.380:
	v_lshl_add_u32 v63, v122, 2, 0x70
	v_mov_b32_e32 v123, 0
.LBB91_381:                             ; =>This Inner Loop Header: Depth=1
	v_cmp_eq_u32_e32 vcc_lo, 1, v122
	ds_load_b32 v65, v63
	v_dual_add_nc_u32 v62, -1, v62 :: v_dual_add_nc_u32 v63, 4, v63
	v_cndmask_b32_e32 v64, v34, v35, vcc_lo
	v_cmp_eq_u32_e32 vcc_lo, 2, v122
	s_delay_alu instid0(VALU_DEP_2) | instskip(SKIP_1) | instid1(VALU_DEP_2)
	v_cndmask_b32_e32 v64, v64, v36, vcc_lo
	v_cmp_eq_u32_e32 vcc_lo, 3, v122
	v_cndmask_b32_e32 v64, v64, v37, vcc_lo
	v_cmp_eq_u32_e32 vcc_lo, 4, v122
	s_delay_alu instid0(VALU_DEP_2) | instskip(SKIP_1) | instid1(VALU_DEP_2)
	v_cndmask_b32_e32 v64, v64, v38, vcc_lo
	v_cmp_eq_u32_e32 vcc_lo, 5, v122
	;; [unrolled: 5-line block ×12, first 2 shown]
	v_cndmask_b32_e32 v64, v64, v59, vcc_lo
	v_cmp_eq_u32_e32 vcc_lo, 26, v122
	s_delay_alu instid0(VALU_DEP_2) | instskip(SKIP_2) | instid1(VALU_DEP_3)
	v_cndmask_b32_e32 v64, v64, v60, vcc_lo
	v_cmp_eq_u32_e32 vcc_lo, 27, v122
	v_add_nc_u64_e32 v[122:123], 1, v[122:123]
	v_cndmask_b32_e32 v64, v64, v61, vcc_lo
	v_cmp_eq_u32_e32 vcc_lo, 0, v62
	s_wait_dscnt 0x0
	s_delay_alu instid0(VALU_DEP_2) | instskip(SKIP_1) | instid1(SALU_CYCLE_1)
	v_fmac_f32_e32 v126, v64, v65
	s_or_b32 s2, vcc_lo, s2
	s_and_not1_b32 exec_lo, exec_lo, s2
	s_cbranch_execnz .LBB91_381
; %bb.382:
	s_or_b32 exec_lo, exec_lo, s2
.LBB91_383:
	s_delay_alu instid0(SALU_CYCLE_1)
	s_or_b32 exec_lo, exec_lo, s1
.LBB91_384:
	s_delay_alu instid0(SALU_CYCLE_1)
	s_or_b32 exec_lo, exec_lo, s5
	v_mov_b32_e32 v36, 0
	ds_load_b32 v36, v36 offset:8
	s_wait_dscnt 0x0
	v_mul_f32_e32 v36, v126, v36
.LBB91_385:
	s_or_b32 exec_lo, exec_lo, s4
	v_cmp_lt_u32_e64 s1, 1, v0
	ds_store_b32 v125, v35
	s_wait_dscnt 0x0
	s_barrier_signal -1
	s_barrier_wait -1
	s_and_saveexec_b32 s4, s1
	s_cbranch_execz .LBB91_401
; %bb.386:
	s_and_not1_b32 vcc_lo, exec_lo, s33
	s_cbranch_vccnz .LBB91_388
; %bb.387:
	v_cmp_eq_u32_e32 vcc_lo, 1, v0
	ds_load_b32 v123, v125
	v_cndmask_b32_e32 v122, v34, v35, vcc_lo
	v_cmp_eq_u32_e32 vcc_lo, 2, v0
	s_delay_alu instid0(VALU_DEP_2) | instskip(SKIP_1) | instid1(VALU_DEP_2)
	v_cndmask_b32_e32 v122, v122, v36, vcc_lo
	v_cmp_eq_u32_e32 vcc_lo, 3, v0
	v_cndmask_b32_e32 v122, v122, v37, vcc_lo
	v_cmp_eq_u32_e32 vcc_lo, 4, v0
	s_delay_alu instid0(VALU_DEP_2) | instskip(SKIP_1) | instid1(VALU_DEP_2)
	v_cndmask_b32_e32 v122, v122, v38, vcc_lo
	v_cmp_eq_u32_e32 vcc_lo, 5, v0
	;; [unrolled: 5-line block ×13, first 2 shown]
	v_cndmask_b32_e32 v122, v122, v61, vcc_lo
	s_wait_dscnt 0x0
	s_delay_alu instid0(VALU_DEP_1)
	v_mul_f32_e32 v126, v122, v123
	s_cbranch_execz .LBB91_389
	s_branch .LBB91_390
.LBB91_388:
                                        ; implicit-def: $vgpr126
.LBB91_389:
	ds_load_b32 v126, v125
.LBB91_390:
	s_and_saveexec_b32 s5, s0
	s_cbranch_execz .LBB91_400
; %bb.391:
	v_dual_add_nc_u32 v122, -3, v0 :: v_dual_add_nc_u32 v123, -2, v0
	s_delay_alu instid0(VALU_DEP_1)
	v_cmp_lt_u32_e32 vcc_lo, 6, v122
	v_mov_b32_e32 v122, 2
	s_and_saveexec_b32 s0, vcc_lo
	s_cbranch_execz .LBB91_395
; %bb.392:
	v_and_b32_e32 v122, -8, v123
	s_mov_b32 s6, 0
	s_mov_b64 s[2:3], 9
	s_movk_i32 s7, 0x78
	s_delay_alu instid0(VALU_DEP_1)
	v_sub_nc_u32_e32 v124, 0, v122
.LBB91_393:                             ; =>This Inner Loop Header: Depth=1
	s_add_co_i32 m0, s2, -7
	v_movrels_b32_e32 v127, v34
	v_mov_b32_e32 v122, s7
	s_add_co_i32 m0, s2, -6
	s_add_co_i32 s7, s7, 32
	v_movrels_b32_e32 v136, v34
	s_add_co_i32 m0, s2, -5
	ds_load_2addr_b64 v[128:131], v122 offset1:1
	ds_load_2addr_b64 v[132:135], v122 offset0:2 offset1:3
	v_movrels_b32_e32 v122, v34
	s_add_co_i32 m0, s2, -4
	s_wait_dscnt 0x1
	v_fmac_f32_e32 v126, v127, v128
	v_movrels_b32_e32 v127, v34
	s_add_co_i32 m0, s2, -3
	s_delay_alu instid0(VALU_DEP_2) | instskip(NEXT) | instid1(VALU_DEP_1)
	v_fmac_f32_e32 v126, v136, v129
	v_fmac_f32_e32 v126, v122, v130
	v_movrels_b32_e32 v122, v34
	s_add_co_i32 m0, s2, -2
	s_delay_alu instid0(VALU_DEP_2) | instskip(SKIP_3) | instid1(VALU_DEP_2)
	v_fmac_f32_e32 v126, v127, v131
	v_movrels_b32_e32 v127, v34
	s_add_co_i32 m0, s2, -1
	s_wait_dscnt 0x0
	v_fmac_f32_e32 v126, v122, v132
	v_movrels_b32_e32 v122, v34
	s_mov_b32 m0, s2
	s_add_nc_u64 s[2:3], s[2:3], 8
	v_movrels_b32_e32 v128, v34
	v_dual_fmac_f32 v126, v127, v133 :: v_dual_add_nc_u32 v127, s2, v124
	s_add_co_i32 s8, s2, -7
	s_delay_alu instid0(VALU_DEP_1) | instskip(NEXT) | instid1(VALU_DEP_2)
	v_fmac_f32_e32 v126, v122, v134
	v_cmp_eq_u32_e32 vcc_lo, 9, v127
	s_delay_alu instid0(VALU_DEP_2) | instskip(SKIP_1) | instid1(SALU_CYCLE_1)
	v_dual_mov_b32 v122, s8 :: v_dual_fmac_f32 v126, v128, v135
	s_or_b32 s6, vcc_lo, s6
	s_and_not1_b32 exec_lo, exec_lo, s6
	s_cbranch_execnz .LBB91_393
; %bb.394:
	s_or_b32 exec_lo, exec_lo, s6
.LBB91_395:
	s_delay_alu instid0(SALU_CYCLE_1) | instskip(SKIP_3) | instid1(VALU_DEP_1)
	s_or_b32 exec_lo, exec_lo, s0
	v_and_b32_e32 v62, 7, v123
	s_mov_b32 s2, 0
	s_mov_b32 s0, exec_lo
	v_cmpx_ne_u32_e32 0, v62
	s_cbranch_execz .LBB91_399
; %bb.396:
	v_lshl_add_u32 v63, v122, 2, 0x70
	v_mov_b32_e32 v123, 0
.LBB91_397:                             ; =>This Inner Loop Header: Depth=1
	v_cmp_eq_u32_e32 vcc_lo, 1, v122
	ds_load_b32 v65, v63
	v_dual_add_nc_u32 v62, -1, v62 :: v_dual_add_nc_u32 v63, 4, v63
	v_cndmask_b32_e32 v64, v34, v35, vcc_lo
	v_cmp_eq_u32_e32 vcc_lo, 2, v122
	s_delay_alu instid0(VALU_DEP_2) | instskip(SKIP_1) | instid1(VALU_DEP_2)
	v_cndmask_b32_e32 v64, v64, v36, vcc_lo
	v_cmp_eq_u32_e32 vcc_lo, 3, v122
	v_cndmask_b32_e32 v64, v64, v37, vcc_lo
	v_cmp_eq_u32_e32 vcc_lo, 4, v122
	s_delay_alu instid0(VALU_DEP_2) | instskip(SKIP_1) | instid1(VALU_DEP_2)
	v_cndmask_b32_e32 v64, v64, v38, vcc_lo
	v_cmp_eq_u32_e32 vcc_lo, 5, v122
	;; [unrolled: 5-line block ×12, first 2 shown]
	v_cndmask_b32_e32 v64, v64, v59, vcc_lo
	v_cmp_eq_u32_e32 vcc_lo, 26, v122
	s_delay_alu instid0(VALU_DEP_2) | instskip(SKIP_2) | instid1(VALU_DEP_3)
	v_cndmask_b32_e32 v64, v64, v60, vcc_lo
	v_cmp_eq_u32_e32 vcc_lo, 27, v122
	v_add_nc_u64_e32 v[122:123], 1, v[122:123]
	v_cndmask_b32_e32 v64, v64, v61, vcc_lo
	v_cmp_eq_u32_e32 vcc_lo, 0, v62
	s_wait_dscnt 0x0
	s_delay_alu instid0(VALU_DEP_2) | instskip(SKIP_1) | instid1(SALU_CYCLE_1)
	v_fmac_f32_e32 v126, v64, v65
	s_or_b32 s2, vcc_lo, s2
	s_and_not1_b32 exec_lo, exec_lo, s2
	s_cbranch_execnz .LBB91_397
; %bb.398:
	s_or_b32 exec_lo, exec_lo, s2
.LBB91_399:
	s_delay_alu instid0(SALU_CYCLE_1)
	s_or_b32 exec_lo, exec_lo, s0
.LBB91_400:
	s_delay_alu instid0(SALU_CYCLE_1)
	s_or_b32 exec_lo, exec_lo, s5
	v_mov_b32_e32 v35, 0
	ds_load_b32 v35, v35 offset:4
	s_wait_dscnt 0x0
	v_mul_f32_e32 v35, v126, v35
.LBB91_401:
	s_or_b32 exec_lo, exec_lo, s4
	s_mov_b32 s2, 0
	s_mov_b32 s3, exec_lo
	ds_store_b32 v125, v34
	s_wait_dscnt 0x0
	s_barrier_signal -1
	s_barrier_wait -1
	v_cmpx_ne_u32_e32 0, v0
	s_cbranch_execz .LBB91_417
; %bb.402:
	s_and_not1_b32 vcc_lo, exec_lo, s33
	s_cbranch_vccnz .LBB91_404
; %bb.403:
	v_cmp_eq_u32_e32 vcc_lo, 1, v0
	ds_load_b32 v123, v125
	v_cndmask_b32_e32 v122, v34, v35, vcc_lo
	v_cmp_eq_u32_e32 vcc_lo, 2, v0
	s_delay_alu instid0(VALU_DEP_2) | instskip(SKIP_1) | instid1(VALU_DEP_2)
	v_cndmask_b32_e32 v122, v122, v36, vcc_lo
	v_cmp_eq_u32_e32 vcc_lo, 3, v0
	v_cndmask_b32_e32 v122, v122, v37, vcc_lo
	v_cmp_eq_u32_e32 vcc_lo, 4, v0
	s_delay_alu instid0(VALU_DEP_2) | instskip(SKIP_1) | instid1(VALU_DEP_2)
	v_cndmask_b32_e32 v122, v122, v38, vcc_lo
	v_cmp_eq_u32_e32 vcc_lo, 5, v0
	;; [unrolled: 5-line block ×13, first 2 shown]
	v_cndmask_b32_e32 v122, v122, v61, vcc_lo
	s_wait_dscnt 0x0
	s_delay_alu instid0(VALU_DEP_1)
	v_mul_f32_e32 v126, v122, v123
	s_cbranch_execz .LBB91_405
	s_branch .LBB91_406
.LBB91_404:
                                        ; implicit-def: $vgpr126
.LBB91_405:
	ds_load_b32 v126, v125
.LBB91_406:
	s_and_saveexec_b32 s4, s1
	s_cbranch_execz .LBB91_416
; %bb.407:
	v_dual_add_nc_u32 v122, -2, v0 :: v_dual_add_nc_u32 v123, -1, v0
	s_delay_alu instid0(VALU_DEP_1)
	v_cmp_lt_u32_e32 vcc_lo, 6, v122
	v_mov_b32_e32 v122, 1
	s_and_saveexec_b32 s5, vcc_lo
	s_cbranch_execz .LBB91_411
; %bb.408:
	v_and_b32_e32 v122, -8, v123
	s_mov_b32 s6, 0
	s_mov_b64 s[0:1], 8
	s_movk_i32 s7, 0x74
	s_delay_alu instid0(VALU_DEP_1)
	v_sub_nc_u32_e32 v124, 0, v122
.LBB91_409:                             ; =>This Inner Loop Header: Depth=1
	s_add_co_i32 m0, s0, -7
	v_movrels_b32_e32 v127, v34
	v_mov_b32_e32 v122, s7
	s_add_co_i32 m0, s0, -6
	s_add_co_i32 s7, s7, 32
	v_movrels_b32_e32 v136, v34
	ds_load_2addr_b32 v[128:129], v122 offset1:1
	ds_load_2addr_b32 v[130:131], v122 offset0:2 offset1:3
	s_add_co_i32 m0, s0, -5
	s_wait_dscnt 0x1
	v_fmac_f32_e32 v126, v127, v128
	ds_load_2addr_b32 v[132:133], v122 offset0:4 offset1:5
	ds_load_2addr_b32 v[134:135], v122 offset0:6 offset1:7
	v_movrels_b32_e32 v122, v34
	s_add_co_i32 m0, s0, -4
	v_fmac_f32_e32 v126, v136, v129
	v_movrels_b32_e32 v127, v34
	s_add_co_i32 m0, s0, -3
	s_wait_dscnt 0x2
	s_delay_alu instid0(VALU_DEP_2) | instskip(SKIP_2) | instid1(VALU_DEP_2)
	v_fmac_f32_e32 v126, v122, v130
	v_movrels_b32_e32 v122, v34
	s_add_co_i32 m0, s0, -2
	v_fmac_f32_e32 v126, v127, v131
	v_movrels_b32_e32 v127, v34
	s_add_co_i32 m0, s0, -1
	s_wait_dscnt 0x1
	s_delay_alu instid0(VALU_DEP_2)
	v_fmac_f32_e32 v126, v122, v132
	v_movrels_b32_e32 v122, v34
	s_mov_b32 m0, s0
	s_add_nc_u64 s[0:1], s[0:1], 8
	v_movrels_b32_e32 v128, v34
	v_dual_fmac_f32 v126, v127, v133 :: v_dual_add_nc_u32 v127, s0, v124
	s_add_co_i32 s8, s0, -7
	s_wait_dscnt 0x0
	s_delay_alu instid0(VALU_DEP_1) | instskip(NEXT) | instid1(VALU_DEP_2)
	v_fmac_f32_e32 v126, v122, v134
	v_cmp_eq_u32_e32 vcc_lo, 8, v127
	s_delay_alu instid0(VALU_DEP_2) | instskip(SKIP_1) | instid1(SALU_CYCLE_1)
	v_dual_mov_b32 v122, s8 :: v_dual_fmac_f32 v126, v128, v135
	s_or_b32 s6, vcc_lo, s6
	s_and_not1_b32 exec_lo, exec_lo, s6
	s_cbranch_execnz .LBB91_409
; %bb.410:
	s_or_b32 exec_lo, exec_lo, s6
.LBB91_411:
	s_delay_alu instid0(SALU_CYCLE_1) | instskip(SKIP_3) | instid1(VALU_DEP_1)
	s_or_b32 exec_lo, exec_lo, s5
	v_and_b32_e32 v62, 7, v123
	s_mov_b32 s1, 0
	s_mov_b32 s0, exec_lo
	v_cmpx_ne_u32_e32 0, v62
	s_cbranch_execz .LBB91_415
; %bb.412:
	v_lshl_add_u32 v63, v122, 2, 0x70
	v_mov_b32_e32 v123, 0
.LBB91_413:                             ; =>This Inner Loop Header: Depth=1
	v_cmp_eq_u32_e32 vcc_lo, 1, v122
	ds_load_b32 v65, v63
	v_dual_add_nc_u32 v62, -1, v62 :: v_dual_add_nc_u32 v63, 4, v63
	v_cndmask_b32_e32 v64, v34, v35, vcc_lo
	v_cmp_eq_u32_e32 vcc_lo, 2, v122
	s_delay_alu instid0(VALU_DEP_2) | instskip(SKIP_1) | instid1(VALU_DEP_2)
	v_cndmask_b32_e32 v64, v64, v36, vcc_lo
	v_cmp_eq_u32_e32 vcc_lo, 3, v122
	v_cndmask_b32_e32 v64, v64, v37, vcc_lo
	v_cmp_eq_u32_e32 vcc_lo, 4, v122
	s_delay_alu instid0(VALU_DEP_2) | instskip(SKIP_1) | instid1(VALU_DEP_2)
	v_cndmask_b32_e32 v64, v64, v38, vcc_lo
	v_cmp_eq_u32_e32 vcc_lo, 5, v122
	;; [unrolled: 5-line block ×12, first 2 shown]
	v_cndmask_b32_e32 v64, v64, v59, vcc_lo
	v_cmp_eq_u32_e32 vcc_lo, 26, v122
	s_delay_alu instid0(VALU_DEP_2) | instskip(SKIP_2) | instid1(VALU_DEP_3)
	v_cndmask_b32_e32 v64, v64, v60, vcc_lo
	v_cmp_eq_u32_e32 vcc_lo, 27, v122
	v_add_nc_u64_e32 v[122:123], 1, v[122:123]
	v_cndmask_b32_e32 v64, v64, v61, vcc_lo
	v_cmp_eq_u32_e32 vcc_lo, 0, v62
	s_wait_dscnt 0x0
	s_delay_alu instid0(VALU_DEP_2) | instskip(SKIP_1) | instid1(SALU_CYCLE_1)
	v_fmac_f32_e32 v126, v64, v65
	s_or_b32 s1, vcc_lo, s1
	s_and_not1_b32 exec_lo, exec_lo, s1
	s_cbranch_execnz .LBB91_413
; %bb.414:
	s_or_b32 exec_lo, exec_lo, s1
.LBB91_415:
	s_delay_alu instid0(SALU_CYCLE_1)
	s_or_b32 exec_lo, exec_lo, s0
.LBB91_416:
	s_delay_alu instid0(SALU_CYCLE_1)
	s_or_b32 exec_lo, exec_lo, s4
	v_mov_b32_e32 v34, 0
	ds_load_b32 v34, v34
	s_wait_dscnt 0x0
	v_mul_f32_e32 v34, v126, v34
.LBB91_417:
	s_or_b32 exec_lo, exec_lo, s3
	s_delay_alu instid0(SALU_CYCLE_1)
	s_and_b32 vcc_lo, exec_lo, s2
	s_cbranch_vccz .LBB91_691
.LBB91_418:
	v_cmp_eq_u32_e64 s0, 0, v0
	s_wait_loadcnt_dscnt 0x1b1c
	ds_store_b32 v125, v3
	s_wait_loadcnt_dscnt 0x0
	s_barrier_signal -1
	s_barrier_wait -1
	s_and_saveexec_b32 s1, s0
	s_cbranch_execz .LBB91_424
; %bb.419:
	s_and_b32 vcc_lo, exec_lo, s33
	s_cbranch_vccz .LBB91_421
; %bb.420:
	v_cmp_eq_u32_e32 vcc_lo, 1, v0
	ds_load_b32 v30, v125
	v_cndmask_b32_e32 v3, v2, v3, vcc_lo
	v_cmp_eq_u32_e32 vcc_lo, 2, v0
	s_delay_alu instid0(VALU_DEP_2) | instskip(SKIP_1) | instid1(VALU_DEP_2)
	v_cndmask_b32_e32 v3, v3, v4, vcc_lo
	v_cmp_eq_u32_e32 vcc_lo, 3, v0
	v_cndmask_b32_e32 v3, v3, v5, vcc_lo
	v_cmp_eq_u32_e32 vcc_lo, 4, v0
	s_delay_alu instid0(VALU_DEP_2) | instskip(SKIP_1) | instid1(VALU_DEP_2)
	v_cndmask_b32_e32 v3, v3, v6, vcc_lo
	v_cmp_eq_u32_e32 vcc_lo, 5, v0
	;; [unrolled: 5-line block ×13, first 2 shown]
	v_cndmask_b32_e32 v3, v3, v29, vcc_lo
	s_wait_dscnt 0x0
	s_delay_alu instid0(VALU_DEP_1)
	v_mul_f32_e32 v3, v3, v30
	s_cbranch_execz .LBB91_422
	s_branch .LBB91_423
.LBB91_421:
                                        ; implicit-def: $vgpr3
.LBB91_422:
	ds_load_b32 v3, v125
.LBB91_423:
	v_mov_b32_e32 v30, 0
	ds_load_b32 v30, v30 offset:4
	s_wait_dscnt 0x0
	v_mul_f32_e32 v3, v3, v30
.LBB91_424:
	s_or_b32 exec_lo, exec_lo, s1
	v_cndmask_b32_e64 v34, 0, 1, s33
	s_mov_b32 s1, exec_lo
	ds_store_b32 v125, v4
	s_wait_dscnt 0x0
	s_barrier_signal -1
	s_barrier_wait -1
	v_cmpx_gt_u32_e32 2, v0
	s_cbranch_execz .LBB91_430
; %bb.425:
	s_and_not1_b32 vcc_lo, exec_lo, s33
	s_cbranch_vccnz .LBB91_427
; %bb.426:
	v_cmp_eq_u32_e32 vcc_lo, 1, v0
	v_cndmask_b32_e32 v30, v2, v3, vcc_lo
	v_cmp_eq_u32_e32 vcc_lo, 2, v0
	s_delay_alu instid0(VALU_DEP_2) | instskip(SKIP_4) | instid1(VALU_DEP_2)
	v_cndmask_b32_e32 v4, v30, v4, vcc_lo
	v_cmp_eq_u32_e32 vcc_lo, 3, v0
	ds_load_b32 v30, v125
	v_cndmask_b32_e32 v4, v4, v5, vcc_lo
	v_cmp_eq_u32_e32 vcc_lo, 4, v0
	v_cndmask_b32_e32 v4, v4, v6, vcc_lo
	v_cmp_eq_u32_e32 vcc_lo, 5, v0
	s_delay_alu instid0(VALU_DEP_2) | instskip(SKIP_1) | instid1(VALU_DEP_2)
	v_cndmask_b32_e32 v4, v4, v7, vcc_lo
	v_cmp_eq_u32_e32 vcc_lo, 6, v0
	v_cndmask_b32_e32 v4, v4, v8, vcc_lo
	v_cmp_eq_u32_e32 vcc_lo, 7, v0
	s_delay_alu instid0(VALU_DEP_2) | instskip(SKIP_1) | instid1(VALU_DEP_2)
	;; [unrolled: 5-line block ×11, first 2 shown]
	v_cndmask_b32_e32 v4, v4, v27, vcc_lo
	v_cmp_eq_u32_e32 vcc_lo, 26, v0
	v_cndmask_b32_e32 v4, v4, v28, vcc_lo
	v_cmp_eq_u32_e32 vcc_lo, 27, v0
	s_delay_alu instid0(VALU_DEP_2) | instskip(SKIP_1) | instid1(VALU_DEP_1)
	v_cndmask_b32_e32 v4, v4, v29, vcc_lo
	s_wait_dscnt 0x0
	v_mul_f32_e32 v4, v4, v30
	s_cbranch_execz .LBB91_428
	s_branch .LBB91_429
.LBB91_427:
                                        ; implicit-def: $vgpr4
.LBB91_428:
	ds_load_b32 v4, v125
.LBB91_429:
	v_mov_b32_e32 v30, 0
	ds_load_2addr_b32 v[30:31], v30 offset0:2 offset1:29
	s_wait_dscnt 0x0
	v_fma_f32 v31, v3, v31, v4
	s_delay_alu instid0(VALU_DEP_1) | instskip(NEXT) | instid1(VALU_DEP_1)
	v_cndmask_b32_e64 v4, v4, v31, s0
	v_mul_f32_e32 v4, v4, v30
.LBB91_430:
	s_or_b32 exec_lo, exec_lo, s1
	v_add_nc_u32_e32 v35, 1, v0
	v_cmp_gt_u32_e64 s1, 3, v0
	ds_store_b32 v125, v5
	s_wait_dscnt 0x0
	s_barrier_signal -1
	s_barrier_wait -1
	s_and_saveexec_b32 s2, s1
	s_cbranch_execz .LBB91_438
; %bb.431:
	v_cmp_ne_u32_e32 vcc_lo, 1, v34
	s_cbranch_vccnz .LBB91_433
; %bb.432:
	v_cmp_eq_u32_e32 vcc_lo, 1, v0
	ds_load_b32 v31, v125
	v_cndmask_b32_e32 v30, v2, v3, vcc_lo
	v_cmp_eq_u32_e32 vcc_lo, 2, v0
	s_delay_alu instid0(VALU_DEP_2) | instskip(SKIP_1) | instid1(VALU_DEP_2)
	v_cndmask_b32_e32 v30, v30, v4, vcc_lo
	v_cmp_eq_u32_e32 vcc_lo, 3, v0
	v_cndmask_b32_e32 v30, v30, v5, vcc_lo
	v_cmp_eq_u32_e32 vcc_lo, 4, v0
	s_delay_alu instid0(VALU_DEP_2) | instskip(SKIP_1) | instid1(VALU_DEP_2)
	v_cndmask_b32_e32 v30, v30, v6, vcc_lo
	v_cmp_eq_u32_e32 vcc_lo, 5, v0
	;; [unrolled: 5-line block ×13, first 2 shown]
	v_cndmask_b32_e32 v30, v30, v29, vcc_lo
	s_wait_dscnt 0x0
	s_delay_alu instid0(VALU_DEP_1)
	v_mul_f32_e32 v30, v30, v31
	s_cbranch_execz .LBB91_434
	s_branch .LBB91_435
.LBB91_433:
                                        ; implicit-def: $vgpr30
.LBB91_434:
	ds_load_b32 v30, v125
.LBB91_435:
	s_mov_b32 s3, exec_lo
	v_cmpx_ne_u32_e32 2, v0
	s_cbranch_execz .LBB91_437
; %bb.436:
	v_cmp_eq_u32_e32 vcc_lo, 1, v35
	v_dual_mov_b32 v32, 0 :: v_dual_cndmask_b32 v31, v2, v3
	v_cmp_eq_u32_e32 vcc_lo, 2, v35
	ds_load_b32 v32, v32 offset:120
	v_cndmask_b32_e32 v31, v31, v4, vcc_lo
	v_cmp_eq_u32_e32 vcc_lo, 3, v35
	s_delay_alu instid0(VALU_DEP_2) | instskip(SKIP_4) | instid1(VALU_DEP_2)
	v_cndmask_b32_e32 v5, v31, v5, vcc_lo
	v_cmp_eq_u32_e32 vcc_lo, 4, v35
	ds_load_b32 v31, v125 offset:4
	v_cndmask_b32_e32 v5, v5, v6, vcc_lo
	v_cmp_eq_u32_e32 vcc_lo, 5, v35
	v_cndmask_b32_e32 v5, v5, v7, vcc_lo
	v_cmp_eq_u32_e32 vcc_lo, 6, v35
	s_delay_alu instid0(VALU_DEP_2) | instskip(SKIP_1) | instid1(VALU_DEP_2)
	v_cndmask_b32_e32 v5, v5, v8, vcc_lo
	v_cmp_eq_u32_e32 vcc_lo, 7, v35
	v_cndmask_b32_e32 v5, v5, v9, vcc_lo
	v_cmp_eq_u32_e32 vcc_lo, 8, v35
	s_delay_alu instid0(VALU_DEP_2) | instskip(SKIP_1) | instid1(VALU_DEP_2)
	;; [unrolled: 5-line block ×11, first 2 shown]
	v_cndmask_b32_e32 v5, v5, v28, vcc_lo
	v_cmp_eq_u32_e32 vcc_lo, 27, v35
	v_cndmask_b32_e32 v5, v5, v29, vcc_lo
	s_wait_dscnt 0x0
	s_delay_alu instid0(VALU_DEP_1) | instskip(NEXT) | instid1(VALU_DEP_1)
	v_fmac_f32_e32 v30, v5, v31
	v_fma_f32 v5, v4, v32, v30
	s_delay_alu instid0(VALU_DEP_1)
	v_cndmask_b32_e64 v30, v30, v5, s0
.LBB91_437:
	s_or_b32 exec_lo, exec_lo, s3
	v_mov_b32_e32 v5, 0
	ds_load_b32 v5, v5 offset:12
	s_wait_dscnt 0x0
	v_mul_f32_e32 v5, v30, v5
.LBB91_438:
	s_or_b32 exec_lo, exec_lo, s2
	s_delay_alu instid0(SALU_CYCLE_1)
	s_mov_b32 s2, exec_lo
	ds_store_b32 v125, v6
	s_wait_dscnt 0x0
	s_barrier_signal -1
	s_barrier_wait -1
	v_cmpx_gt_u32_e32 4, v0
	s_cbranch_execz .LBB91_448
; %bb.439:
	v_cmp_ne_u32_e32 vcc_lo, 1, v34
	s_cbranch_vccnz .LBB91_441
; %bb.440:
	v_cmp_eq_u32_e32 vcc_lo, 1, v0
	ds_load_b32 v31, v125
	v_cndmask_b32_e32 v30, v2, v3, vcc_lo
	v_cmp_eq_u32_e32 vcc_lo, 2, v0
	s_delay_alu instid0(VALU_DEP_2) | instskip(SKIP_1) | instid1(VALU_DEP_2)
	v_cndmask_b32_e32 v30, v30, v4, vcc_lo
	v_cmp_eq_u32_e32 vcc_lo, 3, v0
	v_cndmask_b32_e32 v30, v30, v5, vcc_lo
	v_cmp_eq_u32_e32 vcc_lo, 4, v0
	s_delay_alu instid0(VALU_DEP_2) | instskip(SKIP_1) | instid1(VALU_DEP_2)
	v_cndmask_b32_e32 v30, v30, v6, vcc_lo
	v_cmp_eq_u32_e32 vcc_lo, 5, v0
	;; [unrolled: 5-line block ×13, first 2 shown]
	v_cndmask_b32_e32 v30, v30, v29, vcc_lo
	s_wait_dscnt 0x0
	s_delay_alu instid0(VALU_DEP_1)
	v_mul_f32_e32 v32, v30, v31
	s_cbranch_execz .LBB91_442
	s_branch .LBB91_443
.LBB91_441:
                                        ; implicit-def: $vgpr32
.LBB91_442:
	ds_load_b32 v32, v125
.LBB91_443:
	s_mov_b32 s3, exec_lo
	v_cmpx_ne_u32_e32 3, v0
	s_cbranch_execz .LBB91_447
; %bb.444:
	v_mov_b64_e32 v[30:31], v[0:1]
	v_lshl_add_u32 v33, v0, 2, 0x74
	s_mov_b32 s4, 0
.LBB91_445:                             ; =>This Inner Loop Header: Depth=1
	s_delay_alu instid0(VALU_DEP_2)
	v_add_nc_u64_e32 v[30:31], 1, v[30:31]
	ds_load_b32 v37, v33
	v_add_nc_u32_e32 v33, 4, v33
	v_cmp_eq_u32_e32 vcc_lo, 1, v30
	v_cndmask_b32_e32 v36, v2, v3, vcc_lo
	v_cmp_eq_u32_e32 vcc_lo, 2, v30
	s_delay_alu instid0(VALU_DEP_2) | instskip(SKIP_1) | instid1(VALU_DEP_2)
	v_cndmask_b32_e32 v36, v36, v4, vcc_lo
	v_cmp_eq_u32_e32 vcc_lo, 3, v30
	v_cndmask_b32_e32 v36, v36, v5, vcc_lo
	v_cmp_eq_u32_e32 vcc_lo, 4, v30
	s_delay_alu instid0(VALU_DEP_2) | instskip(SKIP_1) | instid1(VALU_DEP_2)
	v_cndmask_b32_e32 v36, v36, v6, vcc_lo
	;; [unrolled: 5-line block ×13, first 2 shown]
	v_cmp_eq_u32_e32 vcc_lo, 27, v30
	v_cndmask_b32_e32 v36, v36, v29, vcc_lo
	v_cmp_lt_u32_e32 vcc_lo, 2, v30
	s_wait_dscnt 0x0
	s_delay_alu instid0(VALU_DEP_2) | instskip(SKIP_1) | instid1(SALU_CYCLE_1)
	v_fmac_f32_e32 v32, v36, v37
	s_or_b32 s4, vcc_lo, s4
	s_and_not1_b32 exec_lo, exec_lo, s4
	s_cbranch_execnz .LBB91_445
; %bb.446:
	s_or_b32 exec_lo, exec_lo, s4
.LBB91_447:
	s_delay_alu instid0(SALU_CYCLE_1)
	s_or_b32 exec_lo, exec_lo, s3
	v_mov_b32_e32 v6, 0
	ds_load_b32 v6, v6 offset:16
	s_wait_dscnt 0x0
	v_mul_f32_e32 v6, v32, v6
.LBB91_448:
	s_or_b32 exec_lo, exec_lo, s2
	v_cmp_gt_u32_e64 s2, 5, v0
	ds_store_b32 v125, v7
	s_wait_dscnt 0x0
	s_barrier_signal -1
	s_barrier_wait -1
	s_and_saveexec_b32 s3, s2
	s_cbranch_execz .LBB91_458
; %bb.449:
	v_cmp_ne_u32_e32 vcc_lo, 1, v34
	s_cbranch_vccnz .LBB91_451
; %bb.450:
	v_cmp_eq_u32_e32 vcc_lo, 1, v0
	ds_load_b32 v31, v125
	v_cndmask_b32_e32 v30, v2, v3, vcc_lo
	v_cmp_eq_u32_e32 vcc_lo, 2, v0
	s_delay_alu instid0(VALU_DEP_2) | instskip(SKIP_1) | instid1(VALU_DEP_2)
	v_cndmask_b32_e32 v30, v30, v4, vcc_lo
	v_cmp_eq_u32_e32 vcc_lo, 3, v0
	v_cndmask_b32_e32 v30, v30, v5, vcc_lo
	v_cmp_eq_u32_e32 vcc_lo, 4, v0
	s_delay_alu instid0(VALU_DEP_2) | instskip(SKIP_1) | instid1(VALU_DEP_2)
	v_cndmask_b32_e32 v30, v30, v6, vcc_lo
	v_cmp_eq_u32_e32 vcc_lo, 5, v0
	;; [unrolled: 5-line block ×13, first 2 shown]
	v_cndmask_b32_e32 v30, v30, v29, vcc_lo
	s_wait_dscnt 0x0
	s_delay_alu instid0(VALU_DEP_1)
	v_mul_f32_e32 v32, v30, v31
	s_cbranch_execz .LBB91_452
	s_branch .LBB91_453
.LBB91_451:
                                        ; implicit-def: $vgpr32
.LBB91_452:
	ds_load_b32 v32, v125
.LBB91_453:
	s_mov_b32 s4, exec_lo
	v_cmpx_ne_u32_e32 4, v0
	s_cbranch_execz .LBB91_457
; %bb.454:
	v_mov_b64_e32 v[30:31], v[0:1]
	v_lshl_add_u32 v33, v0, 2, 0x74
	s_mov_b32 s5, 0
.LBB91_455:                             ; =>This Inner Loop Header: Depth=1
	s_delay_alu instid0(VALU_DEP_2)
	v_add_nc_u64_e32 v[30:31], 1, v[30:31]
	ds_load_b32 v37, v33
	v_add_nc_u32_e32 v33, 4, v33
	v_cmp_eq_u32_e32 vcc_lo, 1, v30
	v_cndmask_b32_e32 v36, v2, v3, vcc_lo
	v_cmp_eq_u32_e32 vcc_lo, 2, v30
	s_delay_alu instid0(VALU_DEP_2) | instskip(SKIP_1) | instid1(VALU_DEP_2)
	v_cndmask_b32_e32 v36, v36, v4, vcc_lo
	v_cmp_eq_u32_e32 vcc_lo, 3, v30
	v_cndmask_b32_e32 v36, v36, v5, vcc_lo
	v_cmp_eq_u32_e32 vcc_lo, 4, v30
	s_delay_alu instid0(VALU_DEP_2) | instskip(SKIP_1) | instid1(VALU_DEP_2)
	v_cndmask_b32_e32 v36, v36, v6, vcc_lo
	;; [unrolled: 5-line block ×13, first 2 shown]
	v_cmp_eq_u32_e32 vcc_lo, 27, v30
	v_cndmask_b32_e32 v36, v36, v29, vcc_lo
	v_cmp_lt_u32_e32 vcc_lo, 3, v30
	s_wait_dscnt 0x0
	s_delay_alu instid0(VALU_DEP_2) | instskip(SKIP_1) | instid1(SALU_CYCLE_1)
	v_fmac_f32_e32 v32, v36, v37
	s_or_b32 s5, vcc_lo, s5
	s_and_not1_b32 exec_lo, exec_lo, s5
	s_cbranch_execnz .LBB91_455
; %bb.456:
	s_or_b32 exec_lo, exec_lo, s5
.LBB91_457:
	s_delay_alu instid0(SALU_CYCLE_1)
	s_or_b32 exec_lo, exec_lo, s4
	v_mov_b32_e32 v7, 0
	ds_load_b32 v7, v7 offset:20
	s_wait_dscnt 0x0
	v_mul_f32_e32 v7, v32, v7
.LBB91_458:
	s_or_b32 exec_lo, exec_lo, s3
	s_delay_alu instid0(SALU_CYCLE_1)
	s_mov_b32 s3, exec_lo
	ds_store_b32 v125, v8
	s_wait_dscnt 0x0
	s_barrier_signal -1
	s_barrier_wait -1
	v_cmpx_gt_u32_e32 6, v0
	s_cbranch_execz .LBB91_468
; %bb.459:
	v_cmp_ne_u32_e32 vcc_lo, 1, v34
	s_cbranch_vccnz .LBB91_461
; %bb.460:
	v_cmp_eq_u32_e32 vcc_lo, 1, v0
	ds_load_b32 v31, v125
	v_cndmask_b32_e32 v30, v2, v3, vcc_lo
	v_cmp_eq_u32_e32 vcc_lo, 2, v0
	s_delay_alu instid0(VALU_DEP_2) | instskip(SKIP_1) | instid1(VALU_DEP_2)
	v_cndmask_b32_e32 v30, v30, v4, vcc_lo
	v_cmp_eq_u32_e32 vcc_lo, 3, v0
	v_cndmask_b32_e32 v30, v30, v5, vcc_lo
	v_cmp_eq_u32_e32 vcc_lo, 4, v0
	s_delay_alu instid0(VALU_DEP_2) | instskip(SKIP_1) | instid1(VALU_DEP_2)
	v_cndmask_b32_e32 v30, v30, v6, vcc_lo
	v_cmp_eq_u32_e32 vcc_lo, 5, v0
	;; [unrolled: 5-line block ×13, first 2 shown]
	v_cndmask_b32_e32 v30, v30, v29, vcc_lo
	s_wait_dscnt 0x0
	s_delay_alu instid0(VALU_DEP_1)
	v_mul_f32_e32 v32, v30, v31
	s_cbranch_execz .LBB91_462
	s_branch .LBB91_463
.LBB91_461:
                                        ; implicit-def: $vgpr32
.LBB91_462:
	ds_load_b32 v32, v125
.LBB91_463:
	s_mov_b32 s4, exec_lo
	v_cmpx_ne_u32_e32 5, v0
	s_cbranch_execz .LBB91_467
; %bb.464:
	v_mov_b64_e32 v[30:31], v[0:1]
	v_lshl_add_u32 v33, v0, 2, 0x74
	s_mov_b32 s5, 0
.LBB91_465:                             ; =>This Inner Loop Header: Depth=1
	s_delay_alu instid0(VALU_DEP_2)
	v_add_nc_u64_e32 v[30:31], 1, v[30:31]
	ds_load_b32 v37, v33
	v_add_nc_u32_e32 v33, 4, v33
	v_cmp_eq_u32_e32 vcc_lo, 1, v30
	v_cndmask_b32_e32 v36, v2, v3, vcc_lo
	v_cmp_eq_u32_e32 vcc_lo, 2, v30
	s_delay_alu instid0(VALU_DEP_2) | instskip(SKIP_1) | instid1(VALU_DEP_2)
	v_cndmask_b32_e32 v36, v36, v4, vcc_lo
	v_cmp_eq_u32_e32 vcc_lo, 3, v30
	v_cndmask_b32_e32 v36, v36, v5, vcc_lo
	v_cmp_eq_u32_e32 vcc_lo, 4, v30
	s_delay_alu instid0(VALU_DEP_2) | instskip(SKIP_1) | instid1(VALU_DEP_2)
	v_cndmask_b32_e32 v36, v36, v6, vcc_lo
	;; [unrolled: 5-line block ×13, first 2 shown]
	v_cmp_eq_u32_e32 vcc_lo, 27, v30
	v_cndmask_b32_e32 v36, v36, v29, vcc_lo
	v_cmp_lt_u32_e32 vcc_lo, 4, v30
	s_wait_dscnt 0x0
	s_delay_alu instid0(VALU_DEP_2) | instskip(SKIP_1) | instid1(SALU_CYCLE_1)
	v_fmac_f32_e32 v32, v36, v37
	s_or_b32 s5, vcc_lo, s5
	s_and_not1_b32 exec_lo, exec_lo, s5
	s_cbranch_execnz .LBB91_465
; %bb.466:
	s_or_b32 exec_lo, exec_lo, s5
.LBB91_467:
	s_delay_alu instid0(SALU_CYCLE_1)
	s_or_b32 exec_lo, exec_lo, s4
	v_mov_b32_e32 v8, 0
	ds_load_b32 v8, v8 offset:24
	s_wait_dscnt 0x0
	v_mul_f32_e32 v8, v32, v8
.LBB91_468:
	s_or_b32 exec_lo, exec_lo, s3
	v_cmp_gt_u32_e64 s3, 7, v0
	ds_store_b32 v125, v9
	s_wait_dscnt 0x0
	s_barrier_signal -1
	s_barrier_wait -1
	s_and_saveexec_b32 s4, s3
	s_cbranch_execz .LBB91_478
; %bb.469:
	v_cmp_ne_u32_e32 vcc_lo, 1, v34
	s_cbranch_vccnz .LBB91_471
; %bb.470:
	v_cmp_eq_u32_e32 vcc_lo, 1, v0
	ds_load_b32 v31, v125
	v_cndmask_b32_e32 v30, v2, v3, vcc_lo
	v_cmp_eq_u32_e32 vcc_lo, 2, v0
	s_delay_alu instid0(VALU_DEP_2) | instskip(SKIP_1) | instid1(VALU_DEP_2)
	v_cndmask_b32_e32 v30, v30, v4, vcc_lo
	v_cmp_eq_u32_e32 vcc_lo, 3, v0
	v_cndmask_b32_e32 v30, v30, v5, vcc_lo
	v_cmp_eq_u32_e32 vcc_lo, 4, v0
	s_delay_alu instid0(VALU_DEP_2) | instskip(SKIP_1) | instid1(VALU_DEP_2)
	v_cndmask_b32_e32 v30, v30, v6, vcc_lo
	v_cmp_eq_u32_e32 vcc_lo, 5, v0
	;; [unrolled: 5-line block ×13, first 2 shown]
	v_cndmask_b32_e32 v30, v30, v29, vcc_lo
	s_wait_dscnt 0x0
	s_delay_alu instid0(VALU_DEP_1)
	v_mul_f32_e32 v32, v30, v31
	s_cbranch_execz .LBB91_472
	s_branch .LBB91_473
.LBB91_471:
                                        ; implicit-def: $vgpr32
.LBB91_472:
	ds_load_b32 v32, v125
.LBB91_473:
	s_mov_b32 s5, exec_lo
	v_cmpx_ne_u32_e32 6, v0
	s_cbranch_execz .LBB91_477
; %bb.474:
	v_mov_b64_e32 v[30:31], v[0:1]
	v_lshl_add_u32 v33, v0, 2, 0x74
	s_mov_b32 s6, 0
.LBB91_475:                             ; =>This Inner Loop Header: Depth=1
	s_delay_alu instid0(VALU_DEP_2)
	v_add_nc_u64_e32 v[30:31], 1, v[30:31]
	ds_load_b32 v37, v33
	v_add_nc_u32_e32 v33, 4, v33
	v_cmp_eq_u32_e32 vcc_lo, 1, v30
	v_cndmask_b32_e32 v36, v2, v3, vcc_lo
	v_cmp_eq_u32_e32 vcc_lo, 2, v30
	s_delay_alu instid0(VALU_DEP_2) | instskip(SKIP_1) | instid1(VALU_DEP_2)
	v_cndmask_b32_e32 v36, v36, v4, vcc_lo
	v_cmp_eq_u32_e32 vcc_lo, 3, v30
	v_cndmask_b32_e32 v36, v36, v5, vcc_lo
	v_cmp_eq_u32_e32 vcc_lo, 4, v30
	s_delay_alu instid0(VALU_DEP_2) | instskip(SKIP_1) | instid1(VALU_DEP_2)
	v_cndmask_b32_e32 v36, v36, v6, vcc_lo
	;; [unrolled: 5-line block ×13, first 2 shown]
	v_cmp_eq_u32_e32 vcc_lo, 27, v30
	v_cndmask_b32_e32 v36, v36, v29, vcc_lo
	v_cmp_lt_u32_e32 vcc_lo, 5, v30
	s_wait_dscnt 0x0
	s_delay_alu instid0(VALU_DEP_2) | instskip(SKIP_1) | instid1(SALU_CYCLE_1)
	v_fmac_f32_e32 v32, v36, v37
	s_or_b32 s6, vcc_lo, s6
	s_and_not1_b32 exec_lo, exec_lo, s6
	s_cbranch_execnz .LBB91_475
; %bb.476:
	s_or_b32 exec_lo, exec_lo, s6
.LBB91_477:
	s_delay_alu instid0(SALU_CYCLE_1)
	s_or_b32 exec_lo, exec_lo, s5
	v_mov_b32_e32 v9, 0
	ds_load_b32 v9, v9 offset:28
	s_wait_dscnt 0x0
	v_mul_f32_e32 v9, v32, v9
.LBB91_478:
	s_or_b32 exec_lo, exec_lo, s4
	s_delay_alu instid0(SALU_CYCLE_1)
	s_mov_b32 s4, exec_lo
	ds_store_b32 v125, v10
	s_wait_dscnt 0x0
	s_barrier_signal -1
	s_barrier_wait -1
	v_cmpx_gt_u32_e32 8, v0
	s_cbranch_execz .LBB91_488
; %bb.479:
	v_cmp_ne_u32_e32 vcc_lo, 1, v34
	s_cbranch_vccnz .LBB91_481
; %bb.480:
	v_cmp_eq_u32_e32 vcc_lo, 1, v0
	ds_load_b32 v31, v125
	v_cndmask_b32_e32 v30, v2, v3, vcc_lo
	v_cmp_eq_u32_e32 vcc_lo, 2, v0
	s_delay_alu instid0(VALU_DEP_2) | instskip(SKIP_1) | instid1(VALU_DEP_2)
	v_cndmask_b32_e32 v30, v30, v4, vcc_lo
	v_cmp_eq_u32_e32 vcc_lo, 3, v0
	v_cndmask_b32_e32 v30, v30, v5, vcc_lo
	v_cmp_eq_u32_e32 vcc_lo, 4, v0
	s_delay_alu instid0(VALU_DEP_2) | instskip(SKIP_1) | instid1(VALU_DEP_2)
	v_cndmask_b32_e32 v30, v30, v6, vcc_lo
	v_cmp_eq_u32_e32 vcc_lo, 5, v0
	v_cndmask_b32_e32 v30, v30, v7, vcc_lo
	v_cmp_eq_u32_e32 vcc_lo, 6, v0
	s_delay_alu instid0(VALU_DEP_2) | instskip(SKIP_1) | instid1(VALU_DEP_2)
	v_cndmask_b32_e32 v30, v30, v8, vcc_lo
	v_cmp_eq_u32_e32 vcc_lo, 7, v0
	v_cndmask_b32_e32 v30, v30, v9, vcc_lo
	v_cmp_eq_u32_e32 vcc_lo, 8, v0
	s_delay_alu instid0(VALU_DEP_2) | instskip(SKIP_1) | instid1(VALU_DEP_2)
	v_cndmask_b32_e32 v30, v30, v10, vcc_lo
	v_cmp_eq_u32_e32 vcc_lo, 9, v0
	v_cndmask_b32_e32 v30, v30, v11, vcc_lo
	v_cmp_eq_u32_e32 vcc_lo, 10, v0
	s_delay_alu instid0(VALU_DEP_2) | instskip(SKIP_1) | instid1(VALU_DEP_2)
	v_cndmask_b32_e32 v30, v30, v12, vcc_lo
	v_cmp_eq_u32_e32 vcc_lo, 11, v0
	v_cndmask_b32_e32 v30, v30, v13, vcc_lo
	v_cmp_eq_u32_e32 vcc_lo, 12, v0
	s_delay_alu instid0(VALU_DEP_2) | instskip(SKIP_1) | instid1(VALU_DEP_2)
	v_cndmask_b32_e32 v30, v30, v14, vcc_lo
	v_cmp_eq_u32_e32 vcc_lo, 13, v0
	v_cndmask_b32_e32 v30, v30, v15, vcc_lo
	v_cmp_eq_u32_e32 vcc_lo, 14, v0
	s_delay_alu instid0(VALU_DEP_2) | instskip(SKIP_1) | instid1(VALU_DEP_2)
	v_cndmask_b32_e32 v30, v30, v16, vcc_lo
	v_cmp_eq_u32_e32 vcc_lo, 15, v0
	v_cndmask_b32_e32 v30, v30, v17, vcc_lo
	v_cmp_eq_u32_e32 vcc_lo, 16, v0
	s_delay_alu instid0(VALU_DEP_2) | instskip(SKIP_1) | instid1(VALU_DEP_2)
	v_cndmask_b32_e32 v30, v30, v18, vcc_lo
	v_cmp_eq_u32_e32 vcc_lo, 17, v0
	v_cndmask_b32_e32 v30, v30, v19, vcc_lo
	v_cmp_eq_u32_e32 vcc_lo, 18, v0
	s_delay_alu instid0(VALU_DEP_2) | instskip(SKIP_1) | instid1(VALU_DEP_2)
	v_cndmask_b32_e32 v30, v30, v20, vcc_lo
	v_cmp_eq_u32_e32 vcc_lo, 19, v0
	v_cndmask_b32_e32 v30, v30, v21, vcc_lo
	v_cmp_eq_u32_e32 vcc_lo, 20, v0
	s_delay_alu instid0(VALU_DEP_2) | instskip(SKIP_1) | instid1(VALU_DEP_2)
	v_cndmask_b32_e32 v30, v30, v22, vcc_lo
	v_cmp_eq_u32_e32 vcc_lo, 21, v0
	v_cndmask_b32_e32 v30, v30, v23, vcc_lo
	v_cmp_eq_u32_e32 vcc_lo, 22, v0
	s_delay_alu instid0(VALU_DEP_2) | instskip(SKIP_1) | instid1(VALU_DEP_2)
	v_cndmask_b32_e32 v30, v30, v24, vcc_lo
	v_cmp_eq_u32_e32 vcc_lo, 23, v0
	v_cndmask_b32_e32 v30, v30, v25, vcc_lo
	v_cmp_eq_u32_e32 vcc_lo, 24, v0
	s_delay_alu instid0(VALU_DEP_2) | instskip(SKIP_1) | instid1(VALU_DEP_2)
	v_cndmask_b32_e32 v30, v30, v26, vcc_lo
	v_cmp_eq_u32_e32 vcc_lo, 25, v0
	v_cndmask_b32_e32 v30, v30, v27, vcc_lo
	v_cmp_eq_u32_e32 vcc_lo, 26, v0
	s_delay_alu instid0(VALU_DEP_2) | instskip(SKIP_1) | instid1(VALU_DEP_2)
	v_cndmask_b32_e32 v30, v30, v28, vcc_lo
	v_cmp_eq_u32_e32 vcc_lo, 27, v0
	v_cndmask_b32_e32 v30, v30, v29, vcc_lo
	s_wait_dscnt 0x0
	s_delay_alu instid0(VALU_DEP_1)
	v_mul_f32_e32 v32, v30, v31
	s_cbranch_execz .LBB91_482
	s_branch .LBB91_483
.LBB91_481:
                                        ; implicit-def: $vgpr32
.LBB91_482:
	ds_load_b32 v32, v125
.LBB91_483:
	s_mov_b32 s5, exec_lo
	v_cmpx_ne_u32_e32 7, v0
	s_cbranch_execz .LBB91_487
; %bb.484:
	v_mov_b64_e32 v[30:31], v[0:1]
	v_lshl_add_u32 v33, v0, 2, 0x74
	s_mov_b32 s6, 0
.LBB91_485:                             ; =>This Inner Loop Header: Depth=1
	s_delay_alu instid0(VALU_DEP_2)
	v_add_nc_u64_e32 v[30:31], 1, v[30:31]
	ds_load_b32 v37, v33
	v_add_nc_u32_e32 v33, 4, v33
	v_cmp_eq_u32_e32 vcc_lo, 1, v30
	v_cndmask_b32_e32 v36, v2, v3, vcc_lo
	v_cmp_eq_u32_e32 vcc_lo, 2, v30
	s_delay_alu instid0(VALU_DEP_2) | instskip(SKIP_1) | instid1(VALU_DEP_2)
	v_cndmask_b32_e32 v36, v36, v4, vcc_lo
	v_cmp_eq_u32_e32 vcc_lo, 3, v30
	v_cndmask_b32_e32 v36, v36, v5, vcc_lo
	v_cmp_eq_u32_e32 vcc_lo, 4, v30
	s_delay_alu instid0(VALU_DEP_2) | instskip(SKIP_1) | instid1(VALU_DEP_2)
	v_cndmask_b32_e32 v36, v36, v6, vcc_lo
	;; [unrolled: 5-line block ×13, first 2 shown]
	v_cmp_eq_u32_e32 vcc_lo, 27, v30
	v_cndmask_b32_e32 v36, v36, v29, vcc_lo
	v_cmp_lt_u32_e32 vcc_lo, 6, v30
	s_wait_dscnt 0x0
	s_delay_alu instid0(VALU_DEP_2) | instskip(SKIP_1) | instid1(SALU_CYCLE_1)
	v_fmac_f32_e32 v32, v36, v37
	s_or_b32 s6, vcc_lo, s6
	s_and_not1_b32 exec_lo, exec_lo, s6
	s_cbranch_execnz .LBB91_485
; %bb.486:
	s_or_b32 exec_lo, exec_lo, s6
.LBB91_487:
	s_delay_alu instid0(SALU_CYCLE_1)
	s_or_b32 exec_lo, exec_lo, s5
	v_mov_b32_e32 v10, 0
	ds_load_b32 v10, v10 offset:32
	s_wait_dscnt 0x0
	v_mul_f32_e32 v10, v32, v10
.LBB91_488:
	s_or_b32 exec_lo, exec_lo, s4
	s_delay_alu instid0(SALU_CYCLE_1)
	s_mov_b32 s4, exec_lo
	ds_store_b32 v125, v11
	s_wait_dscnt 0x0
	s_barrier_signal -1
	s_barrier_wait -1
	v_cmpx_gt_u32_e32 9, v0
	s_cbranch_execz .LBB91_510
; %bb.489:
	v_cmp_ne_u32_e32 vcc_lo, 1, v34
	s_cbranch_vccnz .LBB91_491
; %bb.490:
	v_cmp_eq_u32_e32 vcc_lo, 1, v0
	ds_load_b32 v31, v125
	v_cndmask_b32_e32 v30, v2, v3, vcc_lo
	v_cmp_eq_u32_e32 vcc_lo, 2, v0
	s_delay_alu instid0(VALU_DEP_2) | instskip(SKIP_1) | instid1(VALU_DEP_2)
	v_cndmask_b32_e32 v30, v30, v4, vcc_lo
	v_cmp_eq_u32_e32 vcc_lo, 3, v0
	v_cndmask_b32_e32 v30, v30, v5, vcc_lo
	v_cmp_eq_u32_e32 vcc_lo, 4, v0
	s_delay_alu instid0(VALU_DEP_2) | instskip(SKIP_1) | instid1(VALU_DEP_2)
	v_cndmask_b32_e32 v30, v30, v6, vcc_lo
	v_cmp_eq_u32_e32 vcc_lo, 5, v0
	;; [unrolled: 5-line block ×13, first 2 shown]
	v_cndmask_b32_e32 v30, v30, v29, vcc_lo
	s_wait_dscnt 0x0
	s_delay_alu instid0(VALU_DEP_1)
	v_mul_f32_e32 v30, v30, v31
	s_cbranch_execz .LBB91_492
	s_branch .LBB91_493
.LBB91_491:
                                        ; implicit-def: $vgpr30
.LBB91_492:
	ds_load_b32 v30, v125
.LBB91_493:
	s_mov_b32 s5, exec_lo
	v_cmpx_ne_u32_e32 8, v0
	s_cbranch_execz .LBB91_509
; %bb.494:
	v_cmp_eq_u32_e32 vcc_lo, 1, v35
	ds_load_b32 v32, v125 offset:4
	v_cndmask_b32_e32 v31, v2, v3, vcc_lo
	v_cmp_eq_u32_e32 vcc_lo, 2, v35
	s_delay_alu instid0(VALU_DEP_2) | instskip(SKIP_1) | instid1(VALU_DEP_2)
	v_cndmask_b32_e32 v31, v31, v4, vcc_lo
	v_cmp_eq_u32_e32 vcc_lo, 3, v35
	v_cndmask_b32_e32 v31, v31, v5, vcc_lo
	v_cmp_eq_u32_e32 vcc_lo, 4, v35
	s_delay_alu instid0(VALU_DEP_2) | instskip(SKIP_1) | instid1(VALU_DEP_2)
	v_cndmask_b32_e32 v31, v31, v6, vcc_lo
	v_cmp_eq_u32_e32 vcc_lo, 5, v35
	;; [unrolled: 5-line block ×13, first 2 shown]
	v_cndmask_b32_e32 v31, v31, v29, vcc_lo
	s_wait_dscnt 0x0
	s_delay_alu instid0(VALU_DEP_1)
	v_fmac_f32_e32 v30, v31, v32
	s_and_saveexec_b32 s6, s3
	s_cbranch_execz .LBB91_508
; %bb.495:
	v_add_nc_u32_e32 v31, 2, v0
	ds_load_b32 v33, v125 offset:8
	s_mov_b32 s3, exec_lo
	v_cmp_eq_u32_e32 vcc_lo, 1, v31
	v_cndmask_b32_e32 v32, v2, v3, vcc_lo
	v_cmp_eq_u32_e32 vcc_lo, 2, v31
	s_delay_alu instid0(VALU_DEP_2) | instskip(SKIP_1) | instid1(VALU_DEP_2)
	v_cndmask_b32_e32 v32, v32, v4, vcc_lo
	v_cmp_eq_u32_e32 vcc_lo, 3, v31
	v_cndmask_b32_e32 v32, v32, v5, vcc_lo
	v_cmp_eq_u32_e32 vcc_lo, 4, v31
	s_delay_alu instid0(VALU_DEP_2) | instskip(SKIP_1) | instid1(VALU_DEP_2)
	v_cndmask_b32_e32 v32, v32, v6, vcc_lo
	;; [unrolled: 5-line block ×13, first 2 shown]
	v_cmp_eq_u32_e32 vcc_lo, 27, v31
	v_cndmask_b32_e32 v31, v32, v29, vcc_lo
	s_wait_dscnt 0x0
	s_delay_alu instid0(VALU_DEP_1)
	v_fmac_f32_e32 v30, v31, v33
	v_cmpx_ne_u32_e32 6, v0
	s_cbranch_execz .LBB91_507
; %bb.496:
	v_add_nc_u32_e32 v31, 3, v0
	ds_load_b32 v33, v125 offset:12
	v_cmp_eq_u32_e32 vcc_lo, 1, v31
	v_cndmask_b32_e32 v32, v2, v3, vcc_lo
	v_cmp_eq_u32_e32 vcc_lo, 2, v31
	s_delay_alu instid0(VALU_DEP_2) | instskip(SKIP_1) | instid1(VALU_DEP_2)
	v_cndmask_b32_e32 v32, v32, v4, vcc_lo
	v_cmp_eq_u32_e32 vcc_lo, 3, v31
	v_cndmask_b32_e32 v32, v32, v5, vcc_lo
	v_cmp_eq_u32_e32 vcc_lo, 4, v31
	s_delay_alu instid0(VALU_DEP_2) | instskip(SKIP_1) | instid1(VALU_DEP_2)
	v_cndmask_b32_e32 v32, v32, v6, vcc_lo
	;; [unrolled: 5-line block ×13, first 2 shown]
	v_cmp_eq_u32_e32 vcc_lo, 27, v31
	v_cndmask_b32_e32 v31, v32, v29, vcc_lo
	s_wait_dscnt 0x0
	s_delay_alu instid0(VALU_DEP_1)
	v_fmac_f32_e32 v30, v31, v33
	s_and_saveexec_b32 s7, s2
	s_cbranch_execz .LBB91_506
; %bb.497:
	v_add_nc_u32_e32 v31, 4, v0
	ds_load_b32 v33, v125 offset:16
	s_mov_b32 s2, exec_lo
	v_cmp_eq_u32_e32 vcc_lo, 1, v31
	v_cndmask_b32_e32 v32, v2, v3, vcc_lo
	v_cmp_eq_u32_e32 vcc_lo, 2, v31
	s_delay_alu instid0(VALU_DEP_2) | instskip(SKIP_1) | instid1(VALU_DEP_2)
	v_cndmask_b32_e32 v32, v32, v4, vcc_lo
	v_cmp_eq_u32_e32 vcc_lo, 3, v31
	v_cndmask_b32_e32 v32, v32, v5, vcc_lo
	v_cmp_eq_u32_e32 vcc_lo, 4, v31
	s_delay_alu instid0(VALU_DEP_2) | instskip(SKIP_1) | instid1(VALU_DEP_2)
	v_cndmask_b32_e32 v32, v32, v6, vcc_lo
	;; [unrolled: 5-line block ×13, first 2 shown]
	v_cmp_eq_u32_e32 vcc_lo, 27, v31
	v_cndmask_b32_e32 v31, v32, v29, vcc_lo
	s_wait_dscnt 0x0
	s_delay_alu instid0(VALU_DEP_1)
	v_fmac_f32_e32 v30, v31, v33
	v_cmpx_ne_u32_e32 4, v0
	s_cbranch_execz .LBB91_505
; %bb.498:
	v_add_nc_u32_e32 v31, 5, v0
	ds_load_b32 v33, v125 offset:20
	v_cmp_eq_u32_e32 vcc_lo, 1, v31
	v_cndmask_b32_e32 v32, v2, v3, vcc_lo
	v_cmp_eq_u32_e32 vcc_lo, 2, v31
	s_delay_alu instid0(VALU_DEP_2) | instskip(SKIP_1) | instid1(VALU_DEP_2)
	v_cndmask_b32_e32 v32, v32, v4, vcc_lo
	v_cmp_eq_u32_e32 vcc_lo, 3, v31
	v_cndmask_b32_e32 v32, v32, v5, vcc_lo
	v_cmp_eq_u32_e32 vcc_lo, 4, v31
	s_delay_alu instid0(VALU_DEP_2) | instskip(SKIP_1) | instid1(VALU_DEP_2)
	v_cndmask_b32_e32 v32, v32, v6, vcc_lo
	;; [unrolled: 5-line block ×13, first 2 shown]
	v_cmp_eq_u32_e32 vcc_lo, 27, v31
	v_cndmask_b32_e32 v31, v32, v29, vcc_lo
	s_wait_dscnt 0x0
	s_delay_alu instid0(VALU_DEP_1)
	v_fmac_f32_e32 v30, v31, v33
	s_and_saveexec_b32 s8, s1
	s_cbranch_execz .LBB91_504
; %bb.499:
	v_add_nc_u32_e32 v31, 6, v0
	ds_load_b32 v33, v125 offset:24
	s_mov_b32 s1, exec_lo
	v_cmp_eq_u32_e32 vcc_lo, 1, v31
	v_cndmask_b32_e32 v32, v2, v3, vcc_lo
	v_cmp_eq_u32_e32 vcc_lo, 2, v31
	s_delay_alu instid0(VALU_DEP_2) | instskip(SKIP_1) | instid1(VALU_DEP_2)
	v_cndmask_b32_e32 v32, v32, v4, vcc_lo
	v_cmp_eq_u32_e32 vcc_lo, 3, v31
	v_cndmask_b32_e32 v32, v32, v5, vcc_lo
	v_cmp_eq_u32_e32 vcc_lo, 4, v31
	s_delay_alu instid0(VALU_DEP_2) | instskip(SKIP_1) | instid1(VALU_DEP_2)
	v_cndmask_b32_e32 v32, v32, v6, vcc_lo
	v_cmp_eq_u32_e32 vcc_lo, 5, v31
	v_cndmask_b32_e32 v32, v32, v7, vcc_lo
	v_cmp_eq_u32_e32 vcc_lo, 6, v31
	s_delay_alu instid0(VALU_DEP_2) | instskip(SKIP_1) | instid1(VALU_DEP_2)
	v_cndmask_b32_e32 v32, v32, v8, vcc_lo
	v_cmp_eq_u32_e32 vcc_lo, 7, v31
	v_cndmask_b32_e32 v32, v32, v9, vcc_lo
	v_cmp_eq_u32_e32 vcc_lo, 8, v31
	s_delay_alu instid0(VALU_DEP_2) | instskip(SKIP_1) | instid1(VALU_DEP_2)
	v_cndmask_b32_e32 v32, v32, v10, vcc_lo
	v_cmp_eq_u32_e32 vcc_lo, 9, v31
	v_cndmask_b32_e32 v32, v32, v11, vcc_lo
	v_cmp_eq_u32_e32 vcc_lo, 10, v31
	s_delay_alu instid0(VALU_DEP_2) | instskip(SKIP_1) | instid1(VALU_DEP_2)
	v_cndmask_b32_e32 v32, v32, v12, vcc_lo
	v_cmp_eq_u32_e32 vcc_lo, 11, v31
	v_cndmask_b32_e32 v32, v32, v13, vcc_lo
	v_cmp_eq_u32_e32 vcc_lo, 12, v31
	s_delay_alu instid0(VALU_DEP_2) | instskip(SKIP_1) | instid1(VALU_DEP_2)
	v_cndmask_b32_e32 v32, v32, v14, vcc_lo
	v_cmp_eq_u32_e32 vcc_lo, 13, v31
	v_cndmask_b32_e32 v32, v32, v15, vcc_lo
	v_cmp_eq_u32_e32 vcc_lo, 14, v31
	s_delay_alu instid0(VALU_DEP_2) | instskip(SKIP_1) | instid1(VALU_DEP_2)
	v_cndmask_b32_e32 v32, v32, v16, vcc_lo
	v_cmp_eq_u32_e32 vcc_lo, 15, v31
	v_cndmask_b32_e32 v32, v32, v17, vcc_lo
	v_cmp_eq_u32_e32 vcc_lo, 16, v31
	s_delay_alu instid0(VALU_DEP_2) | instskip(SKIP_1) | instid1(VALU_DEP_2)
	v_cndmask_b32_e32 v32, v32, v18, vcc_lo
	v_cmp_eq_u32_e32 vcc_lo, 17, v31
	v_cndmask_b32_e32 v32, v32, v19, vcc_lo
	v_cmp_eq_u32_e32 vcc_lo, 18, v31
	s_delay_alu instid0(VALU_DEP_2) | instskip(SKIP_1) | instid1(VALU_DEP_2)
	v_cndmask_b32_e32 v32, v32, v20, vcc_lo
	v_cmp_eq_u32_e32 vcc_lo, 19, v31
	v_cndmask_b32_e32 v32, v32, v21, vcc_lo
	v_cmp_eq_u32_e32 vcc_lo, 20, v31
	s_delay_alu instid0(VALU_DEP_2) | instskip(SKIP_1) | instid1(VALU_DEP_2)
	v_cndmask_b32_e32 v32, v32, v22, vcc_lo
	v_cmp_eq_u32_e32 vcc_lo, 21, v31
	v_cndmask_b32_e32 v32, v32, v23, vcc_lo
	v_cmp_eq_u32_e32 vcc_lo, 22, v31
	s_delay_alu instid0(VALU_DEP_2) | instskip(SKIP_1) | instid1(VALU_DEP_2)
	v_cndmask_b32_e32 v32, v32, v24, vcc_lo
	v_cmp_eq_u32_e32 vcc_lo, 23, v31
	v_cndmask_b32_e32 v32, v32, v25, vcc_lo
	v_cmp_eq_u32_e32 vcc_lo, 24, v31
	s_delay_alu instid0(VALU_DEP_2) | instskip(SKIP_1) | instid1(VALU_DEP_2)
	v_cndmask_b32_e32 v32, v32, v26, vcc_lo
	v_cmp_eq_u32_e32 vcc_lo, 25, v31
	v_cndmask_b32_e32 v32, v32, v27, vcc_lo
	v_cmp_eq_u32_e32 vcc_lo, 26, v31
	s_delay_alu instid0(VALU_DEP_2) | instskip(SKIP_1) | instid1(VALU_DEP_2)
	v_cndmask_b32_e32 v32, v32, v28, vcc_lo
	v_cmp_eq_u32_e32 vcc_lo, 27, v31
	v_cndmask_b32_e32 v31, v32, v29, vcc_lo
	s_wait_dscnt 0x0
	s_delay_alu instid0(VALU_DEP_1)
	v_fmac_f32_e32 v30, v31, v33
	v_cmpx_ne_u32_e32 2, v0
	s_cbranch_execz .LBB91_503
; %bb.500:
	v_add_nc_u32_e32 v31, 7, v0
	s_delay_alu instid0(VALU_DEP_1) | instskip(SKIP_2) | instid1(VALU_DEP_2)
	v_cmp_eq_u32_e32 vcc_lo, 1, v31
	v_cndmask_b32_e32 v32, v2, v3, vcc_lo
	v_cmp_eq_u32_e32 vcc_lo, 2, v31
	v_cndmask_b32_e32 v32, v32, v4, vcc_lo
	v_cmp_eq_u32_e32 vcc_lo, 3, v31
	s_delay_alu instid0(VALU_DEP_2) | instskip(SKIP_1) | instid1(VALU_DEP_2)
	v_cndmask_b32_e32 v32, v32, v5, vcc_lo
	v_cmp_eq_u32_e32 vcc_lo, 4, v31
	v_cndmask_b32_e32 v32, v32, v6, vcc_lo
	v_cmp_eq_u32_e32 vcc_lo, 5, v31
	s_delay_alu instid0(VALU_DEP_2) | instskip(SKIP_1) | instid1(VALU_DEP_2)
	;; [unrolled: 5-line block ×3, first 2 shown]
	v_cndmask_b32_e32 v32, v32, v9, vcc_lo
	v_cmp_eq_u32_e32 vcc_lo, 8, v31
	v_cndmask_b32_e32 v32, v32, v10, vcc_lo
	v_cmp_eq_u32_e32 vcc_lo, 9, v31
	s_delay_alu instid0(VALU_DEP_2) | instskip(SKIP_4) | instid1(VALU_DEP_2)
	v_cndmask_b32_e32 v11, v32, v11, vcc_lo
	v_cmp_eq_u32_e32 vcc_lo, 10, v31
	ds_load_b32 v32, v125 offset:28
	v_cndmask_b32_e32 v11, v11, v12, vcc_lo
	v_cmp_eq_u32_e32 vcc_lo, 11, v31
	v_cndmask_b32_e32 v11, v11, v13, vcc_lo
	v_cmp_eq_u32_e32 vcc_lo, 12, v31
	s_delay_alu instid0(VALU_DEP_2) | instskip(SKIP_1) | instid1(VALU_DEP_2)
	v_cndmask_b32_e32 v11, v11, v14, vcc_lo
	v_cmp_eq_u32_e32 vcc_lo, 13, v31
	v_cndmask_b32_e32 v11, v11, v15, vcc_lo
	v_cmp_eq_u32_e32 vcc_lo, 14, v31
	s_delay_alu instid0(VALU_DEP_2) | instskip(SKIP_1) | instid1(VALU_DEP_2)
	;; [unrolled: 5-line block ×8, first 2 shown]
	v_cndmask_b32_e32 v11, v11, v28, vcc_lo
	v_cmp_eq_u32_e32 vcc_lo, 27, v31
	v_cndmask_b32_e32 v11, v11, v29, vcc_lo
	s_wait_dscnt 0x0
	s_delay_alu instid0(VALU_DEP_1)
	v_fmac_f32_e32 v30, v11, v32
	s_and_saveexec_b32 s9, s0
	s_cbranch_execz .LBB91_502
; %bb.501:
	ds_load_b32 v11, v125 offset:32
	s_wait_dscnt 0x0
	v_fmac_f32_e32 v30, v10, v11
.LBB91_502:
	s_or_b32 exec_lo, exec_lo, s9
.LBB91_503:
	s_delay_alu instid0(SALU_CYCLE_1)
	s_or_b32 exec_lo, exec_lo, s1
.LBB91_504:
	s_delay_alu instid0(SALU_CYCLE_1)
	s_or_b32 exec_lo, exec_lo, s8
.LBB91_505:
	s_delay_alu instid0(SALU_CYCLE_1)
	s_or_b32 exec_lo, exec_lo, s2
.LBB91_506:
	s_delay_alu instid0(SALU_CYCLE_1)
	s_or_b32 exec_lo, exec_lo, s7
.LBB91_507:
	s_delay_alu instid0(SALU_CYCLE_1)
	s_or_b32 exec_lo, exec_lo, s3
.LBB91_508:
	s_delay_alu instid0(SALU_CYCLE_1)
	s_or_b32 exec_lo, exec_lo, s6
.LBB91_509:
	s_delay_alu instid0(SALU_CYCLE_1)
	s_or_b32 exec_lo, exec_lo, s5
	v_mov_b32_e32 v11, 0
	ds_load_b32 v11, v11 offset:36
	s_wait_dscnt 0x0
	v_mul_f32_e32 v11, v30, v11
.LBB91_510:
	s_or_b32 exec_lo, exec_lo, s4
	s_delay_alu instid0(SALU_CYCLE_1)
	s_mov_b32 s0, exec_lo
	ds_store_b32 v125, v12
	s_wait_dscnt 0x0
	s_barrier_signal -1
	s_barrier_wait -1
	v_cmpx_gt_u32_e32 10, v0
	s_cbranch_execz .LBB91_520
; %bb.511:
	v_cmp_ne_u32_e32 vcc_lo, 1, v34
	s_cbranch_vccnz .LBB91_513
; %bb.512:
	v_cmp_eq_u32_e32 vcc_lo, 1, v0
	ds_load_b32 v31, v125
	v_cndmask_b32_e32 v30, v2, v3, vcc_lo
	v_cmp_eq_u32_e32 vcc_lo, 2, v0
	s_delay_alu instid0(VALU_DEP_2) | instskip(SKIP_1) | instid1(VALU_DEP_2)
	v_cndmask_b32_e32 v30, v30, v4, vcc_lo
	v_cmp_eq_u32_e32 vcc_lo, 3, v0
	v_cndmask_b32_e32 v30, v30, v5, vcc_lo
	v_cmp_eq_u32_e32 vcc_lo, 4, v0
	s_delay_alu instid0(VALU_DEP_2) | instskip(SKIP_1) | instid1(VALU_DEP_2)
	v_cndmask_b32_e32 v30, v30, v6, vcc_lo
	v_cmp_eq_u32_e32 vcc_lo, 5, v0
	;; [unrolled: 5-line block ×13, first 2 shown]
	v_cndmask_b32_e32 v30, v30, v29, vcc_lo
	s_wait_dscnt 0x0
	s_delay_alu instid0(VALU_DEP_1)
	v_mul_f32_e32 v32, v30, v31
	s_cbranch_execz .LBB91_514
	s_branch .LBB91_515
.LBB91_513:
                                        ; implicit-def: $vgpr32
.LBB91_514:
	ds_load_b32 v32, v125
.LBB91_515:
	s_mov_b32 s1, exec_lo
	v_cmpx_ne_u32_e32 9, v0
	s_cbranch_execz .LBB91_519
; %bb.516:
	v_mov_b64_e32 v[30:31], v[0:1]
	v_lshl_add_u32 v33, v0, 2, 0x74
	s_mov_b32 s2, 0
.LBB91_517:                             ; =>This Inner Loop Header: Depth=1
	s_delay_alu instid0(VALU_DEP_2)
	v_add_nc_u64_e32 v[30:31], 1, v[30:31]
	ds_load_b32 v36, v33
	v_add_nc_u32_e32 v33, 4, v33
	v_cmp_eq_u32_e32 vcc_lo, 1, v30
	v_cndmask_b32_e32 v35, v2, v3, vcc_lo
	v_cmp_eq_u32_e32 vcc_lo, 2, v30
	s_delay_alu instid0(VALU_DEP_2) | instskip(SKIP_1) | instid1(VALU_DEP_2)
	v_cndmask_b32_e32 v35, v35, v4, vcc_lo
	v_cmp_eq_u32_e32 vcc_lo, 3, v30
	v_cndmask_b32_e32 v35, v35, v5, vcc_lo
	v_cmp_eq_u32_e32 vcc_lo, 4, v30
	s_delay_alu instid0(VALU_DEP_2) | instskip(SKIP_1) | instid1(VALU_DEP_2)
	v_cndmask_b32_e32 v35, v35, v6, vcc_lo
	;; [unrolled: 5-line block ×13, first 2 shown]
	v_cmp_eq_u32_e32 vcc_lo, 27, v30
	v_cndmask_b32_e32 v35, v35, v29, vcc_lo
	v_cmp_lt_u32_e32 vcc_lo, 8, v30
	s_wait_dscnt 0x0
	s_delay_alu instid0(VALU_DEP_2) | instskip(SKIP_1) | instid1(SALU_CYCLE_1)
	v_fmac_f32_e32 v32, v35, v36
	s_or_b32 s2, vcc_lo, s2
	s_and_not1_b32 exec_lo, exec_lo, s2
	s_cbranch_execnz .LBB91_517
; %bb.518:
	s_or_b32 exec_lo, exec_lo, s2
.LBB91_519:
	s_delay_alu instid0(SALU_CYCLE_1)
	s_or_b32 exec_lo, exec_lo, s1
	v_mov_b32_e32 v12, 0
	ds_load_b32 v12, v12 offset:40
	s_wait_dscnt 0x0
	v_mul_f32_e32 v12, v32, v12
.LBB91_520:
	s_or_b32 exec_lo, exec_lo, s0
	s_delay_alu instid0(SALU_CYCLE_1)
	s_mov_b32 s0, exec_lo
	ds_store_b32 v125, v13
	s_wait_dscnt 0x0
	s_barrier_signal -1
	s_barrier_wait -1
	v_cmpx_gt_u32_e32 11, v0
	s_cbranch_execz .LBB91_530
; %bb.521:
	v_cmp_ne_u32_e32 vcc_lo, 1, v34
	s_cbranch_vccnz .LBB91_523
; %bb.522:
	v_cmp_eq_u32_e32 vcc_lo, 1, v0
	ds_load_b32 v31, v125
	v_cndmask_b32_e32 v30, v2, v3, vcc_lo
	v_cmp_eq_u32_e32 vcc_lo, 2, v0
	s_delay_alu instid0(VALU_DEP_2) | instskip(SKIP_1) | instid1(VALU_DEP_2)
	v_cndmask_b32_e32 v30, v30, v4, vcc_lo
	v_cmp_eq_u32_e32 vcc_lo, 3, v0
	v_cndmask_b32_e32 v30, v30, v5, vcc_lo
	v_cmp_eq_u32_e32 vcc_lo, 4, v0
	s_delay_alu instid0(VALU_DEP_2) | instskip(SKIP_1) | instid1(VALU_DEP_2)
	v_cndmask_b32_e32 v30, v30, v6, vcc_lo
	v_cmp_eq_u32_e32 vcc_lo, 5, v0
	;; [unrolled: 5-line block ×13, first 2 shown]
	v_cndmask_b32_e32 v30, v30, v29, vcc_lo
	s_wait_dscnt 0x0
	s_delay_alu instid0(VALU_DEP_1)
	v_mul_f32_e32 v32, v30, v31
	s_cbranch_execz .LBB91_524
	s_branch .LBB91_525
.LBB91_523:
                                        ; implicit-def: $vgpr32
.LBB91_524:
	ds_load_b32 v32, v125
.LBB91_525:
	s_mov_b32 s1, exec_lo
	v_cmpx_ne_u32_e32 10, v0
	s_cbranch_execz .LBB91_529
; %bb.526:
	v_mov_b64_e32 v[30:31], v[0:1]
	v_lshl_add_u32 v33, v0, 2, 0x74
	s_mov_b32 s2, 0
.LBB91_527:                             ; =>This Inner Loop Header: Depth=1
	s_delay_alu instid0(VALU_DEP_2)
	v_add_nc_u64_e32 v[30:31], 1, v[30:31]
	ds_load_b32 v36, v33
	v_add_nc_u32_e32 v33, 4, v33
	v_cmp_eq_u32_e32 vcc_lo, 1, v30
	v_cndmask_b32_e32 v35, v2, v3, vcc_lo
	v_cmp_eq_u32_e32 vcc_lo, 2, v30
	s_delay_alu instid0(VALU_DEP_2) | instskip(SKIP_1) | instid1(VALU_DEP_2)
	v_cndmask_b32_e32 v35, v35, v4, vcc_lo
	v_cmp_eq_u32_e32 vcc_lo, 3, v30
	v_cndmask_b32_e32 v35, v35, v5, vcc_lo
	v_cmp_eq_u32_e32 vcc_lo, 4, v30
	s_delay_alu instid0(VALU_DEP_2) | instskip(SKIP_1) | instid1(VALU_DEP_2)
	v_cndmask_b32_e32 v35, v35, v6, vcc_lo
	;; [unrolled: 5-line block ×13, first 2 shown]
	v_cmp_eq_u32_e32 vcc_lo, 27, v30
	v_cndmask_b32_e32 v35, v35, v29, vcc_lo
	v_cmp_lt_u32_e32 vcc_lo, 9, v30
	s_wait_dscnt 0x0
	s_delay_alu instid0(VALU_DEP_2) | instskip(SKIP_1) | instid1(SALU_CYCLE_1)
	v_fmac_f32_e32 v32, v35, v36
	s_or_b32 s2, vcc_lo, s2
	s_and_not1_b32 exec_lo, exec_lo, s2
	s_cbranch_execnz .LBB91_527
; %bb.528:
	s_or_b32 exec_lo, exec_lo, s2
.LBB91_529:
	s_delay_alu instid0(SALU_CYCLE_1)
	s_or_b32 exec_lo, exec_lo, s1
	v_mov_b32_e32 v13, 0
	ds_load_b32 v13, v13 offset:44
	s_wait_dscnt 0x0
	v_mul_f32_e32 v13, v32, v13
.LBB91_530:
	s_or_b32 exec_lo, exec_lo, s0
	s_delay_alu instid0(SALU_CYCLE_1)
	s_mov_b32 s0, exec_lo
	ds_store_b32 v125, v14
	s_wait_dscnt 0x0
	s_barrier_signal -1
	s_barrier_wait -1
	v_cmpx_gt_u32_e32 12, v0
	s_cbranch_execz .LBB91_540
; %bb.531:
	v_cmp_ne_u32_e32 vcc_lo, 1, v34
	s_cbranch_vccnz .LBB91_533
; %bb.532:
	v_cmp_eq_u32_e32 vcc_lo, 1, v0
	ds_load_b32 v31, v125
	v_cndmask_b32_e32 v30, v2, v3, vcc_lo
	v_cmp_eq_u32_e32 vcc_lo, 2, v0
	s_delay_alu instid0(VALU_DEP_2) | instskip(SKIP_1) | instid1(VALU_DEP_2)
	v_cndmask_b32_e32 v30, v30, v4, vcc_lo
	v_cmp_eq_u32_e32 vcc_lo, 3, v0
	v_cndmask_b32_e32 v30, v30, v5, vcc_lo
	v_cmp_eq_u32_e32 vcc_lo, 4, v0
	s_delay_alu instid0(VALU_DEP_2) | instskip(SKIP_1) | instid1(VALU_DEP_2)
	v_cndmask_b32_e32 v30, v30, v6, vcc_lo
	v_cmp_eq_u32_e32 vcc_lo, 5, v0
	v_cndmask_b32_e32 v30, v30, v7, vcc_lo
	v_cmp_eq_u32_e32 vcc_lo, 6, v0
	s_delay_alu instid0(VALU_DEP_2) | instskip(SKIP_1) | instid1(VALU_DEP_2)
	v_cndmask_b32_e32 v30, v30, v8, vcc_lo
	v_cmp_eq_u32_e32 vcc_lo, 7, v0
	v_cndmask_b32_e32 v30, v30, v9, vcc_lo
	v_cmp_eq_u32_e32 vcc_lo, 8, v0
	s_delay_alu instid0(VALU_DEP_2) | instskip(SKIP_1) | instid1(VALU_DEP_2)
	v_cndmask_b32_e32 v30, v30, v10, vcc_lo
	v_cmp_eq_u32_e32 vcc_lo, 9, v0
	v_cndmask_b32_e32 v30, v30, v11, vcc_lo
	v_cmp_eq_u32_e32 vcc_lo, 10, v0
	s_delay_alu instid0(VALU_DEP_2) | instskip(SKIP_1) | instid1(VALU_DEP_2)
	v_cndmask_b32_e32 v30, v30, v12, vcc_lo
	v_cmp_eq_u32_e32 vcc_lo, 11, v0
	v_cndmask_b32_e32 v30, v30, v13, vcc_lo
	v_cmp_eq_u32_e32 vcc_lo, 12, v0
	s_delay_alu instid0(VALU_DEP_2) | instskip(SKIP_1) | instid1(VALU_DEP_2)
	v_cndmask_b32_e32 v30, v30, v14, vcc_lo
	v_cmp_eq_u32_e32 vcc_lo, 13, v0
	v_cndmask_b32_e32 v30, v30, v15, vcc_lo
	v_cmp_eq_u32_e32 vcc_lo, 14, v0
	s_delay_alu instid0(VALU_DEP_2) | instskip(SKIP_1) | instid1(VALU_DEP_2)
	v_cndmask_b32_e32 v30, v30, v16, vcc_lo
	v_cmp_eq_u32_e32 vcc_lo, 15, v0
	v_cndmask_b32_e32 v30, v30, v17, vcc_lo
	v_cmp_eq_u32_e32 vcc_lo, 16, v0
	s_delay_alu instid0(VALU_DEP_2) | instskip(SKIP_1) | instid1(VALU_DEP_2)
	v_cndmask_b32_e32 v30, v30, v18, vcc_lo
	v_cmp_eq_u32_e32 vcc_lo, 17, v0
	v_cndmask_b32_e32 v30, v30, v19, vcc_lo
	v_cmp_eq_u32_e32 vcc_lo, 18, v0
	s_delay_alu instid0(VALU_DEP_2) | instskip(SKIP_1) | instid1(VALU_DEP_2)
	v_cndmask_b32_e32 v30, v30, v20, vcc_lo
	v_cmp_eq_u32_e32 vcc_lo, 19, v0
	v_cndmask_b32_e32 v30, v30, v21, vcc_lo
	v_cmp_eq_u32_e32 vcc_lo, 20, v0
	s_delay_alu instid0(VALU_DEP_2) | instskip(SKIP_1) | instid1(VALU_DEP_2)
	v_cndmask_b32_e32 v30, v30, v22, vcc_lo
	v_cmp_eq_u32_e32 vcc_lo, 21, v0
	v_cndmask_b32_e32 v30, v30, v23, vcc_lo
	v_cmp_eq_u32_e32 vcc_lo, 22, v0
	s_delay_alu instid0(VALU_DEP_2) | instskip(SKIP_1) | instid1(VALU_DEP_2)
	v_cndmask_b32_e32 v30, v30, v24, vcc_lo
	v_cmp_eq_u32_e32 vcc_lo, 23, v0
	v_cndmask_b32_e32 v30, v30, v25, vcc_lo
	v_cmp_eq_u32_e32 vcc_lo, 24, v0
	s_delay_alu instid0(VALU_DEP_2) | instskip(SKIP_1) | instid1(VALU_DEP_2)
	v_cndmask_b32_e32 v30, v30, v26, vcc_lo
	v_cmp_eq_u32_e32 vcc_lo, 25, v0
	v_cndmask_b32_e32 v30, v30, v27, vcc_lo
	v_cmp_eq_u32_e32 vcc_lo, 26, v0
	s_delay_alu instid0(VALU_DEP_2) | instskip(SKIP_1) | instid1(VALU_DEP_2)
	v_cndmask_b32_e32 v30, v30, v28, vcc_lo
	v_cmp_eq_u32_e32 vcc_lo, 27, v0
	v_cndmask_b32_e32 v30, v30, v29, vcc_lo
	s_wait_dscnt 0x0
	s_delay_alu instid0(VALU_DEP_1)
	v_mul_f32_e32 v32, v30, v31
	s_cbranch_execz .LBB91_534
	s_branch .LBB91_535
.LBB91_533:
                                        ; implicit-def: $vgpr32
.LBB91_534:
	ds_load_b32 v32, v125
.LBB91_535:
	s_mov_b32 s1, exec_lo
	v_cmpx_ne_u32_e32 11, v0
	s_cbranch_execz .LBB91_539
; %bb.536:
	v_mov_b64_e32 v[30:31], v[0:1]
	v_lshl_add_u32 v33, v0, 2, 0x74
	s_mov_b32 s2, 0
.LBB91_537:                             ; =>This Inner Loop Header: Depth=1
	s_delay_alu instid0(VALU_DEP_2)
	v_add_nc_u64_e32 v[30:31], 1, v[30:31]
	ds_load_b32 v36, v33
	v_add_nc_u32_e32 v33, 4, v33
	v_cmp_eq_u32_e32 vcc_lo, 1, v30
	v_cndmask_b32_e32 v35, v2, v3, vcc_lo
	v_cmp_eq_u32_e32 vcc_lo, 2, v30
	s_delay_alu instid0(VALU_DEP_2) | instskip(SKIP_1) | instid1(VALU_DEP_2)
	v_cndmask_b32_e32 v35, v35, v4, vcc_lo
	v_cmp_eq_u32_e32 vcc_lo, 3, v30
	v_cndmask_b32_e32 v35, v35, v5, vcc_lo
	v_cmp_eq_u32_e32 vcc_lo, 4, v30
	s_delay_alu instid0(VALU_DEP_2) | instskip(SKIP_1) | instid1(VALU_DEP_2)
	v_cndmask_b32_e32 v35, v35, v6, vcc_lo
	;; [unrolled: 5-line block ×13, first 2 shown]
	v_cmp_eq_u32_e32 vcc_lo, 27, v30
	v_cndmask_b32_e32 v35, v35, v29, vcc_lo
	v_cmp_lt_u32_e32 vcc_lo, 10, v30
	s_wait_dscnt 0x0
	s_delay_alu instid0(VALU_DEP_2) | instskip(SKIP_1) | instid1(SALU_CYCLE_1)
	v_fmac_f32_e32 v32, v35, v36
	s_or_b32 s2, vcc_lo, s2
	s_and_not1_b32 exec_lo, exec_lo, s2
	s_cbranch_execnz .LBB91_537
; %bb.538:
	s_or_b32 exec_lo, exec_lo, s2
.LBB91_539:
	s_delay_alu instid0(SALU_CYCLE_1)
	s_or_b32 exec_lo, exec_lo, s1
	v_mov_b32_e32 v14, 0
	ds_load_b32 v14, v14 offset:48
	s_wait_dscnt 0x0
	v_mul_f32_e32 v14, v32, v14
.LBB91_540:
	s_or_b32 exec_lo, exec_lo, s0
	s_delay_alu instid0(SALU_CYCLE_1)
	s_mov_b32 s0, exec_lo
	ds_store_b32 v125, v15
	s_wait_dscnt 0x0
	s_barrier_signal -1
	s_barrier_wait -1
	v_cmpx_gt_u32_e32 13, v0
	s_cbranch_execz .LBB91_550
; %bb.541:
	v_cmp_ne_u32_e32 vcc_lo, 1, v34
	s_cbranch_vccnz .LBB91_543
; %bb.542:
	v_cmp_eq_u32_e32 vcc_lo, 1, v0
	ds_load_b32 v31, v125
	v_cndmask_b32_e32 v30, v2, v3, vcc_lo
	v_cmp_eq_u32_e32 vcc_lo, 2, v0
	s_delay_alu instid0(VALU_DEP_2) | instskip(SKIP_1) | instid1(VALU_DEP_2)
	v_cndmask_b32_e32 v30, v30, v4, vcc_lo
	v_cmp_eq_u32_e32 vcc_lo, 3, v0
	v_cndmask_b32_e32 v30, v30, v5, vcc_lo
	v_cmp_eq_u32_e32 vcc_lo, 4, v0
	s_delay_alu instid0(VALU_DEP_2) | instskip(SKIP_1) | instid1(VALU_DEP_2)
	v_cndmask_b32_e32 v30, v30, v6, vcc_lo
	v_cmp_eq_u32_e32 vcc_lo, 5, v0
	;; [unrolled: 5-line block ×13, first 2 shown]
	v_cndmask_b32_e32 v30, v30, v29, vcc_lo
	s_wait_dscnt 0x0
	s_delay_alu instid0(VALU_DEP_1)
	v_mul_f32_e32 v32, v30, v31
	s_cbranch_execz .LBB91_544
	s_branch .LBB91_545
.LBB91_543:
                                        ; implicit-def: $vgpr32
.LBB91_544:
	ds_load_b32 v32, v125
.LBB91_545:
	s_mov_b32 s1, exec_lo
	v_cmpx_ne_u32_e32 12, v0
	s_cbranch_execz .LBB91_549
; %bb.546:
	v_mov_b64_e32 v[30:31], v[0:1]
	v_lshl_add_u32 v33, v0, 2, 0x74
	s_mov_b32 s2, 0
.LBB91_547:                             ; =>This Inner Loop Header: Depth=1
	s_delay_alu instid0(VALU_DEP_2)
	v_add_nc_u64_e32 v[30:31], 1, v[30:31]
	ds_load_b32 v36, v33
	v_add_nc_u32_e32 v33, 4, v33
	v_cmp_eq_u32_e32 vcc_lo, 1, v30
	v_cndmask_b32_e32 v35, v2, v3, vcc_lo
	v_cmp_eq_u32_e32 vcc_lo, 2, v30
	s_delay_alu instid0(VALU_DEP_2) | instskip(SKIP_1) | instid1(VALU_DEP_2)
	v_cndmask_b32_e32 v35, v35, v4, vcc_lo
	v_cmp_eq_u32_e32 vcc_lo, 3, v30
	v_cndmask_b32_e32 v35, v35, v5, vcc_lo
	v_cmp_eq_u32_e32 vcc_lo, 4, v30
	s_delay_alu instid0(VALU_DEP_2) | instskip(SKIP_1) | instid1(VALU_DEP_2)
	v_cndmask_b32_e32 v35, v35, v6, vcc_lo
	;; [unrolled: 5-line block ×13, first 2 shown]
	v_cmp_eq_u32_e32 vcc_lo, 27, v30
	v_cndmask_b32_e32 v35, v35, v29, vcc_lo
	v_cmp_lt_u32_e32 vcc_lo, 11, v30
	s_wait_dscnt 0x0
	s_delay_alu instid0(VALU_DEP_2) | instskip(SKIP_1) | instid1(SALU_CYCLE_1)
	v_fmac_f32_e32 v32, v35, v36
	s_or_b32 s2, vcc_lo, s2
	s_and_not1_b32 exec_lo, exec_lo, s2
	s_cbranch_execnz .LBB91_547
; %bb.548:
	s_or_b32 exec_lo, exec_lo, s2
.LBB91_549:
	s_delay_alu instid0(SALU_CYCLE_1)
	s_or_b32 exec_lo, exec_lo, s1
	v_mov_b32_e32 v15, 0
	ds_load_b32 v15, v15 offset:52
	s_wait_dscnt 0x0
	v_mul_f32_e32 v15, v32, v15
.LBB91_550:
	s_or_b32 exec_lo, exec_lo, s0
	s_delay_alu instid0(SALU_CYCLE_1)
	s_mov_b32 s0, exec_lo
	ds_store_b32 v125, v16
	s_wait_dscnt 0x0
	s_barrier_signal -1
	s_barrier_wait -1
	v_cmpx_gt_u32_e32 14, v0
	s_cbranch_execz .LBB91_560
; %bb.551:
	v_cmp_ne_u32_e32 vcc_lo, 1, v34
	s_cbranch_vccnz .LBB91_553
; %bb.552:
	v_cmp_eq_u32_e32 vcc_lo, 1, v0
	ds_load_b32 v31, v125
	v_cndmask_b32_e32 v30, v2, v3, vcc_lo
	v_cmp_eq_u32_e32 vcc_lo, 2, v0
	s_delay_alu instid0(VALU_DEP_2) | instskip(SKIP_1) | instid1(VALU_DEP_2)
	v_cndmask_b32_e32 v30, v30, v4, vcc_lo
	v_cmp_eq_u32_e32 vcc_lo, 3, v0
	v_cndmask_b32_e32 v30, v30, v5, vcc_lo
	v_cmp_eq_u32_e32 vcc_lo, 4, v0
	s_delay_alu instid0(VALU_DEP_2) | instskip(SKIP_1) | instid1(VALU_DEP_2)
	v_cndmask_b32_e32 v30, v30, v6, vcc_lo
	v_cmp_eq_u32_e32 vcc_lo, 5, v0
	;; [unrolled: 5-line block ×13, first 2 shown]
	v_cndmask_b32_e32 v30, v30, v29, vcc_lo
	s_wait_dscnt 0x0
	s_delay_alu instid0(VALU_DEP_1)
	v_mul_f32_e32 v32, v30, v31
	s_cbranch_execz .LBB91_554
	s_branch .LBB91_555
.LBB91_553:
                                        ; implicit-def: $vgpr32
.LBB91_554:
	ds_load_b32 v32, v125
.LBB91_555:
	s_mov_b32 s1, exec_lo
	v_cmpx_ne_u32_e32 13, v0
	s_cbranch_execz .LBB91_559
; %bb.556:
	v_mov_b64_e32 v[30:31], v[0:1]
	v_lshl_add_u32 v33, v0, 2, 0x74
	s_mov_b32 s2, 0
.LBB91_557:                             ; =>This Inner Loop Header: Depth=1
	s_delay_alu instid0(VALU_DEP_2)
	v_add_nc_u64_e32 v[30:31], 1, v[30:31]
	ds_load_b32 v36, v33
	v_add_nc_u32_e32 v33, 4, v33
	v_cmp_eq_u32_e32 vcc_lo, 1, v30
	v_cndmask_b32_e32 v35, v2, v3, vcc_lo
	v_cmp_eq_u32_e32 vcc_lo, 2, v30
	s_delay_alu instid0(VALU_DEP_2) | instskip(SKIP_1) | instid1(VALU_DEP_2)
	v_cndmask_b32_e32 v35, v35, v4, vcc_lo
	v_cmp_eq_u32_e32 vcc_lo, 3, v30
	v_cndmask_b32_e32 v35, v35, v5, vcc_lo
	v_cmp_eq_u32_e32 vcc_lo, 4, v30
	s_delay_alu instid0(VALU_DEP_2) | instskip(SKIP_1) | instid1(VALU_DEP_2)
	v_cndmask_b32_e32 v35, v35, v6, vcc_lo
	;; [unrolled: 5-line block ×13, first 2 shown]
	v_cmp_eq_u32_e32 vcc_lo, 27, v30
	v_cndmask_b32_e32 v35, v35, v29, vcc_lo
	v_cmp_lt_u32_e32 vcc_lo, 12, v30
	s_wait_dscnt 0x0
	s_delay_alu instid0(VALU_DEP_2) | instskip(SKIP_1) | instid1(SALU_CYCLE_1)
	v_fmac_f32_e32 v32, v35, v36
	s_or_b32 s2, vcc_lo, s2
	s_and_not1_b32 exec_lo, exec_lo, s2
	s_cbranch_execnz .LBB91_557
; %bb.558:
	s_or_b32 exec_lo, exec_lo, s2
.LBB91_559:
	s_delay_alu instid0(SALU_CYCLE_1)
	s_or_b32 exec_lo, exec_lo, s1
	v_mov_b32_e32 v16, 0
	ds_load_b32 v16, v16 offset:56
	s_wait_dscnt 0x0
	v_mul_f32_e32 v16, v32, v16
.LBB91_560:
	s_or_b32 exec_lo, exec_lo, s0
	s_delay_alu instid0(SALU_CYCLE_1)
	s_mov_b32 s0, exec_lo
	ds_store_b32 v125, v17
	s_wait_dscnt 0x0
	s_barrier_signal -1
	s_barrier_wait -1
	v_cmpx_gt_u32_e32 15, v0
	s_cbranch_execz .LBB91_570
; %bb.561:
	v_cmp_ne_u32_e32 vcc_lo, 1, v34
	s_cbranch_vccnz .LBB91_563
; %bb.562:
	v_cmp_eq_u32_e32 vcc_lo, 1, v0
	ds_load_b32 v31, v125
	v_cndmask_b32_e32 v30, v2, v3, vcc_lo
	v_cmp_eq_u32_e32 vcc_lo, 2, v0
	s_delay_alu instid0(VALU_DEP_2) | instskip(SKIP_1) | instid1(VALU_DEP_2)
	v_cndmask_b32_e32 v30, v30, v4, vcc_lo
	v_cmp_eq_u32_e32 vcc_lo, 3, v0
	v_cndmask_b32_e32 v30, v30, v5, vcc_lo
	v_cmp_eq_u32_e32 vcc_lo, 4, v0
	s_delay_alu instid0(VALU_DEP_2) | instskip(SKIP_1) | instid1(VALU_DEP_2)
	v_cndmask_b32_e32 v30, v30, v6, vcc_lo
	v_cmp_eq_u32_e32 vcc_lo, 5, v0
	;; [unrolled: 5-line block ×13, first 2 shown]
	v_cndmask_b32_e32 v30, v30, v29, vcc_lo
	s_wait_dscnt 0x0
	s_delay_alu instid0(VALU_DEP_1)
	v_mul_f32_e32 v32, v30, v31
	s_cbranch_execz .LBB91_564
	s_branch .LBB91_565
.LBB91_563:
                                        ; implicit-def: $vgpr32
.LBB91_564:
	ds_load_b32 v32, v125
.LBB91_565:
	s_mov_b32 s1, exec_lo
	v_cmpx_ne_u32_e32 14, v0
	s_cbranch_execz .LBB91_569
; %bb.566:
	v_mov_b64_e32 v[30:31], v[0:1]
	v_lshl_add_u32 v33, v0, 2, 0x74
	s_mov_b32 s2, 0
.LBB91_567:                             ; =>This Inner Loop Header: Depth=1
	s_delay_alu instid0(VALU_DEP_2)
	v_add_nc_u64_e32 v[30:31], 1, v[30:31]
	ds_load_b32 v36, v33
	v_add_nc_u32_e32 v33, 4, v33
	v_cmp_eq_u32_e32 vcc_lo, 1, v30
	v_cndmask_b32_e32 v35, v2, v3, vcc_lo
	v_cmp_eq_u32_e32 vcc_lo, 2, v30
	s_delay_alu instid0(VALU_DEP_2) | instskip(SKIP_1) | instid1(VALU_DEP_2)
	v_cndmask_b32_e32 v35, v35, v4, vcc_lo
	v_cmp_eq_u32_e32 vcc_lo, 3, v30
	v_cndmask_b32_e32 v35, v35, v5, vcc_lo
	v_cmp_eq_u32_e32 vcc_lo, 4, v30
	s_delay_alu instid0(VALU_DEP_2) | instskip(SKIP_1) | instid1(VALU_DEP_2)
	v_cndmask_b32_e32 v35, v35, v6, vcc_lo
	v_cmp_eq_u32_e32 vcc_lo, 5, v30
	v_cndmask_b32_e32 v35, v35, v7, vcc_lo
	v_cmp_eq_u32_e32 vcc_lo, 6, v30
	s_delay_alu instid0(VALU_DEP_2) | instskip(SKIP_1) | instid1(VALU_DEP_2)
	v_cndmask_b32_e32 v35, v35, v8, vcc_lo
	v_cmp_eq_u32_e32 vcc_lo, 7, v30
	v_cndmask_b32_e32 v35, v35, v9, vcc_lo
	v_cmp_eq_u32_e32 vcc_lo, 8, v30
	s_delay_alu instid0(VALU_DEP_2) | instskip(SKIP_1) | instid1(VALU_DEP_2)
	v_cndmask_b32_e32 v35, v35, v10, vcc_lo
	v_cmp_eq_u32_e32 vcc_lo, 9, v30
	v_cndmask_b32_e32 v35, v35, v11, vcc_lo
	v_cmp_eq_u32_e32 vcc_lo, 10, v30
	s_delay_alu instid0(VALU_DEP_2) | instskip(SKIP_1) | instid1(VALU_DEP_2)
	v_cndmask_b32_e32 v35, v35, v12, vcc_lo
	v_cmp_eq_u32_e32 vcc_lo, 11, v30
	v_cndmask_b32_e32 v35, v35, v13, vcc_lo
	v_cmp_eq_u32_e32 vcc_lo, 12, v30
	s_delay_alu instid0(VALU_DEP_2) | instskip(SKIP_1) | instid1(VALU_DEP_2)
	v_cndmask_b32_e32 v35, v35, v14, vcc_lo
	v_cmp_eq_u32_e32 vcc_lo, 13, v30
	v_cndmask_b32_e32 v35, v35, v15, vcc_lo
	v_cmp_eq_u32_e32 vcc_lo, 14, v30
	s_delay_alu instid0(VALU_DEP_2) | instskip(SKIP_1) | instid1(VALU_DEP_2)
	v_cndmask_b32_e32 v35, v35, v16, vcc_lo
	v_cmp_eq_u32_e32 vcc_lo, 15, v30
	v_cndmask_b32_e32 v35, v35, v17, vcc_lo
	v_cmp_eq_u32_e32 vcc_lo, 16, v30
	s_delay_alu instid0(VALU_DEP_2) | instskip(SKIP_1) | instid1(VALU_DEP_2)
	v_cndmask_b32_e32 v35, v35, v18, vcc_lo
	v_cmp_eq_u32_e32 vcc_lo, 17, v30
	v_cndmask_b32_e32 v35, v35, v19, vcc_lo
	v_cmp_eq_u32_e32 vcc_lo, 18, v30
	s_delay_alu instid0(VALU_DEP_2) | instskip(SKIP_1) | instid1(VALU_DEP_2)
	v_cndmask_b32_e32 v35, v35, v20, vcc_lo
	v_cmp_eq_u32_e32 vcc_lo, 19, v30
	v_cndmask_b32_e32 v35, v35, v21, vcc_lo
	v_cmp_eq_u32_e32 vcc_lo, 20, v30
	s_delay_alu instid0(VALU_DEP_2) | instskip(SKIP_1) | instid1(VALU_DEP_2)
	v_cndmask_b32_e32 v35, v35, v22, vcc_lo
	v_cmp_eq_u32_e32 vcc_lo, 21, v30
	v_cndmask_b32_e32 v35, v35, v23, vcc_lo
	v_cmp_eq_u32_e32 vcc_lo, 22, v30
	s_delay_alu instid0(VALU_DEP_2) | instskip(SKIP_1) | instid1(VALU_DEP_2)
	v_cndmask_b32_e32 v35, v35, v24, vcc_lo
	v_cmp_eq_u32_e32 vcc_lo, 23, v30
	v_cndmask_b32_e32 v35, v35, v25, vcc_lo
	v_cmp_eq_u32_e32 vcc_lo, 24, v30
	s_delay_alu instid0(VALU_DEP_2) | instskip(SKIP_1) | instid1(VALU_DEP_2)
	v_cndmask_b32_e32 v35, v35, v26, vcc_lo
	v_cmp_eq_u32_e32 vcc_lo, 25, v30
	v_cndmask_b32_e32 v35, v35, v27, vcc_lo
	v_cmp_eq_u32_e32 vcc_lo, 26, v30
	s_delay_alu instid0(VALU_DEP_2) | instskip(SKIP_1) | instid1(VALU_DEP_2)
	v_cndmask_b32_e32 v35, v35, v28, vcc_lo
	v_cmp_eq_u32_e32 vcc_lo, 27, v30
	v_cndmask_b32_e32 v35, v35, v29, vcc_lo
	v_cmp_lt_u32_e32 vcc_lo, 13, v30
	s_wait_dscnt 0x0
	s_delay_alu instid0(VALU_DEP_2) | instskip(SKIP_1) | instid1(SALU_CYCLE_1)
	v_fmac_f32_e32 v32, v35, v36
	s_or_b32 s2, vcc_lo, s2
	s_and_not1_b32 exec_lo, exec_lo, s2
	s_cbranch_execnz .LBB91_567
; %bb.568:
	s_or_b32 exec_lo, exec_lo, s2
.LBB91_569:
	s_delay_alu instid0(SALU_CYCLE_1)
	s_or_b32 exec_lo, exec_lo, s1
	v_mov_b32_e32 v17, 0
	ds_load_b32 v17, v17 offset:60
	s_wait_dscnt 0x0
	v_mul_f32_e32 v17, v32, v17
.LBB91_570:
	s_or_b32 exec_lo, exec_lo, s0
	s_delay_alu instid0(SALU_CYCLE_1)
	s_mov_b32 s0, exec_lo
	ds_store_b32 v125, v18
	s_wait_dscnt 0x0
	s_barrier_signal -1
	s_barrier_wait -1
	v_cmpx_gt_u32_e32 16, v0
	s_cbranch_execz .LBB91_580
; %bb.571:
	v_cmp_ne_u32_e32 vcc_lo, 1, v34
	s_cbranch_vccnz .LBB91_573
; %bb.572:
	v_cmp_eq_u32_e32 vcc_lo, 1, v0
	ds_load_b32 v31, v125
	v_cndmask_b32_e32 v30, v2, v3, vcc_lo
	v_cmp_eq_u32_e32 vcc_lo, 2, v0
	s_delay_alu instid0(VALU_DEP_2) | instskip(SKIP_1) | instid1(VALU_DEP_2)
	v_cndmask_b32_e32 v30, v30, v4, vcc_lo
	v_cmp_eq_u32_e32 vcc_lo, 3, v0
	v_cndmask_b32_e32 v30, v30, v5, vcc_lo
	v_cmp_eq_u32_e32 vcc_lo, 4, v0
	s_delay_alu instid0(VALU_DEP_2) | instskip(SKIP_1) | instid1(VALU_DEP_2)
	v_cndmask_b32_e32 v30, v30, v6, vcc_lo
	v_cmp_eq_u32_e32 vcc_lo, 5, v0
	;; [unrolled: 5-line block ×13, first 2 shown]
	v_cndmask_b32_e32 v30, v30, v29, vcc_lo
	s_wait_dscnt 0x0
	s_delay_alu instid0(VALU_DEP_1)
	v_mul_f32_e32 v32, v30, v31
	s_cbranch_execz .LBB91_574
	s_branch .LBB91_575
.LBB91_573:
                                        ; implicit-def: $vgpr32
.LBB91_574:
	ds_load_b32 v32, v125
.LBB91_575:
	s_mov_b32 s1, exec_lo
	v_cmpx_ne_u32_e32 15, v0
	s_cbranch_execz .LBB91_579
; %bb.576:
	v_mov_b64_e32 v[30:31], v[0:1]
	v_lshl_add_u32 v33, v0, 2, 0x74
	s_mov_b32 s2, 0
.LBB91_577:                             ; =>This Inner Loop Header: Depth=1
	s_delay_alu instid0(VALU_DEP_2)
	v_add_nc_u64_e32 v[30:31], 1, v[30:31]
	ds_load_b32 v36, v33
	v_add_nc_u32_e32 v33, 4, v33
	v_cmp_eq_u32_e32 vcc_lo, 1, v30
	v_cndmask_b32_e32 v35, v2, v3, vcc_lo
	v_cmp_eq_u32_e32 vcc_lo, 2, v30
	s_delay_alu instid0(VALU_DEP_2) | instskip(SKIP_1) | instid1(VALU_DEP_2)
	v_cndmask_b32_e32 v35, v35, v4, vcc_lo
	v_cmp_eq_u32_e32 vcc_lo, 3, v30
	v_cndmask_b32_e32 v35, v35, v5, vcc_lo
	v_cmp_eq_u32_e32 vcc_lo, 4, v30
	s_delay_alu instid0(VALU_DEP_2) | instskip(SKIP_1) | instid1(VALU_DEP_2)
	v_cndmask_b32_e32 v35, v35, v6, vcc_lo
	;; [unrolled: 5-line block ×13, first 2 shown]
	v_cmp_eq_u32_e32 vcc_lo, 27, v30
	v_cndmask_b32_e32 v35, v35, v29, vcc_lo
	v_cmp_lt_u32_e32 vcc_lo, 14, v30
	s_wait_dscnt 0x0
	s_delay_alu instid0(VALU_DEP_2) | instskip(SKIP_1) | instid1(SALU_CYCLE_1)
	v_fmac_f32_e32 v32, v35, v36
	s_or_b32 s2, vcc_lo, s2
	s_and_not1_b32 exec_lo, exec_lo, s2
	s_cbranch_execnz .LBB91_577
; %bb.578:
	s_or_b32 exec_lo, exec_lo, s2
.LBB91_579:
	s_delay_alu instid0(SALU_CYCLE_1)
	s_or_b32 exec_lo, exec_lo, s1
	v_mov_b32_e32 v18, 0
	ds_load_b32 v18, v18 offset:64
	s_wait_dscnt 0x0
	v_mul_f32_e32 v18, v32, v18
.LBB91_580:
	s_or_b32 exec_lo, exec_lo, s0
	s_delay_alu instid0(SALU_CYCLE_1)
	s_mov_b32 s0, exec_lo
	ds_store_b32 v125, v19
	s_wait_dscnt 0x0
	s_barrier_signal -1
	s_barrier_wait -1
	v_cmpx_gt_u32_e32 17, v0
	s_cbranch_execz .LBB91_590
; %bb.581:
	v_cmp_ne_u32_e32 vcc_lo, 1, v34
	s_cbranch_vccnz .LBB91_583
; %bb.582:
	v_cmp_eq_u32_e32 vcc_lo, 1, v0
	ds_load_b32 v31, v125
	v_cndmask_b32_e32 v30, v2, v3, vcc_lo
	v_cmp_eq_u32_e32 vcc_lo, 2, v0
	s_delay_alu instid0(VALU_DEP_2) | instskip(SKIP_1) | instid1(VALU_DEP_2)
	v_cndmask_b32_e32 v30, v30, v4, vcc_lo
	v_cmp_eq_u32_e32 vcc_lo, 3, v0
	v_cndmask_b32_e32 v30, v30, v5, vcc_lo
	v_cmp_eq_u32_e32 vcc_lo, 4, v0
	s_delay_alu instid0(VALU_DEP_2) | instskip(SKIP_1) | instid1(VALU_DEP_2)
	v_cndmask_b32_e32 v30, v30, v6, vcc_lo
	v_cmp_eq_u32_e32 vcc_lo, 5, v0
	v_cndmask_b32_e32 v30, v30, v7, vcc_lo
	v_cmp_eq_u32_e32 vcc_lo, 6, v0
	s_delay_alu instid0(VALU_DEP_2) | instskip(SKIP_1) | instid1(VALU_DEP_2)
	v_cndmask_b32_e32 v30, v30, v8, vcc_lo
	v_cmp_eq_u32_e32 vcc_lo, 7, v0
	v_cndmask_b32_e32 v30, v30, v9, vcc_lo
	v_cmp_eq_u32_e32 vcc_lo, 8, v0
	s_delay_alu instid0(VALU_DEP_2) | instskip(SKIP_1) | instid1(VALU_DEP_2)
	v_cndmask_b32_e32 v30, v30, v10, vcc_lo
	v_cmp_eq_u32_e32 vcc_lo, 9, v0
	v_cndmask_b32_e32 v30, v30, v11, vcc_lo
	v_cmp_eq_u32_e32 vcc_lo, 10, v0
	s_delay_alu instid0(VALU_DEP_2) | instskip(SKIP_1) | instid1(VALU_DEP_2)
	v_cndmask_b32_e32 v30, v30, v12, vcc_lo
	v_cmp_eq_u32_e32 vcc_lo, 11, v0
	v_cndmask_b32_e32 v30, v30, v13, vcc_lo
	v_cmp_eq_u32_e32 vcc_lo, 12, v0
	s_delay_alu instid0(VALU_DEP_2) | instskip(SKIP_1) | instid1(VALU_DEP_2)
	v_cndmask_b32_e32 v30, v30, v14, vcc_lo
	v_cmp_eq_u32_e32 vcc_lo, 13, v0
	v_cndmask_b32_e32 v30, v30, v15, vcc_lo
	v_cmp_eq_u32_e32 vcc_lo, 14, v0
	s_delay_alu instid0(VALU_DEP_2) | instskip(SKIP_1) | instid1(VALU_DEP_2)
	v_cndmask_b32_e32 v30, v30, v16, vcc_lo
	v_cmp_eq_u32_e32 vcc_lo, 15, v0
	v_cndmask_b32_e32 v30, v30, v17, vcc_lo
	v_cmp_eq_u32_e32 vcc_lo, 16, v0
	s_delay_alu instid0(VALU_DEP_2) | instskip(SKIP_1) | instid1(VALU_DEP_2)
	v_cndmask_b32_e32 v30, v30, v18, vcc_lo
	v_cmp_eq_u32_e32 vcc_lo, 17, v0
	v_cndmask_b32_e32 v30, v30, v19, vcc_lo
	v_cmp_eq_u32_e32 vcc_lo, 18, v0
	s_delay_alu instid0(VALU_DEP_2) | instskip(SKIP_1) | instid1(VALU_DEP_2)
	v_cndmask_b32_e32 v30, v30, v20, vcc_lo
	v_cmp_eq_u32_e32 vcc_lo, 19, v0
	v_cndmask_b32_e32 v30, v30, v21, vcc_lo
	v_cmp_eq_u32_e32 vcc_lo, 20, v0
	s_delay_alu instid0(VALU_DEP_2) | instskip(SKIP_1) | instid1(VALU_DEP_2)
	v_cndmask_b32_e32 v30, v30, v22, vcc_lo
	v_cmp_eq_u32_e32 vcc_lo, 21, v0
	v_cndmask_b32_e32 v30, v30, v23, vcc_lo
	v_cmp_eq_u32_e32 vcc_lo, 22, v0
	s_delay_alu instid0(VALU_DEP_2) | instskip(SKIP_1) | instid1(VALU_DEP_2)
	v_cndmask_b32_e32 v30, v30, v24, vcc_lo
	v_cmp_eq_u32_e32 vcc_lo, 23, v0
	v_cndmask_b32_e32 v30, v30, v25, vcc_lo
	v_cmp_eq_u32_e32 vcc_lo, 24, v0
	s_delay_alu instid0(VALU_DEP_2) | instskip(SKIP_1) | instid1(VALU_DEP_2)
	v_cndmask_b32_e32 v30, v30, v26, vcc_lo
	v_cmp_eq_u32_e32 vcc_lo, 25, v0
	v_cndmask_b32_e32 v30, v30, v27, vcc_lo
	v_cmp_eq_u32_e32 vcc_lo, 26, v0
	s_delay_alu instid0(VALU_DEP_2) | instskip(SKIP_1) | instid1(VALU_DEP_2)
	v_cndmask_b32_e32 v30, v30, v28, vcc_lo
	v_cmp_eq_u32_e32 vcc_lo, 27, v0
	v_cndmask_b32_e32 v30, v30, v29, vcc_lo
	s_wait_dscnt 0x0
	s_delay_alu instid0(VALU_DEP_1)
	v_mul_f32_e32 v32, v30, v31
	s_cbranch_execz .LBB91_584
	s_branch .LBB91_585
.LBB91_583:
                                        ; implicit-def: $vgpr32
.LBB91_584:
	ds_load_b32 v32, v125
.LBB91_585:
	s_mov_b32 s1, exec_lo
	v_cmpx_ne_u32_e32 16, v0
	s_cbranch_execz .LBB91_589
; %bb.586:
	v_mov_b64_e32 v[30:31], v[0:1]
	v_lshl_add_u32 v33, v0, 2, 0x74
	s_mov_b32 s2, 0
.LBB91_587:                             ; =>This Inner Loop Header: Depth=1
	s_delay_alu instid0(VALU_DEP_2)
	v_add_nc_u64_e32 v[30:31], 1, v[30:31]
	ds_load_b32 v36, v33
	v_add_nc_u32_e32 v33, 4, v33
	v_cmp_eq_u32_e32 vcc_lo, 1, v30
	v_cndmask_b32_e32 v35, v2, v3, vcc_lo
	v_cmp_eq_u32_e32 vcc_lo, 2, v30
	s_delay_alu instid0(VALU_DEP_2) | instskip(SKIP_1) | instid1(VALU_DEP_2)
	v_cndmask_b32_e32 v35, v35, v4, vcc_lo
	v_cmp_eq_u32_e32 vcc_lo, 3, v30
	v_cndmask_b32_e32 v35, v35, v5, vcc_lo
	v_cmp_eq_u32_e32 vcc_lo, 4, v30
	s_delay_alu instid0(VALU_DEP_2) | instskip(SKIP_1) | instid1(VALU_DEP_2)
	v_cndmask_b32_e32 v35, v35, v6, vcc_lo
	;; [unrolled: 5-line block ×13, first 2 shown]
	v_cmp_eq_u32_e32 vcc_lo, 27, v30
	v_cndmask_b32_e32 v35, v35, v29, vcc_lo
	v_cmp_lt_u32_e32 vcc_lo, 15, v30
	s_wait_dscnt 0x0
	s_delay_alu instid0(VALU_DEP_2) | instskip(SKIP_1) | instid1(SALU_CYCLE_1)
	v_fmac_f32_e32 v32, v35, v36
	s_or_b32 s2, vcc_lo, s2
	s_and_not1_b32 exec_lo, exec_lo, s2
	s_cbranch_execnz .LBB91_587
; %bb.588:
	s_or_b32 exec_lo, exec_lo, s2
.LBB91_589:
	s_delay_alu instid0(SALU_CYCLE_1)
	s_or_b32 exec_lo, exec_lo, s1
	v_mov_b32_e32 v19, 0
	ds_load_b32 v19, v19 offset:68
	s_wait_dscnt 0x0
	v_mul_f32_e32 v19, v32, v19
.LBB91_590:
	s_or_b32 exec_lo, exec_lo, s0
	s_delay_alu instid0(SALU_CYCLE_1)
	s_mov_b32 s0, exec_lo
	ds_store_b32 v125, v20
	s_wait_dscnt 0x0
	s_barrier_signal -1
	s_barrier_wait -1
	v_cmpx_gt_u32_e32 18, v0
	s_cbranch_execz .LBB91_600
; %bb.591:
	v_cmp_ne_u32_e32 vcc_lo, 1, v34
	s_cbranch_vccnz .LBB91_593
; %bb.592:
	v_cmp_eq_u32_e32 vcc_lo, 1, v0
	ds_load_b32 v31, v125
	v_cndmask_b32_e32 v30, v2, v3, vcc_lo
	v_cmp_eq_u32_e32 vcc_lo, 2, v0
	s_delay_alu instid0(VALU_DEP_2) | instskip(SKIP_1) | instid1(VALU_DEP_2)
	v_cndmask_b32_e32 v30, v30, v4, vcc_lo
	v_cmp_eq_u32_e32 vcc_lo, 3, v0
	v_cndmask_b32_e32 v30, v30, v5, vcc_lo
	v_cmp_eq_u32_e32 vcc_lo, 4, v0
	s_delay_alu instid0(VALU_DEP_2) | instskip(SKIP_1) | instid1(VALU_DEP_2)
	v_cndmask_b32_e32 v30, v30, v6, vcc_lo
	v_cmp_eq_u32_e32 vcc_lo, 5, v0
	;; [unrolled: 5-line block ×13, first 2 shown]
	v_cndmask_b32_e32 v30, v30, v29, vcc_lo
	s_wait_dscnt 0x0
	s_delay_alu instid0(VALU_DEP_1)
	v_mul_f32_e32 v32, v30, v31
	s_cbranch_execz .LBB91_594
	s_branch .LBB91_595
.LBB91_593:
                                        ; implicit-def: $vgpr32
.LBB91_594:
	ds_load_b32 v32, v125
.LBB91_595:
	s_mov_b32 s1, exec_lo
	v_cmpx_ne_u32_e32 17, v0
	s_cbranch_execz .LBB91_599
; %bb.596:
	v_mov_b64_e32 v[30:31], v[0:1]
	v_lshl_add_u32 v33, v0, 2, 0x74
	s_mov_b32 s2, 0
.LBB91_597:                             ; =>This Inner Loop Header: Depth=1
	s_delay_alu instid0(VALU_DEP_2)
	v_add_nc_u64_e32 v[30:31], 1, v[30:31]
	ds_load_b32 v36, v33
	v_add_nc_u32_e32 v33, 4, v33
	v_cmp_eq_u32_e32 vcc_lo, 1, v30
	v_cndmask_b32_e32 v35, v2, v3, vcc_lo
	v_cmp_eq_u32_e32 vcc_lo, 2, v30
	s_delay_alu instid0(VALU_DEP_2) | instskip(SKIP_1) | instid1(VALU_DEP_2)
	v_cndmask_b32_e32 v35, v35, v4, vcc_lo
	v_cmp_eq_u32_e32 vcc_lo, 3, v30
	v_cndmask_b32_e32 v35, v35, v5, vcc_lo
	v_cmp_eq_u32_e32 vcc_lo, 4, v30
	s_delay_alu instid0(VALU_DEP_2) | instskip(SKIP_1) | instid1(VALU_DEP_2)
	v_cndmask_b32_e32 v35, v35, v6, vcc_lo
	;; [unrolled: 5-line block ×13, first 2 shown]
	v_cmp_eq_u32_e32 vcc_lo, 27, v30
	v_cndmask_b32_e32 v35, v35, v29, vcc_lo
	v_cmp_lt_u32_e32 vcc_lo, 16, v30
	s_wait_dscnt 0x0
	s_delay_alu instid0(VALU_DEP_2) | instskip(SKIP_1) | instid1(SALU_CYCLE_1)
	v_fmac_f32_e32 v32, v35, v36
	s_or_b32 s2, vcc_lo, s2
	s_and_not1_b32 exec_lo, exec_lo, s2
	s_cbranch_execnz .LBB91_597
; %bb.598:
	s_or_b32 exec_lo, exec_lo, s2
.LBB91_599:
	s_delay_alu instid0(SALU_CYCLE_1)
	s_or_b32 exec_lo, exec_lo, s1
	v_mov_b32_e32 v20, 0
	ds_load_b32 v20, v20 offset:72
	s_wait_dscnt 0x0
	v_mul_f32_e32 v20, v32, v20
.LBB91_600:
	s_or_b32 exec_lo, exec_lo, s0
	s_delay_alu instid0(SALU_CYCLE_1)
	s_mov_b32 s0, exec_lo
	ds_store_b32 v125, v21
	s_wait_dscnt 0x0
	s_barrier_signal -1
	s_barrier_wait -1
	v_cmpx_gt_u32_e32 19, v0
	s_cbranch_execz .LBB91_610
; %bb.601:
	v_cmp_ne_u32_e32 vcc_lo, 1, v34
	s_cbranch_vccnz .LBB91_603
; %bb.602:
	v_cmp_eq_u32_e32 vcc_lo, 1, v0
	ds_load_b32 v31, v125
	v_cndmask_b32_e32 v30, v2, v3, vcc_lo
	v_cmp_eq_u32_e32 vcc_lo, 2, v0
	s_delay_alu instid0(VALU_DEP_2) | instskip(SKIP_1) | instid1(VALU_DEP_2)
	v_cndmask_b32_e32 v30, v30, v4, vcc_lo
	v_cmp_eq_u32_e32 vcc_lo, 3, v0
	v_cndmask_b32_e32 v30, v30, v5, vcc_lo
	v_cmp_eq_u32_e32 vcc_lo, 4, v0
	s_delay_alu instid0(VALU_DEP_2) | instskip(SKIP_1) | instid1(VALU_DEP_2)
	v_cndmask_b32_e32 v30, v30, v6, vcc_lo
	v_cmp_eq_u32_e32 vcc_lo, 5, v0
	;; [unrolled: 5-line block ×13, first 2 shown]
	v_cndmask_b32_e32 v30, v30, v29, vcc_lo
	s_wait_dscnt 0x0
	s_delay_alu instid0(VALU_DEP_1)
	v_mul_f32_e32 v32, v30, v31
	s_cbranch_execz .LBB91_604
	s_branch .LBB91_605
.LBB91_603:
                                        ; implicit-def: $vgpr32
.LBB91_604:
	ds_load_b32 v32, v125
.LBB91_605:
	s_mov_b32 s1, exec_lo
	v_cmpx_ne_u32_e32 18, v0
	s_cbranch_execz .LBB91_609
; %bb.606:
	v_mov_b64_e32 v[30:31], v[0:1]
	v_lshl_add_u32 v33, v0, 2, 0x74
	s_mov_b32 s2, 0
.LBB91_607:                             ; =>This Inner Loop Header: Depth=1
	s_delay_alu instid0(VALU_DEP_2)
	v_add_nc_u64_e32 v[30:31], 1, v[30:31]
	ds_load_b32 v36, v33
	v_add_nc_u32_e32 v33, 4, v33
	v_cmp_eq_u32_e32 vcc_lo, 1, v30
	v_cndmask_b32_e32 v35, v2, v3, vcc_lo
	v_cmp_eq_u32_e32 vcc_lo, 2, v30
	s_delay_alu instid0(VALU_DEP_2) | instskip(SKIP_1) | instid1(VALU_DEP_2)
	v_cndmask_b32_e32 v35, v35, v4, vcc_lo
	v_cmp_eq_u32_e32 vcc_lo, 3, v30
	v_cndmask_b32_e32 v35, v35, v5, vcc_lo
	v_cmp_eq_u32_e32 vcc_lo, 4, v30
	s_delay_alu instid0(VALU_DEP_2) | instskip(SKIP_1) | instid1(VALU_DEP_2)
	v_cndmask_b32_e32 v35, v35, v6, vcc_lo
	;; [unrolled: 5-line block ×13, first 2 shown]
	v_cmp_eq_u32_e32 vcc_lo, 27, v30
	v_cndmask_b32_e32 v35, v35, v29, vcc_lo
	v_cmp_lt_u32_e32 vcc_lo, 17, v30
	s_wait_dscnt 0x0
	s_delay_alu instid0(VALU_DEP_2) | instskip(SKIP_1) | instid1(SALU_CYCLE_1)
	v_fmac_f32_e32 v32, v35, v36
	s_or_b32 s2, vcc_lo, s2
	s_and_not1_b32 exec_lo, exec_lo, s2
	s_cbranch_execnz .LBB91_607
; %bb.608:
	s_or_b32 exec_lo, exec_lo, s2
.LBB91_609:
	s_delay_alu instid0(SALU_CYCLE_1)
	s_or_b32 exec_lo, exec_lo, s1
	v_mov_b32_e32 v21, 0
	ds_load_b32 v21, v21 offset:76
	s_wait_dscnt 0x0
	v_mul_f32_e32 v21, v32, v21
.LBB91_610:
	s_or_b32 exec_lo, exec_lo, s0
	s_delay_alu instid0(SALU_CYCLE_1)
	s_mov_b32 s0, exec_lo
	ds_store_b32 v125, v22
	s_wait_dscnt 0x0
	s_barrier_signal -1
	s_barrier_wait -1
	v_cmpx_gt_u32_e32 20, v0
	s_cbranch_execz .LBB91_620
; %bb.611:
	v_cmp_ne_u32_e32 vcc_lo, 1, v34
	s_cbranch_vccnz .LBB91_613
; %bb.612:
	v_cmp_eq_u32_e32 vcc_lo, 1, v0
	ds_load_b32 v31, v125
	v_cndmask_b32_e32 v30, v2, v3, vcc_lo
	v_cmp_eq_u32_e32 vcc_lo, 2, v0
	s_delay_alu instid0(VALU_DEP_2) | instskip(SKIP_1) | instid1(VALU_DEP_2)
	v_cndmask_b32_e32 v30, v30, v4, vcc_lo
	v_cmp_eq_u32_e32 vcc_lo, 3, v0
	v_cndmask_b32_e32 v30, v30, v5, vcc_lo
	v_cmp_eq_u32_e32 vcc_lo, 4, v0
	s_delay_alu instid0(VALU_DEP_2) | instskip(SKIP_1) | instid1(VALU_DEP_2)
	v_cndmask_b32_e32 v30, v30, v6, vcc_lo
	v_cmp_eq_u32_e32 vcc_lo, 5, v0
	;; [unrolled: 5-line block ×13, first 2 shown]
	v_cndmask_b32_e32 v30, v30, v29, vcc_lo
	s_wait_dscnt 0x0
	s_delay_alu instid0(VALU_DEP_1)
	v_mul_f32_e32 v32, v30, v31
	s_cbranch_execz .LBB91_614
	s_branch .LBB91_615
.LBB91_613:
                                        ; implicit-def: $vgpr32
.LBB91_614:
	ds_load_b32 v32, v125
.LBB91_615:
	s_mov_b32 s1, exec_lo
	v_cmpx_ne_u32_e32 19, v0
	s_cbranch_execz .LBB91_619
; %bb.616:
	v_mov_b64_e32 v[30:31], v[0:1]
	v_lshl_add_u32 v33, v0, 2, 0x74
	s_mov_b32 s2, 0
.LBB91_617:                             ; =>This Inner Loop Header: Depth=1
	s_delay_alu instid0(VALU_DEP_2)
	v_add_nc_u64_e32 v[30:31], 1, v[30:31]
	ds_load_b32 v36, v33
	v_add_nc_u32_e32 v33, 4, v33
	v_cmp_eq_u32_e32 vcc_lo, 1, v30
	v_cndmask_b32_e32 v35, v2, v3, vcc_lo
	v_cmp_eq_u32_e32 vcc_lo, 2, v30
	s_delay_alu instid0(VALU_DEP_2) | instskip(SKIP_1) | instid1(VALU_DEP_2)
	v_cndmask_b32_e32 v35, v35, v4, vcc_lo
	v_cmp_eq_u32_e32 vcc_lo, 3, v30
	v_cndmask_b32_e32 v35, v35, v5, vcc_lo
	v_cmp_eq_u32_e32 vcc_lo, 4, v30
	s_delay_alu instid0(VALU_DEP_2) | instskip(SKIP_1) | instid1(VALU_DEP_2)
	v_cndmask_b32_e32 v35, v35, v6, vcc_lo
	;; [unrolled: 5-line block ×13, first 2 shown]
	v_cmp_eq_u32_e32 vcc_lo, 27, v30
	v_cndmask_b32_e32 v35, v35, v29, vcc_lo
	v_cmp_lt_u32_e32 vcc_lo, 18, v30
	s_wait_dscnt 0x0
	s_delay_alu instid0(VALU_DEP_2) | instskip(SKIP_1) | instid1(SALU_CYCLE_1)
	v_fmac_f32_e32 v32, v35, v36
	s_or_b32 s2, vcc_lo, s2
	s_and_not1_b32 exec_lo, exec_lo, s2
	s_cbranch_execnz .LBB91_617
; %bb.618:
	s_or_b32 exec_lo, exec_lo, s2
.LBB91_619:
	s_delay_alu instid0(SALU_CYCLE_1)
	s_or_b32 exec_lo, exec_lo, s1
	v_mov_b32_e32 v22, 0
	ds_load_b32 v22, v22 offset:80
	s_wait_dscnt 0x0
	v_mul_f32_e32 v22, v32, v22
.LBB91_620:
	s_or_b32 exec_lo, exec_lo, s0
	s_delay_alu instid0(SALU_CYCLE_1)
	s_mov_b32 s0, exec_lo
	ds_store_b32 v125, v23
	s_wait_dscnt 0x0
	s_barrier_signal -1
	s_barrier_wait -1
	v_cmpx_gt_u32_e32 21, v0
	s_cbranch_execz .LBB91_630
; %bb.621:
	v_cmp_ne_u32_e32 vcc_lo, 1, v34
	s_cbranch_vccnz .LBB91_623
; %bb.622:
	v_cmp_eq_u32_e32 vcc_lo, 1, v0
	ds_load_b32 v31, v125
	v_cndmask_b32_e32 v30, v2, v3, vcc_lo
	v_cmp_eq_u32_e32 vcc_lo, 2, v0
	s_delay_alu instid0(VALU_DEP_2) | instskip(SKIP_1) | instid1(VALU_DEP_2)
	v_cndmask_b32_e32 v30, v30, v4, vcc_lo
	v_cmp_eq_u32_e32 vcc_lo, 3, v0
	v_cndmask_b32_e32 v30, v30, v5, vcc_lo
	v_cmp_eq_u32_e32 vcc_lo, 4, v0
	s_delay_alu instid0(VALU_DEP_2) | instskip(SKIP_1) | instid1(VALU_DEP_2)
	v_cndmask_b32_e32 v30, v30, v6, vcc_lo
	v_cmp_eq_u32_e32 vcc_lo, 5, v0
	;; [unrolled: 5-line block ×13, first 2 shown]
	v_cndmask_b32_e32 v30, v30, v29, vcc_lo
	s_wait_dscnt 0x0
	s_delay_alu instid0(VALU_DEP_1)
	v_mul_f32_e32 v32, v30, v31
	s_cbranch_execz .LBB91_624
	s_branch .LBB91_625
.LBB91_623:
                                        ; implicit-def: $vgpr32
.LBB91_624:
	ds_load_b32 v32, v125
.LBB91_625:
	s_mov_b32 s1, exec_lo
	v_cmpx_ne_u32_e32 20, v0
	s_cbranch_execz .LBB91_629
; %bb.626:
	v_mov_b64_e32 v[30:31], v[0:1]
	v_lshl_add_u32 v33, v0, 2, 0x74
	s_mov_b32 s2, 0
.LBB91_627:                             ; =>This Inner Loop Header: Depth=1
	s_delay_alu instid0(VALU_DEP_2)
	v_add_nc_u64_e32 v[30:31], 1, v[30:31]
	ds_load_b32 v36, v33
	v_add_nc_u32_e32 v33, 4, v33
	v_cmp_eq_u32_e32 vcc_lo, 1, v30
	v_cndmask_b32_e32 v35, v2, v3, vcc_lo
	v_cmp_eq_u32_e32 vcc_lo, 2, v30
	s_delay_alu instid0(VALU_DEP_2) | instskip(SKIP_1) | instid1(VALU_DEP_2)
	v_cndmask_b32_e32 v35, v35, v4, vcc_lo
	v_cmp_eq_u32_e32 vcc_lo, 3, v30
	v_cndmask_b32_e32 v35, v35, v5, vcc_lo
	v_cmp_eq_u32_e32 vcc_lo, 4, v30
	s_delay_alu instid0(VALU_DEP_2) | instskip(SKIP_1) | instid1(VALU_DEP_2)
	v_cndmask_b32_e32 v35, v35, v6, vcc_lo
	;; [unrolled: 5-line block ×13, first 2 shown]
	v_cmp_eq_u32_e32 vcc_lo, 27, v30
	v_cndmask_b32_e32 v35, v35, v29, vcc_lo
	v_cmp_lt_u32_e32 vcc_lo, 19, v30
	s_wait_dscnt 0x0
	s_delay_alu instid0(VALU_DEP_2) | instskip(SKIP_1) | instid1(SALU_CYCLE_1)
	v_fmac_f32_e32 v32, v35, v36
	s_or_b32 s2, vcc_lo, s2
	s_and_not1_b32 exec_lo, exec_lo, s2
	s_cbranch_execnz .LBB91_627
; %bb.628:
	s_or_b32 exec_lo, exec_lo, s2
.LBB91_629:
	s_delay_alu instid0(SALU_CYCLE_1)
	s_or_b32 exec_lo, exec_lo, s1
	v_mov_b32_e32 v23, 0
	ds_load_b32 v23, v23 offset:84
	s_wait_dscnt 0x0
	v_mul_f32_e32 v23, v32, v23
.LBB91_630:
	s_or_b32 exec_lo, exec_lo, s0
	s_delay_alu instid0(SALU_CYCLE_1)
	s_mov_b32 s0, exec_lo
	ds_store_b32 v125, v24
	s_wait_dscnt 0x0
	s_barrier_signal -1
	s_barrier_wait -1
	v_cmpx_gt_u32_e32 22, v0
	s_cbranch_execz .LBB91_640
; %bb.631:
	v_cmp_ne_u32_e32 vcc_lo, 1, v34
	s_cbranch_vccnz .LBB91_633
; %bb.632:
	v_cmp_eq_u32_e32 vcc_lo, 1, v0
	ds_load_b32 v31, v125
	v_cndmask_b32_e32 v30, v2, v3, vcc_lo
	v_cmp_eq_u32_e32 vcc_lo, 2, v0
	s_delay_alu instid0(VALU_DEP_2) | instskip(SKIP_1) | instid1(VALU_DEP_2)
	v_cndmask_b32_e32 v30, v30, v4, vcc_lo
	v_cmp_eq_u32_e32 vcc_lo, 3, v0
	v_cndmask_b32_e32 v30, v30, v5, vcc_lo
	v_cmp_eq_u32_e32 vcc_lo, 4, v0
	s_delay_alu instid0(VALU_DEP_2) | instskip(SKIP_1) | instid1(VALU_DEP_2)
	v_cndmask_b32_e32 v30, v30, v6, vcc_lo
	v_cmp_eq_u32_e32 vcc_lo, 5, v0
	;; [unrolled: 5-line block ×13, first 2 shown]
	v_cndmask_b32_e32 v30, v30, v29, vcc_lo
	s_wait_dscnt 0x0
	s_delay_alu instid0(VALU_DEP_1)
	v_mul_f32_e32 v32, v30, v31
	s_cbranch_execz .LBB91_634
	s_branch .LBB91_635
.LBB91_633:
                                        ; implicit-def: $vgpr32
.LBB91_634:
	ds_load_b32 v32, v125
.LBB91_635:
	s_mov_b32 s1, exec_lo
	v_cmpx_ne_u32_e32 21, v0
	s_cbranch_execz .LBB91_639
; %bb.636:
	v_mov_b64_e32 v[30:31], v[0:1]
	v_lshl_add_u32 v33, v0, 2, 0x74
	s_mov_b32 s2, 0
.LBB91_637:                             ; =>This Inner Loop Header: Depth=1
	s_delay_alu instid0(VALU_DEP_2)
	v_add_nc_u64_e32 v[30:31], 1, v[30:31]
	ds_load_b32 v36, v33
	v_add_nc_u32_e32 v33, 4, v33
	v_cmp_eq_u32_e32 vcc_lo, 1, v30
	v_cndmask_b32_e32 v35, v2, v3, vcc_lo
	v_cmp_eq_u32_e32 vcc_lo, 2, v30
	s_delay_alu instid0(VALU_DEP_2) | instskip(SKIP_1) | instid1(VALU_DEP_2)
	v_cndmask_b32_e32 v35, v35, v4, vcc_lo
	v_cmp_eq_u32_e32 vcc_lo, 3, v30
	v_cndmask_b32_e32 v35, v35, v5, vcc_lo
	v_cmp_eq_u32_e32 vcc_lo, 4, v30
	s_delay_alu instid0(VALU_DEP_2) | instskip(SKIP_1) | instid1(VALU_DEP_2)
	v_cndmask_b32_e32 v35, v35, v6, vcc_lo
	v_cmp_eq_u32_e32 vcc_lo, 5, v30
	v_cndmask_b32_e32 v35, v35, v7, vcc_lo
	v_cmp_eq_u32_e32 vcc_lo, 6, v30
	s_delay_alu instid0(VALU_DEP_2) | instskip(SKIP_1) | instid1(VALU_DEP_2)
	v_cndmask_b32_e32 v35, v35, v8, vcc_lo
	v_cmp_eq_u32_e32 vcc_lo, 7, v30
	v_cndmask_b32_e32 v35, v35, v9, vcc_lo
	v_cmp_eq_u32_e32 vcc_lo, 8, v30
	s_delay_alu instid0(VALU_DEP_2) | instskip(SKIP_1) | instid1(VALU_DEP_2)
	v_cndmask_b32_e32 v35, v35, v10, vcc_lo
	v_cmp_eq_u32_e32 vcc_lo, 9, v30
	v_cndmask_b32_e32 v35, v35, v11, vcc_lo
	v_cmp_eq_u32_e32 vcc_lo, 10, v30
	s_delay_alu instid0(VALU_DEP_2) | instskip(SKIP_1) | instid1(VALU_DEP_2)
	v_cndmask_b32_e32 v35, v35, v12, vcc_lo
	v_cmp_eq_u32_e32 vcc_lo, 11, v30
	v_cndmask_b32_e32 v35, v35, v13, vcc_lo
	v_cmp_eq_u32_e32 vcc_lo, 12, v30
	s_delay_alu instid0(VALU_DEP_2) | instskip(SKIP_1) | instid1(VALU_DEP_2)
	v_cndmask_b32_e32 v35, v35, v14, vcc_lo
	v_cmp_eq_u32_e32 vcc_lo, 13, v30
	v_cndmask_b32_e32 v35, v35, v15, vcc_lo
	v_cmp_eq_u32_e32 vcc_lo, 14, v30
	s_delay_alu instid0(VALU_DEP_2) | instskip(SKIP_1) | instid1(VALU_DEP_2)
	v_cndmask_b32_e32 v35, v35, v16, vcc_lo
	v_cmp_eq_u32_e32 vcc_lo, 15, v30
	v_cndmask_b32_e32 v35, v35, v17, vcc_lo
	v_cmp_eq_u32_e32 vcc_lo, 16, v30
	s_delay_alu instid0(VALU_DEP_2) | instskip(SKIP_1) | instid1(VALU_DEP_2)
	v_cndmask_b32_e32 v35, v35, v18, vcc_lo
	v_cmp_eq_u32_e32 vcc_lo, 17, v30
	v_cndmask_b32_e32 v35, v35, v19, vcc_lo
	v_cmp_eq_u32_e32 vcc_lo, 18, v30
	s_delay_alu instid0(VALU_DEP_2) | instskip(SKIP_1) | instid1(VALU_DEP_2)
	v_cndmask_b32_e32 v35, v35, v20, vcc_lo
	v_cmp_eq_u32_e32 vcc_lo, 19, v30
	v_cndmask_b32_e32 v35, v35, v21, vcc_lo
	v_cmp_eq_u32_e32 vcc_lo, 20, v30
	s_delay_alu instid0(VALU_DEP_2) | instskip(SKIP_1) | instid1(VALU_DEP_2)
	v_cndmask_b32_e32 v35, v35, v22, vcc_lo
	v_cmp_eq_u32_e32 vcc_lo, 21, v30
	v_cndmask_b32_e32 v35, v35, v23, vcc_lo
	v_cmp_eq_u32_e32 vcc_lo, 22, v30
	s_delay_alu instid0(VALU_DEP_2) | instskip(SKIP_1) | instid1(VALU_DEP_2)
	v_cndmask_b32_e32 v35, v35, v24, vcc_lo
	v_cmp_eq_u32_e32 vcc_lo, 23, v30
	v_cndmask_b32_e32 v35, v35, v25, vcc_lo
	v_cmp_eq_u32_e32 vcc_lo, 24, v30
	s_delay_alu instid0(VALU_DEP_2) | instskip(SKIP_1) | instid1(VALU_DEP_2)
	v_cndmask_b32_e32 v35, v35, v26, vcc_lo
	v_cmp_eq_u32_e32 vcc_lo, 25, v30
	v_cndmask_b32_e32 v35, v35, v27, vcc_lo
	v_cmp_eq_u32_e32 vcc_lo, 26, v30
	s_delay_alu instid0(VALU_DEP_2) | instskip(SKIP_1) | instid1(VALU_DEP_2)
	v_cndmask_b32_e32 v35, v35, v28, vcc_lo
	v_cmp_eq_u32_e32 vcc_lo, 27, v30
	v_cndmask_b32_e32 v35, v35, v29, vcc_lo
	v_cmp_lt_u32_e32 vcc_lo, 20, v30
	s_wait_dscnt 0x0
	s_delay_alu instid0(VALU_DEP_2) | instskip(SKIP_1) | instid1(SALU_CYCLE_1)
	v_fmac_f32_e32 v32, v35, v36
	s_or_b32 s2, vcc_lo, s2
	s_and_not1_b32 exec_lo, exec_lo, s2
	s_cbranch_execnz .LBB91_637
; %bb.638:
	s_or_b32 exec_lo, exec_lo, s2
.LBB91_639:
	s_delay_alu instid0(SALU_CYCLE_1)
	s_or_b32 exec_lo, exec_lo, s1
	v_mov_b32_e32 v24, 0
	ds_load_b32 v24, v24 offset:88
	s_wait_dscnt 0x0
	v_mul_f32_e32 v24, v32, v24
.LBB91_640:
	s_or_b32 exec_lo, exec_lo, s0
	s_delay_alu instid0(SALU_CYCLE_1)
	s_mov_b32 s0, exec_lo
	ds_store_b32 v125, v25
	s_wait_dscnt 0x0
	s_barrier_signal -1
	s_barrier_wait -1
	v_cmpx_gt_u32_e32 23, v0
	s_cbranch_execz .LBB91_650
; %bb.641:
	v_cmp_ne_u32_e32 vcc_lo, 1, v34
	s_cbranch_vccnz .LBB91_643
; %bb.642:
	v_cmp_eq_u32_e32 vcc_lo, 1, v0
	ds_load_b32 v31, v125
	v_cndmask_b32_e32 v30, v2, v3, vcc_lo
	v_cmp_eq_u32_e32 vcc_lo, 2, v0
	s_delay_alu instid0(VALU_DEP_2) | instskip(SKIP_1) | instid1(VALU_DEP_2)
	v_cndmask_b32_e32 v30, v30, v4, vcc_lo
	v_cmp_eq_u32_e32 vcc_lo, 3, v0
	v_cndmask_b32_e32 v30, v30, v5, vcc_lo
	v_cmp_eq_u32_e32 vcc_lo, 4, v0
	s_delay_alu instid0(VALU_DEP_2) | instskip(SKIP_1) | instid1(VALU_DEP_2)
	v_cndmask_b32_e32 v30, v30, v6, vcc_lo
	v_cmp_eq_u32_e32 vcc_lo, 5, v0
	v_cndmask_b32_e32 v30, v30, v7, vcc_lo
	v_cmp_eq_u32_e32 vcc_lo, 6, v0
	s_delay_alu instid0(VALU_DEP_2) | instskip(SKIP_1) | instid1(VALU_DEP_2)
	v_cndmask_b32_e32 v30, v30, v8, vcc_lo
	v_cmp_eq_u32_e32 vcc_lo, 7, v0
	v_cndmask_b32_e32 v30, v30, v9, vcc_lo
	v_cmp_eq_u32_e32 vcc_lo, 8, v0
	s_delay_alu instid0(VALU_DEP_2) | instskip(SKIP_1) | instid1(VALU_DEP_2)
	v_cndmask_b32_e32 v30, v30, v10, vcc_lo
	v_cmp_eq_u32_e32 vcc_lo, 9, v0
	v_cndmask_b32_e32 v30, v30, v11, vcc_lo
	v_cmp_eq_u32_e32 vcc_lo, 10, v0
	s_delay_alu instid0(VALU_DEP_2) | instskip(SKIP_1) | instid1(VALU_DEP_2)
	v_cndmask_b32_e32 v30, v30, v12, vcc_lo
	v_cmp_eq_u32_e32 vcc_lo, 11, v0
	v_cndmask_b32_e32 v30, v30, v13, vcc_lo
	v_cmp_eq_u32_e32 vcc_lo, 12, v0
	s_delay_alu instid0(VALU_DEP_2) | instskip(SKIP_1) | instid1(VALU_DEP_2)
	v_cndmask_b32_e32 v30, v30, v14, vcc_lo
	v_cmp_eq_u32_e32 vcc_lo, 13, v0
	v_cndmask_b32_e32 v30, v30, v15, vcc_lo
	v_cmp_eq_u32_e32 vcc_lo, 14, v0
	s_delay_alu instid0(VALU_DEP_2) | instskip(SKIP_1) | instid1(VALU_DEP_2)
	v_cndmask_b32_e32 v30, v30, v16, vcc_lo
	v_cmp_eq_u32_e32 vcc_lo, 15, v0
	v_cndmask_b32_e32 v30, v30, v17, vcc_lo
	v_cmp_eq_u32_e32 vcc_lo, 16, v0
	s_delay_alu instid0(VALU_DEP_2) | instskip(SKIP_1) | instid1(VALU_DEP_2)
	v_cndmask_b32_e32 v30, v30, v18, vcc_lo
	v_cmp_eq_u32_e32 vcc_lo, 17, v0
	v_cndmask_b32_e32 v30, v30, v19, vcc_lo
	v_cmp_eq_u32_e32 vcc_lo, 18, v0
	s_delay_alu instid0(VALU_DEP_2) | instskip(SKIP_1) | instid1(VALU_DEP_2)
	v_cndmask_b32_e32 v30, v30, v20, vcc_lo
	v_cmp_eq_u32_e32 vcc_lo, 19, v0
	v_cndmask_b32_e32 v30, v30, v21, vcc_lo
	v_cmp_eq_u32_e32 vcc_lo, 20, v0
	s_delay_alu instid0(VALU_DEP_2) | instskip(SKIP_1) | instid1(VALU_DEP_2)
	v_cndmask_b32_e32 v30, v30, v22, vcc_lo
	v_cmp_eq_u32_e32 vcc_lo, 21, v0
	v_cndmask_b32_e32 v30, v30, v23, vcc_lo
	v_cmp_eq_u32_e32 vcc_lo, 22, v0
	s_delay_alu instid0(VALU_DEP_2) | instskip(SKIP_1) | instid1(VALU_DEP_2)
	v_cndmask_b32_e32 v30, v30, v24, vcc_lo
	v_cmp_eq_u32_e32 vcc_lo, 23, v0
	v_cndmask_b32_e32 v30, v30, v25, vcc_lo
	v_cmp_eq_u32_e32 vcc_lo, 24, v0
	s_delay_alu instid0(VALU_DEP_2) | instskip(SKIP_1) | instid1(VALU_DEP_2)
	v_cndmask_b32_e32 v30, v30, v26, vcc_lo
	v_cmp_eq_u32_e32 vcc_lo, 25, v0
	v_cndmask_b32_e32 v30, v30, v27, vcc_lo
	v_cmp_eq_u32_e32 vcc_lo, 26, v0
	s_delay_alu instid0(VALU_DEP_2) | instskip(SKIP_1) | instid1(VALU_DEP_2)
	v_cndmask_b32_e32 v30, v30, v28, vcc_lo
	v_cmp_eq_u32_e32 vcc_lo, 27, v0
	v_cndmask_b32_e32 v30, v30, v29, vcc_lo
	s_wait_dscnt 0x0
	s_delay_alu instid0(VALU_DEP_1)
	v_mul_f32_e32 v32, v30, v31
	s_cbranch_execz .LBB91_644
	s_branch .LBB91_645
.LBB91_643:
                                        ; implicit-def: $vgpr32
.LBB91_644:
	ds_load_b32 v32, v125
.LBB91_645:
	s_mov_b32 s1, exec_lo
	v_cmpx_ne_u32_e32 22, v0
	s_cbranch_execz .LBB91_649
; %bb.646:
	v_mov_b64_e32 v[30:31], v[0:1]
	v_lshl_add_u32 v33, v0, 2, 0x74
	s_mov_b32 s2, 0
.LBB91_647:                             ; =>This Inner Loop Header: Depth=1
	s_delay_alu instid0(VALU_DEP_2)
	v_add_nc_u64_e32 v[30:31], 1, v[30:31]
	ds_load_b32 v36, v33
	v_add_nc_u32_e32 v33, 4, v33
	v_cmp_eq_u32_e32 vcc_lo, 1, v30
	v_cndmask_b32_e32 v35, v2, v3, vcc_lo
	v_cmp_eq_u32_e32 vcc_lo, 2, v30
	s_delay_alu instid0(VALU_DEP_2) | instskip(SKIP_1) | instid1(VALU_DEP_2)
	v_cndmask_b32_e32 v35, v35, v4, vcc_lo
	v_cmp_eq_u32_e32 vcc_lo, 3, v30
	v_cndmask_b32_e32 v35, v35, v5, vcc_lo
	v_cmp_eq_u32_e32 vcc_lo, 4, v30
	s_delay_alu instid0(VALU_DEP_2) | instskip(SKIP_1) | instid1(VALU_DEP_2)
	v_cndmask_b32_e32 v35, v35, v6, vcc_lo
	;; [unrolled: 5-line block ×13, first 2 shown]
	v_cmp_eq_u32_e32 vcc_lo, 27, v30
	v_cndmask_b32_e32 v35, v35, v29, vcc_lo
	v_cmp_lt_u32_e32 vcc_lo, 21, v30
	s_wait_dscnt 0x0
	s_delay_alu instid0(VALU_DEP_2) | instskip(SKIP_1) | instid1(SALU_CYCLE_1)
	v_fmac_f32_e32 v32, v35, v36
	s_or_b32 s2, vcc_lo, s2
	s_and_not1_b32 exec_lo, exec_lo, s2
	s_cbranch_execnz .LBB91_647
; %bb.648:
	s_or_b32 exec_lo, exec_lo, s2
.LBB91_649:
	s_delay_alu instid0(SALU_CYCLE_1)
	s_or_b32 exec_lo, exec_lo, s1
	v_mov_b32_e32 v25, 0
	ds_load_b32 v25, v25 offset:92
	s_wait_dscnt 0x0
	v_mul_f32_e32 v25, v32, v25
.LBB91_650:
	s_or_b32 exec_lo, exec_lo, s0
	s_delay_alu instid0(SALU_CYCLE_1)
	s_mov_b32 s0, exec_lo
	ds_store_b32 v125, v26
	s_wait_dscnt 0x0
	s_barrier_signal -1
	s_barrier_wait -1
	v_cmpx_gt_u32_e32 24, v0
	s_cbranch_execz .LBB91_660
; %bb.651:
	v_cmp_ne_u32_e32 vcc_lo, 1, v34
	s_cbranch_vccnz .LBB91_653
; %bb.652:
	v_cmp_eq_u32_e32 vcc_lo, 1, v0
	ds_load_b32 v31, v125
	v_cndmask_b32_e32 v30, v2, v3, vcc_lo
	v_cmp_eq_u32_e32 vcc_lo, 2, v0
	s_delay_alu instid0(VALU_DEP_2) | instskip(SKIP_1) | instid1(VALU_DEP_2)
	v_cndmask_b32_e32 v30, v30, v4, vcc_lo
	v_cmp_eq_u32_e32 vcc_lo, 3, v0
	v_cndmask_b32_e32 v30, v30, v5, vcc_lo
	v_cmp_eq_u32_e32 vcc_lo, 4, v0
	s_delay_alu instid0(VALU_DEP_2) | instskip(SKIP_1) | instid1(VALU_DEP_2)
	v_cndmask_b32_e32 v30, v30, v6, vcc_lo
	v_cmp_eq_u32_e32 vcc_lo, 5, v0
	;; [unrolled: 5-line block ×13, first 2 shown]
	v_cndmask_b32_e32 v30, v30, v29, vcc_lo
	s_wait_dscnt 0x0
	s_delay_alu instid0(VALU_DEP_1)
	v_mul_f32_e32 v32, v30, v31
	s_cbranch_execz .LBB91_654
	s_branch .LBB91_655
.LBB91_653:
                                        ; implicit-def: $vgpr32
.LBB91_654:
	ds_load_b32 v32, v125
.LBB91_655:
	s_mov_b32 s1, exec_lo
	v_cmpx_ne_u32_e32 23, v0
	s_cbranch_execz .LBB91_659
; %bb.656:
	v_mov_b64_e32 v[30:31], v[0:1]
	v_lshl_add_u32 v33, v0, 2, 0x74
	s_mov_b32 s2, 0
.LBB91_657:                             ; =>This Inner Loop Header: Depth=1
	s_delay_alu instid0(VALU_DEP_2)
	v_add_nc_u64_e32 v[30:31], 1, v[30:31]
	ds_load_b32 v36, v33
	v_add_nc_u32_e32 v33, 4, v33
	v_cmp_eq_u32_e32 vcc_lo, 1, v30
	v_cndmask_b32_e32 v35, v2, v3, vcc_lo
	v_cmp_eq_u32_e32 vcc_lo, 2, v30
	s_delay_alu instid0(VALU_DEP_2) | instskip(SKIP_1) | instid1(VALU_DEP_2)
	v_cndmask_b32_e32 v35, v35, v4, vcc_lo
	v_cmp_eq_u32_e32 vcc_lo, 3, v30
	v_cndmask_b32_e32 v35, v35, v5, vcc_lo
	v_cmp_eq_u32_e32 vcc_lo, 4, v30
	s_delay_alu instid0(VALU_DEP_2) | instskip(SKIP_1) | instid1(VALU_DEP_2)
	v_cndmask_b32_e32 v35, v35, v6, vcc_lo
	;; [unrolled: 5-line block ×13, first 2 shown]
	v_cmp_eq_u32_e32 vcc_lo, 27, v30
	v_cndmask_b32_e32 v35, v35, v29, vcc_lo
	v_cmp_lt_u32_e32 vcc_lo, 22, v30
	s_wait_dscnt 0x0
	s_delay_alu instid0(VALU_DEP_2) | instskip(SKIP_1) | instid1(SALU_CYCLE_1)
	v_fmac_f32_e32 v32, v35, v36
	s_or_b32 s2, vcc_lo, s2
	s_and_not1_b32 exec_lo, exec_lo, s2
	s_cbranch_execnz .LBB91_657
; %bb.658:
	s_or_b32 exec_lo, exec_lo, s2
.LBB91_659:
	s_delay_alu instid0(SALU_CYCLE_1)
	s_or_b32 exec_lo, exec_lo, s1
	v_mov_b32_e32 v26, 0
	ds_load_b32 v26, v26 offset:96
	s_wait_dscnt 0x0
	v_mul_f32_e32 v26, v32, v26
.LBB91_660:
	s_or_b32 exec_lo, exec_lo, s0
	s_delay_alu instid0(SALU_CYCLE_1)
	s_mov_b32 s0, exec_lo
	ds_store_b32 v125, v27
	s_wait_dscnt 0x0
	s_barrier_signal -1
	s_barrier_wait -1
	v_cmpx_gt_u32_e32 25, v0
	s_cbranch_execz .LBB91_670
; %bb.661:
	v_cmp_ne_u32_e32 vcc_lo, 1, v34
	s_cbranch_vccnz .LBB91_663
; %bb.662:
	v_cmp_eq_u32_e32 vcc_lo, 1, v0
	ds_load_b32 v31, v125
	v_cndmask_b32_e32 v30, v2, v3, vcc_lo
	v_cmp_eq_u32_e32 vcc_lo, 2, v0
	s_delay_alu instid0(VALU_DEP_2) | instskip(SKIP_1) | instid1(VALU_DEP_2)
	v_cndmask_b32_e32 v30, v30, v4, vcc_lo
	v_cmp_eq_u32_e32 vcc_lo, 3, v0
	v_cndmask_b32_e32 v30, v30, v5, vcc_lo
	v_cmp_eq_u32_e32 vcc_lo, 4, v0
	s_delay_alu instid0(VALU_DEP_2) | instskip(SKIP_1) | instid1(VALU_DEP_2)
	v_cndmask_b32_e32 v30, v30, v6, vcc_lo
	v_cmp_eq_u32_e32 vcc_lo, 5, v0
	v_cndmask_b32_e32 v30, v30, v7, vcc_lo
	v_cmp_eq_u32_e32 vcc_lo, 6, v0
	s_delay_alu instid0(VALU_DEP_2) | instskip(SKIP_1) | instid1(VALU_DEP_2)
	v_cndmask_b32_e32 v30, v30, v8, vcc_lo
	v_cmp_eq_u32_e32 vcc_lo, 7, v0
	v_cndmask_b32_e32 v30, v30, v9, vcc_lo
	v_cmp_eq_u32_e32 vcc_lo, 8, v0
	s_delay_alu instid0(VALU_DEP_2) | instskip(SKIP_1) | instid1(VALU_DEP_2)
	v_cndmask_b32_e32 v30, v30, v10, vcc_lo
	v_cmp_eq_u32_e32 vcc_lo, 9, v0
	v_cndmask_b32_e32 v30, v30, v11, vcc_lo
	v_cmp_eq_u32_e32 vcc_lo, 10, v0
	s_delay_alu instid0(VALU_DEP_2) | instskip(SKIP_1) | instid1(VALU_DEP_2)
	v_cndmask_b32_e32 v30, v30, v12, vcc_lo
	v_cmp_eq_u32_e32 vcc_lo, 11, v0
	v_cndmask_b32_e32 v30, v30, v13, vcc_lo
	v_cmp_eq_u32_e32 vcc_lo, 12, v0
	s_delay_alu instid0(VALU_DEP_2) | instskip(SKIP_1) | instid1(VALU_DEP_2)
	v_cndmask_b32_e32 v30, v30, v14, vcc_lo
	v_cmp_eq_u32_e32 vcc_lo, 13, v0
	v_cndmask_b32_e32 v30, v30, v15, vcc_lo
	v_cmp_eq_u32_e32 vcc_lo, 14, v0
	s_delay_alu instid0(VALU_DEP_2) | instskip(SKIP_1) | instid1(VALU_DEP_2)
	v_cndmask_b32_e32 v30, v30, v16, vcc_lo
	v_cmp_eq_u32_e32 vcc_lo, 15, v0
	v_cndmask_b32_e32 v30, v30, v17, vcc_lo
	v_cmp_eq_u32_e32 vcc_lo, 16, v0
	s_delay_alu instid0(VALU_DEP_2) | instskip(SKIP_1) | instid1(VALU_DEP_2)
	v_cndmask_b32_e32 v30, v30, v18, vcc_lo
	v_cmp_eq_u32_e32 vcc_lo, 17, v0
	v_cndmask_b32_e32 v30, v30, v19, vcc_lo
	v_cmp_eq_u32_e32 vcc_lo, 18, v0
	s_delay_alu instid0(VALU_DEP_2) | instskip(SKIP_1) | instid1(VALU_DEP_2)
	v_cndmask_b32_e32 v30, v30, v20, vcc_lo
	v_cmp_eq_u32_e32 vcc_lo, 19, v0
	v_cndmask_b32_e32 v30, v30, v21, vcc_lo
	v_cmp_eq_u32_e32 vcc_lo, 20, v0
	s_delay_alu instid0(VALU_DEP_2) | instskip(SKIP_1) | instid1(VALU_DEP_2)
	v_cndmask_b32_e32 v30, v30, v22, vcc_lo
	v_cmp_eq_u32_e32 vcc_lo, 21, v0
	v_cndmask_b32_e32 v30, v30, v23, vcc_lo
	v_cmp_eq_u32_e32 vcc_lo, 22, v0
	s_delay_alu instid0(VALU_DEP_2) | instskip(SKIP_1) | instid1(VALU_DEP_2)
	v_cndmask_b32_e32 v30, v30, v24, vcc_lo
	v_cmp_eq_u32_e32 vcc_lo, 23, v0
	v_cndmask_b32_e32 v30, v30, v25, vcc_lo
	v_cmp_eq_u32_e32 vcc_lo, 24, v0
	s_delay_alu instid0(VALU_DEP_2) | instskip(SKIP_1) | instid1(VALU_DEP_2)
	v_cndmask_b32_e32 v30, v30, v26, vcc_lo
	v_cmp_eq_u32_e32 vcc_lo, 25, v0
	v_cndmask_b32_e32 v30, v30, v27, vcc_lo
	v_cmp_eq_u32_e32 vcc_lo, 26, v0
	s_delay_alu instid0(VALU_DEP_2) | instskip(SKIP_1) | instid1(VALU_DEP_2)
	v_cndmask_b32_e32 v30, v30, v28, vcc_lo
	v_cmp_eq_u32_e32 vcc_lo, 27, v0
	v_cndmask_b32_e32 v30, v30, v29, vcc_lo
	s_wait_dscnt 0x0
	s_delay_alu instid0(VALU_DEP_1)
	v_mul_f32_e32 v32, v30, v31
	s_cbranch_execz .LBB91_664
	s_branch .LBB91_665
.LBB91_663:
                                        ; implicit-def: $vgpr32
.LBB91_664:
	ds_load_b32 v32, v125
.LBB91_665:
	s_mov_b32 s1, exec_lo
	v_cmpx_ne_u32_e32 24, v0
	s_cbranch_execz .LBB91_669
; %bb.666:
	v_mov_b64_e32 v[30:31], v[0:1]
	v_lshl_add_u32 v33, v0, 2, 0x74
	s_mov_b32 s2, 0
.LBB91_667:                             ; =>This Inner Loop Header: Depth=1
	s_delay_alu instid0(VALU_DEP_2)
	v_add_nc_u64_e32 v[30:31], 1, v[30:31]
	ds_load_b32 v36, v33
	v_add_nc_u32_e32 v33, 4, v33
	v_cmp_eq_u32_e32 vcc_lo, 1, v30
	v_cndmask_b32_e32 v35, v2, v3, vcc_lo
	v_cmp_eq_u32_e32 vcc_lo, 2, v30
	s_delay_alu instid0(VALU_DEP_2) | instskip(SKIP_1) | instid1(VALU_DEP_2)
	v_cndmask_b32_e32 v35, v35, v4, vcc_lo
	v_cmp_eq_u32_e32 vcc_lo, 3, v30
	v_cndmask_b32_e32 v35, v35, v5, vcc_lo
	v_cmp_eq_u32_e32 vcc_lo, 4, v30
	s_delay_alu instid0(VALU_DEP_2) | instskip(SKIP_1) | instid1(VALU_DEP_2)
	v_cndmask_b32_e32 v35, v35, v6, vcc_lo
	;; [unrolled: 5-line block ×13, first 2 shown]
	v_cmp_eq_u32_e32 vcc_lo, 27, v30
	v_cndmask_b32_e32 v35, v35, v29, vcc_lo
	v_cmp_lt_u32_e32 vcc_lo, 23, v30
	s_wait_dscnt 0x0
	s_delay_alu instid0(VALU_DEP_2) | instskip(SKIP_1) | instid1(SALU_CYCLE_1)
	v_fmac_f32_e32 v32, v35, v36
	s_or_b32 s2, vcc_lo, s2
	s_and_not1_b32 exec_lo, exec_lo, s2
	s_cbranch_execnz .LBB91_667
; %bb.668:
	s_or_b32 exec_lo, exec_lo, s2
.LBB91_669:
	s_delay_alu instid0(SALU_CYCLE_1)
	s_or_b32 exec_lo, exec_lo, s1
	v_mov_b32_e32 v27, 0
	ds_load_b32 v27, v27 offset:100
	s_wait_dscnt 0x0
	v_mul_f32_e32 v27, v32, v27
.LBB91_670:
	s_or_b32 exec_lo, exec_lo, s0
	v_cmp_gt_u32_e64 s0, 26, v0
	ds_store_b32 v125, v28
	s_wait_dscnt 0x0
	s_barrier_signal -1
	s_barrier_wait -1
	s_and_saveexec_b32 s1, s0
	s_cbranch_execz .LBB91_680
; %bb.671:
	v_cmp_ne_u32_e32 vcc_lo, 1, v34
	s_cbranch_vccnz .LBB91_673
; %bb.672:
	v_cmp_eq_u32_e32 vcc_lo, 1, v0
	ds_load_b32 v31, v125
	v_cndmask_b32_e32 v30, v2, v3, vcc_lo
	v_cmp_eq_u32_e32 vcc_lo, 2, v0
	s_delay_alu instid0(VALU_DEP_2) | instskip(SKIP_1) | instid1(VALU_DEP_2)
	v_cndmask_b32_e32 v30, v30, v4, vcc_lo
	v_cmp_eq_u32_e32 vcc_lo, 3, v0
	v_cndmask_b32_e32 v30, v30, v5, vcc_lo
	v_cmp_eq_u32_e32 vcc_lo, 4, v0
	s_delay_alu instid0(VALU_DEP_2) | instskip(SKIP_1) | instid1(VALU_DEP_2)
	v_cndmask_b32_e32 v30, v30, v6, vcc_lo
	v_cmp_eq_u32_e32 vcc_lo, 5, v0
	;; [unrolled: 5-line block ×13, first 2 shown]
	v_cndmask_b32_e32 v30, v30, v29, vcc_lo
	s_wait_dscnt 0x0
	s_delay_alu instid0(VALU_DEP_1)
	v_mul_f32_e32 v32, v30, v31
	s_cbranch_execz .LBB91_674
	s_branch .LBB91_675
.LBB91_673:
                                        ; implicit-def: $vgpr32
.LBB91_674:
	ds_load_b32 v32, v125
.LBB91_675:
	s_mov_b32 s2, exec_lo
	v_cmpx_ne_u32_e32 25, v0
	s_cbranch_execz .LBB91_679
; %bb.676:
	v_mov_b64_e32 v[30:31], v[0:1]
	v_lshl_add_u32 v33, v0, 2, 0x74
	s_mov_b32 s3, 0
.LBB91_677:                             ; =>This Inner Loop Header: Depth=1
	s_delay_alu instid0(VALU_DEP_2)
	v_add_nc_u64_e32 v[30:31], 1, v[30:31]
	ds_load_b32 v36, v33
	v_add_nc_u32_e32 v33, 4, v33
	v_cmp_eq_u32_e32 vcc_lo, 1, v30
	v_cndmask_b32_e32 v35, v2, v3, vcc_lo
	v_cmp_eq_u32_e32 vcc_lo, 2, v30
	s_delay_alu instid0(VALU_DEP_2) | instskip(SKIP_1) | instid1(VALU_DEP_2)
	v_cndmask_b32_e32 v35, v35, v4, vcc_lo
	v_cmp_eq_u32_e32 vcc_lo, 3, v30
	v_cndmask_b32_e32 v35, v35, v5, vcc_lo
	v_cmp_eq_u32_e32 vcc_lo, 4, v30
	s_delay_alu instid0(VALU_DEP_2) | instskip(SKIP_1) | instid1(VALU_DEP_2)
	v_cndmask_b32_e32 v35, v35, v6, vcc_lo
	v_cmp_eq_u32_e32 vcc_lo, 5, v30
	v_cndmask_b32_e32 v35, v35, v7, vcc_lo
	v_cmp_eq_u32_e32 vcc_lo, 6, v30
	s_delay_alu instid0(VALU_DEP_2) | instskip(SKIP_1) | instid1(VALU_DEP_2)
	v_cndmask_b32_e32 v35, v35, v8, vcc_lo
	v_cmp_eq_u32_e32 vcc_lo, 7, v30
	v_cndmask_b32_e32 v35, v35, v9, vcc_lo
	v_cmp_eq_u32_e32 vcc_lo, 8, v30
	s_delay_alu instid0(VALU_DEP_2) | instskip(SKIP_1) | instid1(VALU_DEP_2)
	v_cndmask_b32_e32 v35, v35, v10, vcc_lo
	v_cmp_eq_u32_e32 vcc_lo, 9, v30
	v_cndmask_b32_e32 v35, v35, v11, vcc_lo
	v_cmp_eq_u32_e32 vcc_lo, 10, v30
	s_delay_alu instid0(VALU_DEP_2) | instskip(SKIP_1) | instid1(VALU_DEP_2)
	v_cndmask_b32_e32 v35, v35, v12, vcc_lo
	v_cmp_eq_u32_e32 vcc_lo, 11, v30
	v_cndmask_b32_e32 v35, v35, v13, vcc_lo
	v_cmp_eq_u32_e32 vcc_lo, 12, v30
	s_delay_alu instid0(VALU_DEP_2) | instskip(SKIP_1) | instid1(VALU_DEP_2)
	v_cndmask_b32_e32 v35, v35, v14, vcc_lo
	v_cmp_eq_u32_e32 vcc_lo, 13, v30
	v_cndmask_b32_e32 v35, v35, v15, vcc_lo
	v_cmp_eq_u32_e32 vcc_lo, 14, v30
	s_delay_alu instid0(VALU_DEP_2) | instskip(SKIP_1) | instid1(VALU_DEP_2)
	v_cndmask_b32_e32 v35, v35, v16, vcc_lo
	v_cmp_eq_u32_e32 vcc_lo, 15, v30
	v_cndmask_b32_e32 v35, v35, v17, vcc_lo
	v_cmp_eq_u32_e32 vcc_lo, 16, v30
	s_delay_alu instid0(VALU_DEP_2) | instskip(SKIP_1) | instid1(VALU_DEP_2)
	v_cndmask_b32_e32 v35, v35, v18, vcc_lo
	v_cmp_eq_u32_e32 vcc_lo, 17, v30
	v_cndmask_b32_e32 v35, v35, v19, vcc_lo
	v_cmp_eq_u32_e32 vcc_lo, 18, v30
	s_delay_alu instid0(VALU_DEP_2) | instskip(SKIP_1) | instid1(VALU_DEP_2)
	v_cndmask_b32_e32 v35, v35, v20, vcc_lo
	v_cmp_eq_u32_e32 vcc_lo, 19, v30
	v_cndmask_b32_e32 v35, v35, v21, vcc_lo
	v_cmp_eq_u32_e32 vcc_lo, 20, v30
	s_delay_alu instid0(VALU_DEP_2) | instskip(SKIP_1) | instid1(VALU_DEP_2)
	v_cndmask_b32_e32 v35, v35, v22, vcc_lo
	v_cmp_eq_u32_e32 vcc_lo, 21, v30
	v_cndmask_b32_e32 v35, v35, v23, vcc_lo
	v_cmp_eq_u32_e32 vcc_lo, 22, v30
	s_delay_alu instid0(VALU_DEP_2) | instskip(SKIP_1) | instid1(VALU_DEP_2)
	v_cndmask_b32_e32 v35, v35, v24, vcc_lo
	v_cmp_eq_u32_e32 vcc_lo, 23, v30
	v_cndmask_b32_e32 v35, v35, v25, vcc_lo
	v_cmp_eq_u32_e32 vcc_lo, 24, v30
	s_delay_alu instid0(VALU_DEP_2) | instskip(SKIP_1) | instid1(VALU_DEP_2)
	v_cndmask_b32_e32 v35, v35, v26, vcc_lo
	v_cmp_eq_u32_e32 vcc_lo, 25, v30
	v_cndmask_b32_e32 v35, v35, v27, vcc_lo
	v_cmp_eq_u32_e32 vcc_lo, 26, v30
	s_delay_alu instid0(VALU_DEP_2) | instskip(SKIP_1) | instid1(VALU_DEP_2)
	v_cndmask_b32_e32 v35, v35, v28, vcc_lo
	v_cmp_eq_u32_e32 vcc_lo, 27, v30
	v_cndmask_b32_e32 v35, v35, v29, vcc_lo
	v_cmp_lt_u32_e32 vcc_lo, 24, v30
	s_wait_dscnt 0x0
	s_delay_alu instid0(VALU_DEP_2) | instskip(SKIP_1) | instid1(SALU_CYCLE_1)
	v_fmac_f32_e32 v32, v35, v36
	s_or_b32 s3, vcc_lo, s3
	s_and_not1_b32 exec_lo, exec_lo, s3
	s_cbranch_execnz .LBB91_677
; %bb.678:
	s_or_b32 exec_lo, exec_lo, s3
.LBB91_679:
	s_delay_alu instid0(SALU_CYCLE_1)
	s_or_b32 exec_lo, exec_lo, s2
	v_mov_b32_e32 v28, 0
	ds_load_b32 v28, v28 offset:104
	s_wait_dscnt 0x0
	v_mul_f32_e32 v28, v32, v28
.LBB91_680:
	s_or_b32 exec_lo, exec_lo, s1
	s_delay_alu instid0(SALU_CYCLE_1)
	s_mov_b32 s1, exec_lo
	ds_store_b32 v125, v29
	s_wait_dscnt 0x0
	s_barrier_signal -1
	s_barrier_wait -1
	v_cmpx_ne_u32_e32 27, v0
	s_cbranch_execz .LBB91_690
; %bb.681:
	v_cmp_ne_u32_e32 vcc_lo, 1, v34
	s_cbranch_vccnz .LBB91_683
; %bb.682:
	v_cmp_eq_u32_e32 vcc_lo, 1, v0
	ds_load_b32 v31, v125
	v_cndmask_b32_e32 v30, v2, v3, vcc_lo
	v_cmp_eq_u32_e32 vcc_lo, 2, v0
	s_delay_alu instid0(VALU_DEP_2) | instskip(SKIP_1) | instid1(VALU_DEP_2)
	v_cndmask_b32_e32 v30, v30, v4, vcc_lo
	v_cmp_eq_u32_e32 vcc_lo, 3, v0
	v_cndmask_b32_e32 v30, v30, v5, vcc_lo
	v_cmp_eq_u32_e32 vcc_lo, 4, v0
	s_delay_alu instid0(VALU_DEP_2) | instskip(SKIP_1) | instid1(VALU_DEP_2)
	v_cndmask_b32_e32 v30, v30, v6, vcc_lo
	v_cmp_eq_u32_e32 vcc_lo, 5, v0
	;; [unrolled: 5-line block ×13, first 2 shown]
	v_cndmask_b32_e32 v30, v30, v29, vcc_lo
	s_wait_dscnt 0x0
	s_delay_alu instid0(VALU_DEP_1)
	v_mul_f32_e32 v30, v30, v31
	s_cbranch_execz .LBB91_684
	s_branch .LBB91_685
.LBB91_683:
                                        ; implicit-def: $vgpr30
.LBB91_684:
	ds_load_b32 v30, v125
.LBB91_685:
	s_and_saveexec_b32 s2, s0
	s_cbranch_execz .LBB91_689
; %bb.686:
	v_lshl_add_u32 v31, v0, 2, 0x74
	s_mov_b32 s0, 0
.LBB91_687:                             ; =>This Inner Loop Header: Depth=1
	v_add_nc_u64_e32 v[0:1], 1, v[0:1]
	ds_load_b32 v33, v31
	v_add_nc_u32_e32 v31, 4, v31
	v_cmp_eq_u32_e32 vcc_lo, 1, v0
	v_cndmask_b32_e32 v32, v2, v3, vcc_lo
	v_cmp_eq_u32_e32 vcc_lo, 2, v0
	s_delay_alu instid0(VALU_DEP_2) | instskip(SKIP_1) | instid1(VALU_DEP_2)
	v_cndmask_b32_e32 v32, v32, v4, vcc_lo
	v_cmp_eq_u32_e32 vcc_lo, 3, v0
	v_cndmask_b32_e32 v32, v32, v5, vcc_lo
	v_cmp_eq_u32_e32 vcc_lo, 4, v0
	s_delay_alu instid0(VALU_DEP_2) | instskip(SKIP_1) | instid1(VALU_DEP_2)
	v_cndmask_b32_e32 v32, v32, v6, vcc_lo
	;; [unrolled: 5-line block ×13, first 2 shown]
	v_cmp_eq_u32_e32 vcc_lo, 27, v0
	v_cndmask_b32_e32 v32, v32, v29, vcc_lo
	v_cmp_lt_u32_e32 vcc_lo, 25, v0
	s_wait_dscnt 0x0
	s_delay_alu instid0(VALU_DEP_2) | instskip(SKIP_1) | instid1(SALU_CYCLE_1)
	v_fmac_f32_e32 v30, v32, v33
	s_or_b32 s0, vcc_lo, s0
	s_and_not1_b32 exec_lo, exec_lo, s0
	s_cbranch_execnz .LBB91_687
; %bb.688:
	s_or_b32 exec_lo, exec_lo, s0
.LBB91_689:
	s_delay_alu instid0(SALU_CYCLE_1)
	s_or_b32 exec_lo, exec_lo, s2
	v_mov_b32_e32 v0, 0
	ds_load_b32 v0, v0 offset:108
	s_wait_dscnt 0x0
	v_mul_f32_e32 v29, v30, v0
.LBB91_690:
	s_or_b32 exec_lo, exec_lo, s1
	v_mov_b64_e32 v[64:65], v[32:33]
	s_delay_alu instid0(VALU_DEP_2)
	v_mov_b64_e32 v[60:61], v[28:29]
	v_mov_b64_e32 v[58:59], v[26:27]
	;; [unrolled: 1-line block ×15, first 2 shown]
.LBB91_691:
	s_wait_xcnt 0x3
	v_lshl_add_u64 v[0:1], v[66:67], 2, s[30:31]
	s_wait_loadcnt_dscnt 0x304
	v_lshl_add_u64 v[2:3], v[68:69], 2, s[30:31]
	v_lshl_add_u64 v[4:5], v[70:71], 2, s[30:31]
	;; [unrolled: 1-line block ×12, first 2 shown]
	s_wait_loadcnt_dscnt 0x203
	v_lshl_add_u64 v[26:27], v[92:93], 2, s[30:31]
	s_wait_loadcnt_dscnt 0x1
	v_lshl_add_u64 v[28:29], v[94:95], 2, s[30:31]
	v_lshl_add_u64 v[30:31], v[96:97], 2, s[30:31]
	;; [unrolled: 1-line block ×12, first 2 shown]
	s_clause 0x1b
	flat_store_b32 v[104:105], v34
	flat_store_b32 v[108:109], v35
	;; [unrolled: 1-line block ×28, first 2 shown]
.LBB91_692:
	s_sendmsg sendmsg(MSG_DEALLOC_VGPRS)
	s_endpgm
	.section	.rodata,"a",@progbits
	.p2align	6, 0x0
	.amdhsa_kernel _ZN9rocsolver6v33100L18trti2_kernel_smallILi28EfPKPfEEv13rocblas_fill_17rocblas_diagonal_T1_iil
		.amdhsa_group_segment_fixed_size 224
		.amdhsa_private_segment_fixed_size 0
		.amdhsa_kernarg_size 32
		.amdhsa_user_sgpr_count 2
		.amdhsa_user_sgpr_dispatch_ptr 0
		.amdhsa_user_sgpr_queue_ptr 0
		.amdhsa_user_sgpr_kernarg_segment_ptr 1
		.amdhsa_user_sgpr_dispatch_id 0
		.amdhsa_user_sgpr_kernarg_preload_length 0
		.amdhsa_user_sgpr_kernarg_preload_offset 0
		.amdhsa_user_sgpr_private_segment_size 0
		.amdhsa_wavefront_size32 1
		.amdhsa_uses_dynamic_stack 0
		.amdhsa_enable_private_segment 0
		.amdhsa_system_sgpr_workgroup_id_x 1
		.amdhsa_system_sgpr_workgroup_id_y 0
		.amdhsa_system_sgpr_workgroup_id_z 0
		.amdhsa_system_sgpr_workgroup_info 0
		.amdhsa_system_vgpr_workitem_id 0
		.amdhsa_next_free_vgpr 137
		.amdhsa_next_free_sgpr 34
		.amdhsa_named_barrier_count 0
		.amdhsa_reserve_vcc 1
		.amdhsa_float_round_mode_32 0
		.amdhsa_float_round_mode_16_64 0
		.amdhsa_float_denorm_mode_32 3
		.amdhsa_float_denorm_mode_16_64 3
		.amdhsa_fp16_overflow 0
		.amdhsa_memory_ordered 1
		.amdhsa_forward_progress 1
		.amdhsa_inst_pref_size 255
		.amdhsa_round_robin_scheduling 0
		.amdhsa_exception_fp_ieee_invalid_op 0
		.amdhsa_exception_fp_denorm_src 0
		.amdhsa_exception_fp_ieee_div_zero 0
		.amdhsa_exception_fp_ieee_overflow 0
		.amdhsa_exception_fp_ieee_underflow 0
		.amdhsa_exception_fp_ieee_inexact 0
		.amdhsa_exception_int_div_zero 0
	.end_amdhsa_kernel
	.section	.text._ZN9rocsolver6v33100L18trti2_kernel_smallILi28EfPKPfEEv13rocblas_fill_17rocblas_diagonal_T1_iil,"axG",@progbits,_ZN9rocsolver6v33100L18trti2_kernel_smallILi28EfPKPfEEv13rocblas_fill_17rocblas_diagonal_T1_iil,comdat
.Lfunc_end91:
	.size	_ZN9rocsolver6v33100L18trti2_kernel_smallILi28EfPKPfEEv13rocblas_fill_17rocblas_diagonal_T1_iil, .Lfunc_end91-_ZN9rocsolver6v33100L18trti2_kernel_smallILi28EfPKPfEEv13rocblas_fill_17rocblas_diagonal_T1_iil
                                        ; -- End function
	.set _ZN9rocsolver6v33100L18trti2_kernel_smallILi28EfPKPfEEv13rocblas_fill_17rocblas_diagonal_T1_iil.num_vgpr, 137
	.set _ZN9rocsolver6v33100L18trti2_kernel_smallILi28EfPKPfEEv13rocblas_fill_17rocblas_diagonal_T1_iil.num_agpr, 0
	.set _ZN9rocsolver6v33100L18trti2_kernel_smallILi28EfPKPfEEv13rocblas_fill_17rocblas_diagonal_T1_iil.numbered_sgpr, 34
	.set _ZN9rocsolver6v33100L18trti2_kernel_smallILi28EfPKPfEEv13rocblas_fill_17rocblas_diagonal_T1_iil.num_named_barrier, 0
	.set _ZN9rocsolver6v33100L18trti2_kernel_smallILi28EfPKPfEEv13rocblas_fill_17rocblas_diagonal_T1_iil.private_seg_size, 0
	.set _ZN9rocsolver6v33100L18trti2_kernel_smallILi28EfPKPfEEv13rocblas_fill_17rocblas_diagonal_T1_iil.uses_vcc, 1
	.set _ZN9rocsolver6v33100L18trti2_kernel_smallILi28EfPKPfEEv13rocblas_fill_17rocblas_diagonal_T1_iil.uses_flat_scratch, 1
	.set _ZN9rocsolver6v33100L18trti2_kernel_smallILi28EfPKPfEEv13rocblas_fill_17rocblas_diagonal_T1_iil.has_dyn_sized_stack, 0
	.set _ZN9rocsolver6v33100L18trti2_kernel_smallILi28EfPKPfEEv13rocblas_fill_17rocblas_diagonal_T1_iil.has_recursion, 0
	.set _ZN9rocsolver6v33100L18trti2_kernel_smallILi28EfPKPfEEv13rocblas_fill_17rocblas_diagonal_T1_iil.has_indirect_call, 0
	.section	.AMDGPU.csdata,"",@progbits
; Kernel info:
; codeLenInByte = 49480
; TotalNumSgprs: 36
; NumVgprs: 137
; ScratchSize: 0
; MemoryBound: 0
; FloatMode: 240
; IeeeMode: 1
; LDSByteSize: 224 bytes/workgroup (compile time only)
; SGPRBlocks: 0
; VGPRBlocks: 8
; NumSGPRsForWavesPerEU: 36
; NumVGPRsForWavesPerEU: 137
; NamedBarCnt: 0
; Occupancy: 7
; WaveLimiterHint : 1
; COMPUTE_PGM_RSRC2:SCRATCH_EN: 0
; COMPUTE_PGM_RSRC2:USER_SGPR: 2
; COMPUTE_PGM_RSRC2:TRAP_HANDLER: 0
; COMPUTE_PGM_RSRC2:TGID_X_EN: 1
; COMPUTE_PGM_RSRC2:TGID_Y_EN: 0
; COMPUTE_PGM_RSRC2:TGID_Z_EN: 0
; COMPUTE_PGM_RSRC2:TIDIG_COMP_CNT: 0
	.section	.text._ZN9rocsolver6v33100L18trti2_kernel_smallILi29EfPKPfEEv13rocblas_fill_17rocblas_diagonal_T1_iil,"axG",@progbits,_ZN9rocsolver6v33100L18trti2_kernel_smallILi29EfPKPfEEv13rocblas_fill_17rocblas_diagonal_T1_iil,comdat
	.globl	_ZN9rocsolver6v33100L18trti2_kernel_smallILi29EfPKPfEEv13rocblas_fill_17rocblas_diagonal_T1_iil ; -- Begin function _ZN9rocsolver6v33100L18trti2_kernel_smallILi29EfPKPfEEv13rocblas_fill_17rocblas_diagonal_T1_iil
	.p2align	8
	.type	_ZN9rocsolver6v33100L18trti2_kernel_smallILi29EfPKPfEEv13rocblas_fill_17rocblas_diagonal_T1_iil,@function
_ZN9rocsolver6v33100L18trti2_kernel_smallILi29EfPKPfEEv13rocblas_fill_17rocblas_diagonal_T1_iil: ; @_ZN9rocsolver6v33100L18trti2_kernel_smallILi29EfPKPfEEv13rocblas_fill_17rocblas_diagonal_T1_iil
; %bb.0:
	s_mov_b32 s2, exec_lo
	v_cmpx_gt_u32_e32 29, v0
	s_cbranch_execz .LBB92_718
; %bb.1:
	s_clause 0x1
	s_load_b64 s[2:3], s[0:1], 0x10
	s_load_b128 s[36:39], s[0:1], 0x0
	s_wait_xcnt 0x0
	s_bfe_u32 s0, ttmp6, 0x4000c
	s_and_b32 s1, ttmp6, 15
	s_add_co_i32 s0, s0, 1
	s_getreg_b32 s4, hwreg(HW_REG_IB_STS2, 6, 4)
	s_mul_i32 s0, ttmp9, s0
	s_delay_alu instid0(SALU_CYCLE_1)
	s_add_co_i32 s0, s1, s0
	s_wait_kmcnt 0x0
	v_add3_u32 v66, s3, s3, v0
	s_ashr_i32 s1, s2, 31
	s_cmp_eq_u32 s4, 0
	s_cselect_b32 s4, ttmp9, s0
	s_delay_alu instid0(VALU_DEP_1)
	v_add_nc_u32_e32 v68, s3, v66
	s_ashr_i32 s5, s4, 31
	s_mov_b32 s0, s2
	s_lshl_b64 s[4:5], s[4:5], 3
	s_lshl_b64 s[0:1], s[0:1], 2
	v_add_nc_u32_e32 v70, s3, v68
	s_add_nc_u64 s[4:5], s[38:39], s[4:5]
	s_load_b64 s[4:5], s[4:5], 0x0
	s_delay_alu instid0(VALU_DEP_1) | instskip(NEXT) | instid1(VALU_DEP_1)
	v_add_nc_u32_e32 v72, s3, v70
	v_add_nc_u32_e32 v74, s3, v72
	s_delay_alu instid0(VALU_DEP_1) | instskip(NEXT) | instid1(VALU_DEP_1)
	v_add_nc_u32_e32 v76, s3, v74
	v_add_nc_u32_e32 v78, s3, v76
	s_wait_kmcnt 0x0
	s_add_nc_u64 s[30:31], s[4:5], s[0:1]
	s_mov_b32 s0, s3
	s_delay_alu instid0(VALU_DEP_1) | instskip(SKIP_3) | instid1(VALU_DEP_1)
	v_add_nc_u32_e32 v80, s3, v78
	s_ashr_i32 s1, s3, 31
	s_cmp_lg_u32 s37, 0x84
	s_cselect_b32 s29, -1, 0
	v_add_nc_u32_e32 v82, s3, v80
	s_cmp_eq_u32 s37, 0x84
	s_delay_alu instid0(VALU_DEP_1) | instskip(NEXT) | instid1(VALU_DEP_1)
	v_add_nc_u32_e32 v84, s3, v82
	v_add_nc_u32_e32 v86, s3, v84
	s_delay_alu instid0(VALU_DEP_1) | instskip(NEXT) | instid1(VALU_DEP_1)
	v_add_nc_u32_e32 v88, s3, v86
	v_add_nc_u32_e32 v90, s3, v88
	;; [unrolled: 3-line block ×4, first 2 shown]
	s_delay_alu instid0(VALU_DEP_1) | instskip(NEXT) | instid1(VALU_DEP_1)
	v_add_nc_u32_e32 v100, s3, v98
	v_dual_mov_b32 v1, 0 :: v_dual_add_nc_u32 v104, s3, v100
	s_delay_alu instid0(VALU_DEP_1) | instskip(NEXT) | instid1(VALU_DEP_2)
	v_add_nc_u32_e32 v106, s3, v104
	v_dual_mov_b32 v35, v1 :: v_dual_lshlrev_b32 v34, 2, v0
	s_delay_alu instid0(VALU_DEP_2) | instskip(NEXT) | instid1(VALU_DEP_2)
	v_add_nc_u32_e32 v110, s3, v106
	v_add_nc_u64_e32 v[102:103], s[30:31], v[34:35]
	s_delay_alu instid0(VALU_DEP_2) | instskip(NEXT) | instid1(VALU_DEP_2)
	v_dual_mov_b32 v35, -1.0 :: v_dual_add_nc_u32 v112, s3, v110
	v_lshl_add_u64 v[108:109], s[0:1], 2, v[102:103]
	s_delay_alu instid0(VALU_DEP_2)
	v_add_nc_u32_e32 v114, s3, v112
	s_clause 0x7
	flat_load_b32 v3, v[108:109]
	flat_load_b32 v4, v66, s[30:31] scale_offset
	flat_load_b32 v5, v68, s[30:31] scale_offset
	;; [unrolled: 1-line block ×7, first 2 shown]
	v_add_nc_u32_e32 v116, s3, v114
	s_clause 0x7
	flat_load_b32 v11, v80, s[30:31] scale_offset
	flat_load_b32 v12, v82, s[30:31] scale_offset
	;; [unrolled: 1-line block ×8, first 2 shown]
	v_cmp_eq_u32_e64 s0, 0, v0
	v_add_nc_u32_e32 v118, s3, v116
	s_clause 0x7
	flat_load_b32 v19, v96, s[30:31] scale_offset
	flat_load_b32 v20, v98, s[30:31] scale_offset
	;; [unrolled: 1-line block ×8, first 2 shown]
	v_add_nc_u32_e32 v120, s3, v118
	s_delay_alu instid0(VALU_DEP_1)
	v_add_nc_u32_e32 v122, s3, v120
	s_clause 0x4
	flat_load_b32 v2, v0, s[30:31] scale_offset
	flat_load_b32 v27, v116, s[30:31] scale_offset
	;; [unrolled: 1-line block ×5, first 2 shown]
	s_cbranch_scc1 .LBB92_3
; %bb.2:
	v_cmp_eq_u32_e64 s1, 1, v0
	v_cmp_eq_u32_e64 s2, 2, v0
	;; [unrolled: 1-line block ×5, first 2 shown]
	s_wait_loadcnt_dscnt 0x404
	v_cndmask_b32_e64 v31, v2, v3, s1
	v_cmp_eq_u32_e64 s6, 6, v0
	v_cmp_eq_u32_e64 s7, 7, v0
	v_cmp_eq_u32_e64 s8, 8, v0
	v_cmp_eq_u32_e64 s9, 9, v0
	v_cndmask_b32_e64 v31, v31, v4, s2
	v_cmp_eq_u32_e64 s10, 10, v0
	v_cmp_eq_u32_e64 s11, 11, v0
	v_cmp_eq_u32_e64 s12, 12, v0
	v_cmp_eq_u32_e64 s13, 13, v0
	;; [unrolled: 5-line block ×5, first 2 shown]
	v_cndmask_b32_e64 v31, v31, v8, s6
	v_cmp_eq_u32_e64 s26, 26, v0
	v_cmp_eq_u32_e64 s27, 27, v0
	;; [unrolled: 1-line block ×3, first 2 shown]
	s_delay_alu instid0(VALU_DEP_4) | instskip(NEXT) | instid1(VALU_DEP_1)
	v_cndmask_b32_e64 v31, v31, v9, s7
	v_cndmask_b32_e64 v31, v31, v10, s8
	s_delay_alu instid0(VALU_DEP_1) | instskip(NEXT) | instid1(VALU_DEP_1)
	v_cndmask_b32_e64 v31, v31, v11, s9
	v_cndmask_b32_e64 v31, v31, v12, s10
	s_delay_alu instid0(VALU_DEP_1) | instskip(NEXT) | instid1(VALU_DEP_1)
	;; [unrolled: 3-line block ×8, first 2 shown]
	v_cndmask_b32_e64 v31, v31, v25, s23
	v_cndmask_b32_e64 v31, v31, v26, s24
	s_wait_loadcnt_dscnt 0x303
	s_delay_alu instid0(VALU_DEP_1) | instskip(SKIP_1) | instid1(VALU_DEP_1)
	v_cndmask_b32_e64 v31, v31, v27, s25
	s_wait_loadcnt_dscnt 0x202
	v_cndmask_b32_e64 v31, v31, v28, s26
	s_wait_loadcnt_dscnt 0x101
	s_delay_alu instid0(VALU_DEP_1) | instskip(SKIP_1) | instid1(VALU_DEP_1)
	v_cndmask_b32_e64 v31, v31, v29, s27
	s_wait_loadcnt_dscnt 0x0
	v_cndmask_b32_e64 v31, v31, v30, s28
	s_delay_alu instid0(VALU_DEP_1) | instskip(SKIP_1) | instid1(VALU_DEP_2)
	v_div_scale_f32 v32, null, v31, v31, 1.0
	v_div_scale_f32 v36, vcc_lo, 1.0, v31, 1.0
	v_rcp_f32_e32 v33, v32
	v_nop
	s_delay_alu instid0(TRANS32_DEP_1) | instskip(NEXT) | instid1(VALU_DEP_1)
	v_fma_f32 v35, -v32, v33, 1.0
	v_fmac_f32_e32 v33, v35, v33
	s_delay_alu instid0(VALU_DEP_1) | instskip(NEXT) | instid1(VALU_DEP_1)
	v_mul_f32_e32 v35, v36, v33
	v_fma_f32 v37, -v32, v35, v36
	s_delay_alu instid0(VALU_DEP_1) | instskip(NEXT) | instid1(VALU_DEP_1)
	v_fmac_f32_e32 v35, v37, v33
	v_fma_f32 v32, -v32, v35, v36
	s_delay_alu instid0(VALU_DEP_1) | instskip(NEXT) | instid1(VALU_DEP_1)
	v_div_fmas_f32 v32, v32, v33, v35
	v_div_fixup_f32 v31, v32, v31, 1.0
	s_delay_alu instid0(VALU_DEP_1)
	v_dual_cndmask_b32 v30, v30, v31, s28 :: v_dual_cndmask_b32 v29, v29, v31, s27
	v_dual_cndmask_b32 v28, v28, v31, s26 :: v_dual_cndmask_b32 v27, v27, v31, s25
	v_dual_cndmask_b32 v26, v26, v31, s24 :: v_dual_cndmask_b32 v25, v25, v31, s23
	v_dual_cndmask_b32 v24, v24, v31, s22 :: v_dual_cndmask_b32 v23, v23, v31, s21
	v_dual_cndmask_b32 v22, v22, v31, s20 :: v_dual_cndmask_b32 v21, v21, v31, s19
	v_dual_cndmask_b32 v20, v20, v31, s18 :: v_dual_cndmask_b32 v19, v19, v31, s17
	v_dual_cndmask_b32 v18, v18, v31, s16 :: v_dual_cndmask_b32 v17, v17, v31, s15
	v_dual_cndmask_b32 v16, v16, v31, s14 :: v_dual_cndmask_b32 v15, v15, v31, s13
	v_dual_cndmask_b32 v14, v14, v31, s12 :: v_dual_cndmask_b32 v13, v13, v31, s11
	v_dual_cndmask_b32 v12, v12, v31, s10 :: v_dual_cndmask_b32 v11, v11, v31, s9
	v_dual_cndmask_b32 v10, v10, v31, s8 :: v_dual_cndmask_b32 v9, v9, v31, s7
	v_dual_cndmask_b32 v8, v8, v31, s6 :: v_dual_cndmask_b32 v7, v7, v31, s5
	v_dual_cndmask_b32 v6, v6, v31, s4 :: v_dual_cndmask_b32 v5, v5, v31, s3
	v_dual_cndmask_b32 v4, v4, v31, s2 :: v_dual_cndmask_b32 v3, v3, v31, s1
	v_cndmask_b32_e64 v2, v2, v31, s0
	v_xor_b32_e32 v35, 0x80000000, v31
.LBB92_3:
	v_dual_ashrrev_i32 v67, 31, v66 :: v_dual_ashrrev_i32 v69, 31, v68
	v_dual_ashrrev_i32 v71, 31, v70 :: v_dual_ashrrev_i32 v73, 31, v72
	;; [unrolled: 1-line block ×13, first 2 shown]
	v_ashrrev_i32_e32 v123, 31, v122
	v_add_nc_u32_e32 v127, 0x80, v34
	s_cmp_eq_u32 s36, 0x79
	ds_store_b32 v34, v35
	s_cbranch_scc1 .LBB92_7
; %bb.4:
	s_wait_loadcnt_dscnt 0x1
	v_mov_b64_e32 v[64:65], v[32:33]
	v_mov_b64_e32 v[62:63], v[30:31]
	;; [unrolled: 1-line block ×16, first 2 shown]
	v_cmp_eq_u32_e64 s1, 28, v0
	ds_store_b32 v127, v29
	s_wait_dscnt 0x0
	s_barrier_signal -1
	s_barrier_wait -1
	s_and_saveexec_b32 s0, s1
	s_cbranch_execz .LBB92_11
; %bb.5:
	s_and_b32 vcc_lo, exec_lo, s29
	s_cbranch_vccz .LBB92_8
; %bb.6:
	v_cmp_eq_u32_e32 vcc_lo, 1, v0
	ds_load_b32 v35, v127
	v_cndmask_b32_e32 v34, v2, v3, vcc_lo
	v_cmp_eq_u32_e32 vcc_lo, 2, v0
	s_delay_alu instid0(VALU_DEP_2) | instskip(SKIP_1) | instid1(VALU_DEP_2)
	v_cndmask_b32_e32 v34, v34, v4, vcc_lo
	v_cmp_eq_u32_e32 vcc_lo, 3, v0
	v_cndmask_b32_e32 v34, v34, v5, vcc_lo
	v_cmp_eq_u32_e32 vcc_lo, 4, v0
	s_delay_alu instid0(VALU_DEP_2) | instskip(SKIP_1) | instid1(VALU_DEP_2)
	v_cndmask_b32_e32 v34, v34, v6, vcc_lo
	v_cmp_eq_u32_e32 vcc_lo, 5, v0
	v_cndmask_b32_e32 v34, v34, v7, vcc_lo
	v_cmp_eq_u32_e32 vcc_lo, 6, v0
	s_delay_alu instid0(VALU_DEP_2) | instskip(SKIP_1) | instid1(VALU_DEP_2)
	v_cndmask_b32_e32 v34, v34, v8, vcc_lo
	v_cmp_eq_u32_e32 vcc_lo, 7, v0
	v_cndmask_b32_e32 v34, v34, v9, vcc_lo
	v_cmp_eq_u32_e32 vcc_lo, 8, v0
	s_delay_alu instid0(VALU_DEP_2) | instskip(SKIP_1) | instid1(VALU_DEP_2)
	v_cndmask_b32_e32 v34, v34, v10, vcc_lo
	v_cmp_eq_u32_e32 vcc_lo, 9, v0
	v_cndmask_b32_e32 v34, v34, v11, vcc_lo
	v_cmp_eq_u32_e32 vcc_lo, 10, v0
	s_delay_alu instid0(VALU_DEP_2) | instskip(SKIP_1) | instid1(VALU_DEP_2)
	v_cndmask_b32_e32 v34, v34, v12, vcc_lo
	v_cmp_eq_u32_e32 vcc_lo, 11, v0
	v_cndmask_b32_e32 v34, v34, v13, vcc_lo
	v_cmp_eq_u32_e32 vcc_lo, 12, v0
	s_delay_alu instid0(VALU_DEP_2) | instskip(SKIP_1) | instid1(VALU_DEP_2)
	v_cndmask_b32_e32 v34, v34, v14, vcc_lo
	v_cmp_eq_u32_e32 vcc_lo, 13, v0
	v_cndmask_b32_e32 v34, v34, v15, vcc_lo
	v_cmp_eq_u32_e32 vcc_lo, 14, v0
	s_delay_alu instid0(VALU_DEP_2) | instskip(SKIP_1) | instid1(VALU_DEP_2)
	v_cndmask_b32_e32 v34, v34, v16, vcc_lo
	v_cmp_eq_u32_e32 vcc_lo, 15, v0
	v_cndmask_b32_e32 v34, v34, v17, vcc_lo
	v_cmp_eq_u32_e32 vcc_lo, 16, v0
	s_delay_alu instid0(VALU_DEP_2) | instskip(SKIP_1) | instid1(VALU_DEP_2)
	v_cndmask_b32_e32 v34, v34, v18, vcc_lo
	v_cmp_eq_u32_e32 vcc_lo, 17, v0
	v_cndmask_b32_e32 v34, v34, v19, vcc_lo
	v_cmp_eq_u32_e32 vcc_lo, 18, v0
	s_delay_alu instid0(VALU_DEP_2) | instskip(SKIP_1) | instid1(VALU_DEP_2)
	v_cndmask_b32_e32 v34, v34, v20, vcc_lo
	v_cmp_eq_u32_e32 vcc_lo, 19, v0
	v_cndmask_b32_e32 v34, v34, v21, vcc_lo
	v_cmp_eq_u32_e32 vcc_lo, 20, v0
	s_delay_alu instid0(VALU_DEP_2) | instskip(SKIP_1) | instid1(VALU_DEP_2)
	v_cndmask_b32_e32 v34, v34, v22, vcc_lo
	v_cmp_eq_u32_e32 vcc_lo, 21, v0
	v_cndmask_b32_e32 v34, v34, v23, vcc_lo
	v_cmp_eq_u32_e32 vcc_lo, 22, v0
	s_delay_alu instid0(VALU_DEP_2) | instskip(SKIP_1) | instid1(VALU_DEP_2)
	v_cndmask_b32_e32 v34, v34, v24, vcc_lo
	v_cmp_eq_u32_e32 vcc_lo, 23, v0
	v_cndmask_b32_e32 v34, v34, v25, vcc_lo
	v_cmp_eq_u32_e32 vcc_lo, 24, v0
	s_delay_alu instid0(VALU_DEP_2) | instskip(SKIP_1) | instid1(VALU_DEP_2)
	v_cndmask_b32_e32 v34, v34, v26, vcc_lo
	v_cmp_eq_u32_e32 vcc_lo, 25, v0
	v_cndmask_b32_e32 v34, v34, v27, vcc_lo
	v_cmp_eq_u32_e32 vcc_lo, 26, v0
	s_delay_alu instid0(VALU_DEP_2) | instskip(SKIP_1) | instid1(VALU_DEP_2)
	v_cndmask_b32_e32 v34, v34, v28, vcc_lo
	v_cmp_eq_u32_e32 vcc_lo, 27, v0
	v_cndmask_b32_e32 v34, v34, v29, vcc_lo
	v_cmp_eq_u32_e32 vcc_lo, 28, v0
	s_delay_alu instid0(VALU_DEP_2) | instskip(SKIP_1) | instid1(VALU_DEP_1)
	v_cndmask_b32_e32 v34, v34, v30, vcc_lo
	s_wait_dscnt 0x0
	v_mul_f32_e32 v57, v34, v35
	s_cbranch_execz .LBB92_9
	s_branch .LBB92_10
.LBB92_7:
                                        ; implicit-def: $vgpr34_vgpr35_vgpr36_vgpr37_vgpr38_vgpr39_vgpr40_vgpr41_vgpr42_vgpr43_vgpr44_vgpr45_vgpr46_vgpr47_vgpr48_vgpr49_vgpr50_vgpr51_vgpr52_vgpr53_vgpr54_vgpr55_vgpr56_vgpr57_vgpr58_vgpr59_vgpr60_vgpr61_vgpr62_vgpr63_vgpr64_vgpr65
	s_cbranch_execnz .LBB92_434
	s_branch .LBB92_717
.LBB92_8:
                                        ; implicit-def: $vgpr57
.LBB92_9:
	ds_load_b32 v57, v127
.LBB92_10:
	v_dual_mov_b32 v38, 0 :: v_dual_mov_b32 v34, v2
	v_dual_mov_b32 v35, v3 :: v_dual_mov_b32 v36, v4
	v_mov_b32_e32 v37, v5
	ds_load_b32 v58, v38 offset:108
	v_dual_mov_b32 v38, v6 :: v_dual_mov_b32 v39, v7
	v_dual_mov_b32 v40, v8 :: v_dual_mov_b32 v41, v9
	;; [unrolled: 1-line block ×9, first 2 shown]
	s_wait_dscnt 0x0
	v_dual_mov_b32 v56, v24 :: v_dual_mul_f32 v61, v57, v58
	v_dual_mov_b32 v58, v26 :: v_dual_mov_b32 v57, v25
	v_dual_mov_b32 v59, v27 :: v_dual_mov_b32 v60, v28
	v_mov_b32_e32 v62, v30
.LBB92_11:
	s_or_b32 exec_lo, exec_lo, s0
	v_cmp_lt_u32_e64 s0, 26, v0
	ds_store_b32 v127, v60
	s_wait_dscnt 0x0
	s_barrier_signal -1
	s_barrier_wait -1
	s_and_saveexec_b32 s2, s0
	s_cbranch_execz .LBB92_17
; %bb.12:
	s_and_not1_b32 vcc_lo, exec_lo, s29
	s_cbranch_vccnz .LBB92_14
; %bb.13:
	v_cmp_eq_u32_e32 vcc_lo, 1, v0
	ds_load_b32 v64, v127
	v_cndmask_b32_e32 v63, v34, v35, vcc_lo
	v_cmp_eq_u32_e32 vcc_lo, 2, v0
	s_delay_alu instid0(VALU_DEP_2) | instskip(SKIP_1) | instid1(VALU_DEP_2)
	v_cndmask_b32_e32 v63, v63, v36, vcc_lo
	v_cmp_eq_u32_e32 vcc_lo, 3, v0
	v_cndmask_b32_e32 v63, v63, v37, vcc_lo
	v_cmp_eq_u32_e32 vcc_lo, 4, v0
	s_delay_alu instid0(VALU_DEP_2) | instskip(SKIP_1) | instid1(VALU_DEP_2)
	v_cndmask_b32_e32 v63, v63, v38, vcc_lo
	v_cmp_eq_u32_e32 vcc_lo, 5, v0
	v_cndmask_b32_e32 v63, v63, v39, vcc_lo
	v_cmp_eq_u32_e32 vcc_lo, 6, v0
	s_delay_alu instid0(VALU_DEP_2) | instskip(SKIP_1) | instid1(VALU_DEP_2)
	v_cndmask_b32_e32 v63, v63, v40, vcc_lo
	v_cmp_eq_u32_e32 vcc_lo, 7, v0
	v_cndmask_b32_e32 v63, v63, v41, vcc_lo
	v_cmp_eq_u32_e32 vcc_lo, 8, v0
	s_delay_alu instid0(VALU_DEP_2) | instskip(SKIP_1) | instid1(VALU_DEP_2)
	v_cndmask_b32_e32 v63, v63, v42, vcc_lo
	v_cmp_eq_u32_e32 vcc_lo, 9, v0
	v_cndmask_b32_e32 v63, v63, v43, vcc_lo
	v_cmp_eq_u32_e32 vcc_lo, 10, v0
	s_delay_alu instid0(VALU_DEP_2) | instskip(SKIP_1) | instid1(VALU_DEP_2)
	v_cndmask_b32_e32 v63, v63, v44, vcc_lo
	v_cmp_eq_u32_e32 vcc_lo, 11, v0
	v_cndmask_b32_e32 v63, v63, v45, vcc_lo
	v_cmp_eq_u32_e32 vcc_lo, 12, v0
	s_delay_alu instid0(VALU_DEP_2) | instskip(SKIP_1) | instid1(VALU_DEP_2)
	v_cndmask_b32_e32 v63, v63, v46, vcc_lo
	v_cmp_eq_u32_e32 vcc_lo, 13, v0
	v_cndmask_b32_e32 v63, v63, v47, vcc_lo
	v_cmp_eq_u32_e32 vcc_lo, 14, v0
	s_delay_alu instid0(VALU_DEP_2) | instskip(SKIP_1) | instid1(VALU_DEP_2)
	v_cndmask_b32_e32 v63, v63, v48, vcc_lo
	v_cmp_eq_u32_e32 vcc_lo, 15, v0
	v_cndmask_b32_e32 v63, v63, v49, vcc_lo
	v_cmp_eq_u32_e32 vcc_lo, 16, v0
	s_delay_alu instid0(VALU_DEP_2) | instskip(SKIP_1) | instid1(VALU_DEP_2)
	v_cndmask_b32_e32 v63, v63, v50, vcc_lo
	v_cmp_eq_u32_e32 vcc_lo, 17, v0
	v_cndmask_b32_e32 v63, v63, v51, vcc_lo
	v_cmp_eq_u32_e32 vcc_lo, 18, v0
	s_delay_alu instid0(VALU_DEP_2) | instskip(SKIP_1) | instid1(VALU_DEP_2)
	v_cndmask_b32_e32 v63, v63, v52, vcc_lo
	v_cmp_eq_u32_e32 vcc_lo, 19, v0
	v_cndmask_b32_e32 v63, v63, v53, vcc_lo
	v_cmp_eq_u32_e32 vcc_lo, 20, v0
	s_delay_alu instid0(VALU_DEP_2) | instskip(SKIP_1) | instid1(VALU_DEP_2)
	v_cndmask_b32_e32 v63, v63, v54, vcc_lo
	v_cmp_eq_u32_e32 vcc_lo, 21, v0
	v_cndmask_b32_e32 v63, v63, v55, vcc_lo
	v_cmp_eq_u32_e32 vcc_lo, 22, v0
	s_delay_alu instid0(VALU_DEP_2) | instskip(SKIP_1) | instid1(VALU_DEP_2)
	v_cndmask_b32_e32 v63, v63, v56, vcc_lo
	v_cmp_eq_u32_e32 vcc_lo, 23, v0
	v_cndmask_b32_e32 v63, v63, v57, vcc_lo
	v_cmp_eq_u32_e32 vcc_lo, 24, v0
	s_delay_alu instid0(VALU_DEP_2) | instskip(SKIP_1) | instid1(VALU_DEP_2)
	v_cndmask_b32_e32 v63, v63, v58, vcc_lo
	v_cmp_eq_u32_e32 vcc_lo, 25, v0
	v_cndmask_b32_e32 v63, v63, v59, vcc_lo
	v_cmp_eq_u32_e32 vcc_lo, 26, v0
	s_delay_alu instid0(VALU_DEP_2) | instskip(SKIP_1) | instid1(VALU_DEP_2)
	v_cndmask_b32_e32 v60, v63, v60, vcc_lo
	v_cmp_eq_u32_e32 vcc_lo, 27, v0
	v_cndmask_b32_e32 v60, v60, v61, vcc_lo
	v_cmp_eq_u32_e32 vcc_lo, 28, v0
	s_delay_alu instid0(VALU_DEP_2) | instskip(SKIP_1) | instid1(VALU_DEP_1)
	v_cndmask_b32_e32 v60, v60, v62, vcc_lo
	s_wait_dscnt 0x0
	v_mul_f32_e32 v60, v60, v64
	s_cbranch_execz .LBB92_15
	s_branch .LBB92_16
.LBB92_14:
                                        ; implicit-def: $vgpr60
.LBB92_15:
	ds_load_b32 v60, v127
.LBB92_16:
	v_mov_b32_e32 v63, 0
	ds_load_2addr_b32 v[64:65], v63 offset0:26 offset1:59
	s_wait_dscnt 0x0
	v_fma_f32 v63, v61, v65, v60
	s_delay_alu instid0(VALU_DEP_1) | instskip(NEXT) | instid1(VALU_DEP_1)
	v_cndmask_b32_e64 v60, v60, v63, s1
	v_mul_f32_e32 v60, v60, v64
.LBB92_17:
	s_or_b32 exec_lo, exec_lo, s2
	v_cmp_lt_u32_e64 s1, 25, v0
	ds_store_b32 v127, v59
	s_wait_dscnt 0x0
	s_barrier_signal -1
	s_barrier_wait -1
	s_and_saveexec_b32 s4, s1
	s_cbranch_execz .LBB92_33
; %bb.18:
	s_and_not1_b32 vcc_lo, exec_lo, s29
	s_cbranch_vccnz .LBB92_20
; %bb.19:
	v_cmp_eq_u32_e32 vcc_lo, 1, v0
	ds_load_b32 v125, v127
	v_cndmask_b32_e32 v124, v34, v35, vcc_lo
	v_cmp_eq_u32_e32 vcc_lo, 2, v0
	s_delay_alu instid0(VALU_DEP_2) | instskip(SKIP_1) | instid1(VALU_DEP_2)
	v_cndmask_b32_e32 v124, v124, v36, vcc_lo
	v_cmp_eq_u32_e32 vcc_lo, 3, v0
	v_cndmask_b32_e32 v124, v124, v37, vcc_lo
	v_cmp_eq_u32_e32 vcc_lo, 4, v0
	s_delay_alu instid0(VALU_DEP_2) | instskip(SKIP_1) | instid1(VALU_DEP_2)
	v_cndmask_b32_e32 v124, v124, v38, vcc_lo
	v_cmp_eq_u32_e32 vcc_lo, 5, v0
	;; [unrolled: 5-line block ×13, first 2 shown]
	v_cndmask_b32_e32 v124, v124, v61, vcc_lo
	v_cmp_eq_u32_e32 vcc_lo, 28, v0
	s_delay_alu instid0(VALU_DEP_2) | instskip(SKIP_1) | instid1(VALU_DEP_1)
	v_cndmask_b32_e32 v124, v124, v62, vcc_lo
	s_wait_dscnt 0x0
	v_mul_f32_e32 v128, v124, v125
	s_cbranch_execz .LBB92_21
	s_branch .LBB92_22
.LBB92_20:
                                        ; implicit-def: $vgpr128
.LBB92_21:
	ds_load_b32 v128, v127
.LBB92_22:
	s_and_saveexec_b32 s5, s0
	s_cbranch_execz .LBB92_32
; %bb.23:
	v_subrev_nc_u32_e32 v126, 27, v0
	v_mov_b32_e32 v124, 26
	v_subrev_nc_u32_e32 v125, 26, v0
	s_mov_b32 s0, exec_lo
	s_delay_alu instid0(VALU_DEP_3)
	v_cmpx_lt_u32_e32 6, v126
	s_cbranch_execz .LBB92_27
; %bb.24:
	s_delay_alu instid0(VALU_DEP_2) | instskip(SKIP_3) | instid1(VALU_DEP_1)
	v_and_b32_e32 v124, -8, v125
	s_mov_b32 s6, 0
	s_mov_b64 s[2:3], 33
	s_movk_i32 s7, 0xe8
	v_sub_nc_u32_e32 v126, 0, v124
.LBB92_25:                              ; =>This Inner Loop Header: Depth=1
	s_add_co_i32 m0, s2, -7
	v_movrels_b32_e32 v129, v34
	v_mov_b32_e32 v124, s7
	s_add_co_i32 m0, s2, -6
	s_add_co_i32 s7, s7, 32
	v_movrels_b32_e32 v138, v34
	s_add_co_i32 m0, s2, -5
	ds_load_2addr_b64 v[130:133], v124 offset1:1
	ds_load_2addr_b64 v[134:137], v124 offset0:2 offset1:3
	v_movrels_b32_e32 v124, v34
	s_add_co_i32 m0, s2, -4
	s_wait_dscnt 0x1
	v_fmac_f32_e32 v128, v129, v130
	v_movrels_b32_e32 v129, v34
	s_add_co_i32 m0, s2, -3
	s_delay_alu instid0(VALU_DEP_2) | instskip(NEXT) | instid1(VALU_DEP_1)
	v_fmac_f32_e32 v128, v138, v131
	v_fmac_f32_e32 v128, v124, v132
	v_movrels_b32_e32 v124, v34
	s_add_co_i32 m0, s2, -2
	s_delay_alu instid0(VALU_DEP_2) | instskip(SKIP_3) | instid1(VALU_DEP_2)
	v_fmac_f32_e32 v128, v129, v133
	v_movrels_b32_e32 v129, v34
	s_add_co_i32 m0, s2, -1
	s_wait_dscnt 0x0
	v_fmac_f32_e32 v128, v124, v134
	v_movrels_b32_e32 v124, v34
	s_mov_b32 m0, s2
	s_add_nc_u64 s[2:3], s[2:3], 8
	v_movrels_b32_e32 v130, v34
	v_dual_fmac_f32 v128, v129, v135 :: v_dual_add_nc_u32 v129, s2, v126
	s_add_co_i32 s8, s2, -7
	s_delay_alu instid0(VALU_DEP_1) | instskip(NEXT) | instid1(VALU_DEP_2)
	v_fmac_f32_e32 v128, v124, v136
	v_cmp_eq_u32_e32 vcc_lo, 33, v129
	s_delay_alu instid0(VALU_DEP_2) | instskip(SKIP_1) | instid1(SALU_CYCLE_1)
	v_dual_mov_b32 v124, s8 :: v_dual_fmac_f32 v128, v130, v137
	s_or_b32 s6, vcc_lo, s6
	s_and_not1_b32 exec_lo, exec_lo, s6
	s_cbranch_execnz .LBB92_25
; %bb.26:
	s_or_b32 exec_lo, exec_lo, s6
.LBB92_27:
	s_delay_alu instid0(SALU_CYCLE_1) | instskip(SKIP_3) | instid1(VALU_DEP_1)
	s_or_b32 exec_lo, exec_lo, s0
	v_and_b32_e32 v63, 7, v125
	s_mov_b32 s2, 0
	s_mov_b32 s0, exec_lo
	v_cmpx_ne_u32_e32 0, v63
	s_cbranch_execz .LBB92_31
; %bb.28:
	v_lshl_add_u32 v64, v124, 2, 0x80
	v_mov_b32_e32 v125, 0
.LBB92_29:                              ; =>This Inner Loop Header: Depth=1
	v_cmp_eq_u32_e32 vcc_lo, 1, v124
	ds_load_b32 v126, v64
	v_dual_add_nc_u32 v64, 4, v64 :: v_dual_add_nc_u32 v63, -1, v63
	v_cndmask_b32_e32 v65, v34, v35, vcc_lo
	v_cmp_eq_u32_e32 vcc_lo, 2, v124
	s_delay_alu instid0(VALU_DEP_2) | instskip(SKIP_1) | instid1(VALU_DEP_2)
	v_cndmask_b32_e32 v65, v65, v36, vcc_lo
	v_cmp_eq_u32_e32 vcc_lo, 3, v124
	v_cndmask_b32_e32 v65, v65, v37, vcc_lo
	v_cmp_eq_u32_e32 vcc_lo, 4, v124
	s_delay_alu instid0(VALU_DEP_2) | instskip(SKIP_1) | instid1(VALU_DEP_2)
	v_cndmask_b32_e32 v65, v65, v38, vcc_lo
	v_cmp_eq_u32_e32 vcc_lo, 5, v124
	;; [unrolled: 5-line block ×13, first 2 shown]
	v_cndmask_b32_e32 v65, v65, v61, vcc_lo
	v_cmp_eq_u32_e32 vcc_lo, 28, v124
	v_add_nc_u64_e32 v[124:125], 1, v[124:125]
	s_delay_alu instid0(VALU_DEP_3) | instskip(SKIP_2) | instid1(VALU_DEP_2)
	v_cndmask_b32_e32 v65, v65, v62, vcc_lo
	v_cmp_eq_u32_e32 vcc_lo, 0, v63
	s_wait_dscnt 0x0
	v_fmac_f32_e32 v128, v65, v126
	s_or_b32 s2, vcc_lo, s2
	s_delay_alu instid0(SALU_CYCLE_1)
	s_and_not1_b32 exec_lo, exec_lo, s2
	s_cbranch_execnz .LBB92_29
; %bb.30:
	s_or_b32 exec_lo, exec_lo, s2
.LBB92_31:
	s_delay_alu instid0(SALU_CYCLE_1)
	s_or_b32 exec_lo, exec_lo, s0
.LBB92_32:
	s_delay_alu instid0(SALU_CYCLE_1)
	s_or_b32 exec_lo, exec_lo, s5
	v_mov_b32_e32 v59, 0
	ds_load_b32 v59, v59 offset:100
	s_wait_dscnt 0x0
	v_mul_f32_e32 v59, v128, v59
.LBB92_33:
	s_or_b32 exec_lo, exec_lo, s4
	v_cmp_lt_u32_e64 s0, 24, v0
	ds_store_b32 v127, v58
	s_wait_dscnt 0x0
	s_barrier_signal -1
	s_barrier_wait -1
	s_and_saveexec_b32 s4, s0
	s_cbranch_execz .LBB92_49
; %bb.34:
	s_and_not1_b32 vcc_lo, exec_lo, s29
	s_cbranch_vccnz .LBB92_36
; %bb.35:
	v_cmp_eq_u32_e32 vcc_lo, 1, v0
	ds_load_b32 v125, v127
	v_cndmask_b32_e32 v124, v34, v35, vcc_lo
	v_cmp_eq_u32_e32 vcc_lo, 2, v0
	s_delay_alu instid0(VALU_DEP_2) | instskip(SKIP_1) | instid1(VALU_DEP_2)
	v_cndmask_b32_e32 v124, v124, v36, vcc_lo
	v_cmp_eq_u32_e32 vcc_lo, 3, v0
	v_cndmask_b32_e32 v124, v124, v37, vcc_lo
	v_cmp_eq_u32_e32 vcc_lo, 4, v0
	s_delay_alu instid0(VALU_DEP_2) | instskip(SKIP_1) | instid1(VALU_DEP_2)
	v_cndmask_b32_e32 v124, v124, v38, vcc_lo
	v_cmp_eq_u32_e32 vcc_lo, 5, v0
	;; [unrolled: 5-line block ×13, first 2 shown]
	v_cndmask_b32_e32 v124, v124, v61, vcc_lo
	v_cmp_eq_u32_e32 vcc_lo, 28, v0
	s_delay_alu instid0(VALU_DEP_2) | instskip(SKIP_1) | instid1(VALU_DEP_1)
	v_cndmask_b32_e32 v124, v124, v62, vcc_lo
	s_wait_dscnt 0x0
	v_mul_f32_e32 v128, v124, v125
	s_cbranch_execz .LBB92_37
	s_branch .LBB92_38
.LBB92_36:
                                        ; implicit-def: $vgpr128
.LBB92_37:
	ds_load_b32 v128, v127
.LBB92_38:
	s_and_saveexec_b32 s5, s1
	s_cbranch_execz .LBB92_48
; %bb.39:
	v_subrev_nc_u32_e32 v126, 26, v0
	v_mov_b32_e32 v124, 25
	v_subrev_nc_u32_e32 v125, 25, v0
	s_mov_b32 s1, exec_lo
	s_delay_alu instid0(VALU_DEP_3)
	v_cmpx_lt_u32_e32 6, v126
	s_cbranch_execz .LBB92_43
; %bb.40:
	s_delay_alu instid0(VALU_DEP_2) | instskip(SKIP_3) | instid1(VALU_DEP_1)
	v_and_b32_e32 v124, -8, v125
	s_mov_b32 s6, 0
	s_mov_b64 s[2:3], 32
	s_movk_i32 s7, 0xe4
	v_sub_nc_u32_e32 v126, 0, v124
.LBB92_41:                              ; =>This Inner Loop Header: Depth=1
	s_add_co_i32 m0, s2, -7
	v_movrels_b32_e32 v129, v34
	v_mov_b32_e32 v124, s7
	s_add_co_i32 m0, s2, -6
	s_add_co_i32 s7, s7, 32
	v_movrels_b32_e32 v138, v34
	ds_load_2addr_b32 v[130:131], v124 offset1:1
	ds_load_2addr_b32 v[132:133], v124 offset0:2 offset1:3
	s_add_co_i32 m0, s2, -5
	s_wait_dscnt 0x1
	v_fmac_f32_e32 v128, v129, v130
	ds_load_2addr_b32 v[134:135], v124 offset0:4 offset1:5
	ds_load_2addr_b32 v[136:137], v124 offset0:6 offset1:7
	v_movrels_b32_e32 v124, v34
	s_add_co_i32 m0, s2, -4
	v_fmac_f32_e32 v128, v138, v131
	v_movrels_b32_e32 v129, v34
	s_add_co_i32 m0, s2, -3
	s_wait_dscnt 0x2
	s_delay_alu instid0(VALU_DEP_2) | instskip(SKIP_2) | instid1(VALU_DEP_2)
	v_fmac_f32_e32 v128, v124, v132
	v_movrels_b32_e32 v124, v34
	s_add_co_i32 m0, s2, -2
	v_fmac_f32_e32 v128, v129, v133
	v_movrels_b32_e32 v129, v34
	s_add_co_i32 m0, s2, -1
	s_wait_dscnt 0x1
	s_delay_alu instid0(VALU_DEP_2)
	v_fmac_f32_e32 v128, v124, v134
	v_movrels_b32_e32 v124, v34
	s_mov_b32 m0, s2
	s_add_nc_u64 s[2:3], s[2:3], 8
	v_movrels_b32_e32 v130, v34
	v_dual_fmac_f32 v128, v129, v135 :: v_dual_add_nc_u32 v129, s2, v126
	s_add_co_i32 s8, s2, -7
	s_wait_dscnt 0x0
	s_delay_alu instid0(VALU_DEP_1) | instskip(NEXT) | instid1(VALU_DEP_2)
	v_fmac_f32_e32 v128, v124, v136
	v_cmp_eq_u32_e32 vcc_lo, 32, v129
	s_delay_alu instid0(VALU_DEP_2) | instskip(SKIP_1) | instid1(SALU_CYCLE_1)
	v_dual_mov_b32 v124, s8 :: v_dual_fmac_f32 v128, v130, v137
	s_or_b32 s6, vcc_lo, s6
	s_and_not1_b32 exec_lo, exec_lo, s6
	s_cbranch_execnz .LBB92_41
; %bb.42:
	s_or_b32 exec_lo, exec_lo, s6
.LBB92_43:
	s_delay_alu instid0(SALU_CYCLE_1) | instskip(SKIP_3) | instid1(VALU_DEP_1)
	s_or_b32 exec_lo, exec_lo, s1
	v_and_b32_e32 v63, 7, v125
	s_mov_b32 s2, 0
	s_mov_b32 s1, exec_lo
	v_cmpx_ne_u32_e32 0, v63
	s_cbranch_execz .LBB92_47
; %bb.44:
	v_lshl_add_u32 v64, v124, 2, 0x80
	v_mov_b32_e32 v125, 0
.LBB92_45:                              ; =>This Inner Loop Header: Depth=1
	v_cmp_eq_u32_e32 vcc_lo, 1, v124
	ds_load_b32 v126, v64
	v_dual_add_nc_u32 v64, 4, v64 :: v_dual_add_nc_u32 v63, -1, v63
	v_cndmask_b32_e32 v65, v34, v35, vcc_lo
	v_cmp_eq_u32_e32 vcc_lo, 2, v124
	s_delay_alu instid0(VALU_DEP_2) | instskip(SKIP_1) | instid1(VALU_DEP_2)
	v_cndmask_b32_e32 v65, v65, v36, vcc_lo
	v_cmp_eq_u32_e32 vcc_lo, 3, v124
	v_cndmask_b32_e32 v65, v65, v37, vcc_lo
	v_cmp_eq_u32_e32 vcc_lo, 4, v124
	s_delay_alu instid0(VALU_DEP_2) | instskip(SKIP_1) | instid1(VALU_DEP_2)
	v_cndmask_b32_e32 v65, v65, v38, vcc_lo
	v_cmp_eq_u32_e32 vcc_lo, 5, v124
	;; [unrolled: 5-line block ×13, first 2 shown]
	v_cndmask_b32_e32 v65, v65, v61, vcc_lo
	v_cmp_eq_u32_e32 vcc_lo, 28, v124
	v_add_nc_u64_e32 v[124:125], 1, v[124:125]
	s_delay_alu instid0(VALU_DEP_3) | instskip(SKIP_2) | instid1(VALU_DEP_2)
	v_cndmask_b32_e32 v65, v65, v62, vcc_lo
	v_cmp_eq_u32_e32 vcc_lo, 0, v63
	s_wait_dscnt 0x0
	v_fmac_f32_e32 v128, v65, v126
	s_or_b32 s2, vcc_lo, s2
	s_delay_alu instid0(SALU_CYCLE_1)
	s_and_not1_b32 exec_lo, exec_lo, s2
	s_cbranch_execnz .LBB92_45
; %bb.46:
	s_or_b32 exec_lo, exec_lo, s2
.LBB92_47:
	s_delay_alu instid0(SALU_CYCLE_1)
	s_or_b32 exec_lo, exec_lo, s1
.LBB92_48:
	s_delay_alu instid0(SALU_CYCLE_1)
	s_or_b32 exec_lo, exec_lo, s5
	v_mov_b32_e32 v58, 0
	ds_load_b32 v58, v58 offset:96
	s_wait_dscnt 0x0
	v_mul_f32_e32 v58, v128, v58
.LBB92_49:
	s_or_b32 exec_lo, exec_lo, s4
	v_cmp_lt_u32_e64 s1, 23, v0
	ds_store_b32 v127, v57
	s_wait_dscnt 0x0
	s_barrier_signal -1
	s_barrier_wait -1
	s_and_saveexec_b32 s4, s1
	s_cbranch_execz .LBB92_65
; %bb.50:
	s_and_not1_b32 vcc_lo, exec_lo, s29
	s_cbranch_vccnz .LBB92_52
; %bb.51:
	v_cmp_eq_u32_e32 vcc_lo, 1, v0
	ds_load_b32 v125, v127
	v_cndmask_b32_e32 v124, v34, v35, vcc_lo
	v_cmp_eq_u32_e32 vcc_lo, 2, v0
	s_delay_alu instid0(VALU_DEP_2) | instskip(SKIP_1) | instid1(VALU_DEP_2)
	v_cndmask_b32_e32 v124, v124, v36, vcc_lo
	v_cmp_eq_u32_e32 vcc_lo, 3, v0
	v_cndmask_b32_e32 v124, v124, v37, vcc_lo
	v_cmp_eq_u32_e32 vcc_lo, 4, v0
	s_delay_alu instid0(VALU_DEP_2) | instskip(SKIP_1) | instid1(VALU_DEP_2)
	v_cndmask_b32_e32 v124, v124, v38, vcc_lo
	v_cmp_eq_u32_e32 vcc_lo, 5, v0
	v_cndmask_b32_e32 v124, v124, v39, vcc_lo
	v_cmp_eq_u32_e32 vcc_lo, 6, v0
	s_delay_alu instid0(VALU_DEP_2) | instskip(SKIP_1) | instid1(VALU_DEP_2)
	v_cndmask_b32_e32 v124, v124, v40, vcc_lo
	v_cmp_eq_u32_e32 vcc_lo, 7, v0
	v_cndmask_b32_e32 v124, v124, v41, vcc_lo
	v_cmp_eq_u32_e32 vcc_lo, 8, v0
	s_delay_alu instid0(VALU_DEP_2) | instskip(SKIP_1) | instid1(VALU_DEP_2)
	v_cndmask_b32_e32 v124, v124, v42, vcc_lo
	v_cmp_eq_u32_e32 vcc_lo, 9, v0
	v_cndmask_b32_e32 v124, v124, v43, vcc_lo
	v_cmp_eq_u32_e32 vcc_lo, 10, v0
	s_delay_alu instid0(VALU_DEP_2) | instskip(SKIP_1) | instid1(VALU_DEP_2)
	v_cndmask_b32_e32 v124, v124, v44, vcc_lo
	v_cmp_eq_u32_e32 vcc_lo, 11, v0
	v_cndmask_b32_e32 v124, v124, v45, vcc_lo
	v_cmp_eq_u32_e32 vcc_lo, 12, v0
	s_delay_alu instid0(VALU_DEP_2) | instskip(SKIP_1) | instid1(VALU_DEP_2)
	v_cndmask_b32_e32 v124, v124, v46, vcc_lo
	v_cmp_eq_u32_e32 vcc_lo, 13, v0
	v_cndmask_b32_e32 v124, v124, v47, vcc_lo
	v_cmp_eq_u32_e32 vcc_lo, 14, v0
	s_delay_alu instid0(VALU_DEP_2) | instskip(SKIP_1) | instid1(VALU_DEP_2)
	v_cndmask_b32_e32 v124, v124, v48, vcc_lo
	v_cmp_eq_u32_e32 vcc_lo, 15, v0
	v_cndmask_b32_e32 v124, v124, v49, vcc_lo
	v_cmp_eq_u32_e32 vcc_lo, 16, v0
	s_delay_alu instid0(VALU_DEP_2) | instskip(SKIP_1) | instid1(VALU_DEP_2)
	v_cndmask_b32_e32 v124, v124, v50, vcc_lo
	v_cmp_eq_u32_e32 vcc_lo, 17, v0
	v_cndmask_b32_e32 v124, v124, v51, vcc_lo
	v_cmp_eq_u32_e32 vcc_lo, 18, v0
	s_delay_alu instid0(VALU_DEP_2) | instskip(SKIP_1) | instid1(VALU_DEP_2)
	v_cndmask_b32_e32 v124, v124, v52, vcc_lo
	v_cmp_eq_u32_e32 vcc_lo, 19, v0
	v_cndmask_b32_e32 v124, v124, v53, vcc_lo
	v_cmp_eq_u32_e32 vcc_lo, 20, v0
	s_delay_alu instid0(VALU_DEP_2) | instskip(SKIP_1) | instid1(VALU_DEP_2)
	v_cndmask_b32_e32 v124, v124, v54, vcc_lo
	v_cmp_eq_u32_e32 vcc_lo, 21, v0
	v_cndmask_b32_e32 v124, v124, v55, vcc_lo
	v_cmp_eq_u32_e32 vcc_lo, 22, v0
	s_delay_alu instid0(VALU_DEP_2) | instskip(SKIP_1) | instid1(VALU_DEP_2)
	v_cndmask_b32_e32 v124, v124, v56, vcc_lo
	v_cmp_eq_u32_e32 vcc_lo, 23, v0
	v_cndmask_b32_e32 v124, v124, v57, vcc_lo
	v_cmp_eq_u32_e32 vcc_lo, 24, v0
	s_delay_alu instid0(VALU_DEP_2) | instskip(SKIP_1) | instid1(VALU_DEP_2)
	v_cndmask_b32_e32 v124, v124, v58, vcc_lo
	v_cmp_eq_u32_e32 vcc_lo, 25, v0
	v_cndmask_b32_e32 v124, v124, v59, vcc_lo
	v_cmp_eq_u32_e32 vcc_lo, 26, v0
	s_delay_alu instid0(VALU_DEP_2) | instskip(SKIP_1) | instid1(VALU_DEP_2)
	v_cndmask_b32_e32 v124, v124, v60, vcc_lo
	v_cmp_eq_u32_e32 vcc_lo, 27, v0
	v_cndmask_b32_e32 v124, v124, v61, vcc_lo
	v_cmp_eq_u32_e32 vcc_lo, 28, v0
	s_delay_alu instid0(VALU_DEP_2) | instskip(SKIP_1) | instid1(VALU_DEP_1)
	v_cndmask_b32_e32 v124, v124, v62, vcc_lo
	s_wait_dscnt 0x0
	v_mul_f32_e32 v128, v124, v125
	s_cbranch_execz .LBB92_53
	s_branch .LBB92_54
.LBB92_52:
                                        ; implicit-def: $vgpr128
.LBB92_53:
	ds_load_b32 v128, v127
.LBB92_54:
	s_and_saveexec_b32 s5, s0
	s_cbranch_execz .LBB92_64
; %bb.55:
	v_subrev_nc_u32_e32 v124, 25, v0
	s_delay_alu instid0(VALU_DEP_1)
	v_cmp_lt_u32_e32 vcc_lo, 6, v124
	v_mov_b32_e32 v124, 24
	s_and_saveexec_b32 s0, vcc_lo
	s_cbranch_execz .LBB92_59
; %bb.56:
	v_and_b32_e32 v124, 24, v0
	s_mov_b32 s6, 0
	s_mov_b64 s[2:3], 31
	s_movk_i32 s7, 0xe0
	s_delay_alu instid0(VALU_DEP_1)
	v_sub_nc_u32_e32 v126, 0, v124
.LBB92_57:                              ; =>This Inner Loop Header: Depth=1
	s_add_co_i32 m0, s2, -7
	v_movrels_b32_e32 v125, v34
	v_mov_b32_e32 v124, s7
	s_add_co_i32 m0, s2, -6
	s_add_co_i32 s7, s7, 32
	v_movrels_b32_e32 v129, v34
	s_add_co_i32 m0, s2, -5
	ds_load_b128 v[130:133], v124
	ds_load_b128 v[134:137], v124 offset:16
	v_movrels_b32_e32 v124, v34
	s_add_co_i32 m0, s2, -4
	s_wait_dscnt 0x1
	v_fmac_f32_e32 v128, v125, v130
	v_movrels_b32_e32 v125, v34
	s_add_co_i32 m0, s2, -3
	s_delay_alu instid0(VALU_DEP_2) | instskip(NEXT) | instid1(VALU_DEP_1)
	v_fmac_f32_e32 v128, v129, v131
	v_fmac_f32_e32 v128, v124, v132
	v_movrels_b32_e32 v124, v34
	s_add_co_i32 m0, s2, -2
	s_delay_alu instid0(VALU_DEP_2) | instskip(SKIP_3) | instid1(VALU_DEP_2)
	v_fmac_f32_e32 v128, v125, v133
	v_movrels_b32_e32 v125, v34
	s_add_co_i32 m0, s2, -1
	s_wait_dscnt 0x0
	v_fmac_f32_e32 v128, v124, v134
	v_movrels_b32_e32 v124, v34
	s_mov_b32 m0, s2
	s_add_nc_u64 s[2:3], s[2:3], 8
	v_movrels_b32_e32 v129, v34
	v_dual_fmac_f32 v128, v125, v135 :: v_dual_add_nc_u32 v125, s2, v126
	s_add_co_i32 s8, s2, -7
	s_delay_alu instid0(VALU_DEP_1) | instskip(NEXT) | instid1(VALU_DEP_2)
	v_fmac_f32_e32 v128, v124, v136
	v_cmp_eq_u32_e32 vcc_lo, 7, v125
	s_delay_alu instid0(VALU_DEP_2) | instskip(SKIP_1) | instid1(SALU_CYCLE_1)
	v_dual_mov_b32 v124, s8 :: v_dual_fmac_f32 v128, v129, v137
	s_or_b32 s6, vcc_lo, s6
	s_and_not1_b32 exec_lo, exec_lo, s6
	s_cbranch_execnz .LBB92_57
; %bb.58:
	s_or_b32 exec_lo, exec_lo, s6
.LBB92_59:
	s_delay_alu instid0(SALU_CYCLE_1) | instskip(SKIP_3) | instid1(VALU_DEP_1)
	s_or_b32 exec_lo, exec_lo, s0
	v_and_b32_e32 v63, 7, v0
	s_mov_b32 s2, 0
	s_mov_b32 s0, exec_lo
	v_cmpx_ne_u32_e32 0, v63
	s_cbranch_execz .LBB92_63
; %bb.60:
	v_lshl_add_u32 v64, v124, 2, 0x80
	v_mov_b32_e32 v125, 0
.LBB92_61:                              ; =>This Inner Loop Header: Depth=1
	v_cmp_eq_u32_e32 vcc_lo, 1, v124
	ds_load_b32 v126, v64
	v_dual_add_nc_u32 v64, 4, v64 :: v_dual_add_nc_u32 v63, -1, v63
	v_cndmask_b32_e32 v65, v34, v35, vcc_lo
	v_cmp_eq_u32_e32 vcc_lo, 2, v124
	s_delay_alu instid0(VALU_DEP_2) | instskip(SKIP_1) | instid1(VALU_DEP_2)
	v_cndmask_b32_e32 v65, v65, v36, vcc_lo
	v_cmp_eq_u32_e32 vcc_lo, 3, v124
	v_cndmask_b32_e32 v65, v65, v37, vcc_lo
	v_cmp_eq_u32_e32 vcc_lo, 4, v124
	s_delay_alu instid0(VALU_DEP_2) | instskip(SKIP_1) | instid1(VALU_DEP_2)
	v_cndmask_b32_e32 v65, v65, v38, vcc_lo
	v_cmp_eq_u32_e32 vcc_lo, 5, v124
	;; [unrolled: 5-line block ×13, first 2 shown]
	v_cndmask_b32_e32 v65, v65, v61, vcc_lo
	v_cmp_eq_u32_e32 vcc_lo, 28, v124
	v_add_nc_u64_e32 v[124:125], 1, v[124:125]
	s_delay_alu instid0(VALU_DEP_3) | instskip(SKIP_2) | instid1(VALU_DEP_2)
	v_cndmask_b32_e32 v65, v65, v62, vcc_lo
	v_cmp_eq_u32_e32 vcc_lo, 0, v63
	s_wait_dscnt 0x0
	v_fmac_f32_e32 v128, v65, v126
	s_or_b32 s2, vcc_lo, s2
	s_delay_alu instid0(SALU_CYCLE_1)
	s_and_not1_b32 exec_lo, exec_lo, s2
	s_cbranch_execnz .LBB92_61
; %bb.62:
	s_or_b32 exec_lo, exec_lo, s2
.LBB92_63:
	s_delay_alu instid0(SALU_CYCLE_1)
	s_or_b32 exec_lo, exec_lo, s0
.LBB92_64:
	s_delay_alu instid0(SALU_CYCLE_1)
	s_or_b32 exec_lo, exec_lo, s5
	v_mov_b32_e32 v57, 0
	ds_load_b32 v57, v57 offset:92
	s_wait_dscnt 0x0
	v_mul_f32_e32 v57, v128, v57
.LBB92_65:
	s_or_b32 exec_lo, exec_lo, s4
	v_cmp_lt_u32_e64 s0, 22, v0
	ds_store_b32 v127, v56
	s_wait_dscnt 0x0
	s_barrier_signal -1
	s_barrier_wait -1
	s_and_saveexec_b32 s4, s0
	s_cbranch_execz .LBB92_81
; %bb.66:
	s_and_not1_b32 vcc_lo, exec_lo, s29
	s_cbranch_vccnz .LBB92_68
; %bb.67:
	v_cmp_eq_u32_e32 vcc_lo, 1, v0
	ds_load_b32 v125, v127
	v_cndmask_b32_e32 v124, v34, v35, vcc_lo
	v_cmp_eq_u32_e32 vcc_lo, 2, v0
	s_delay_alu instid0(VALU_DEP_2) | instskip(SKIP_1) | instid1(VALU_DEP_2)
	v_cndmask_b32_e32 v124, v124, v36, vcc_lo
	v_cmp_eq_u32_e32 vcc_lo, 3, v0
	v_cndmask_b32_e32 v124, v124, v37, vcc_lo
	v_cmp_eq_u32_e32 vcc_lo, 4, v0
	s_delay_alu instid0(VALU_DEP_2) | instskip(SKIP_1) | instid1(VALU_DEP_2)
	v_cndmask_b32_e32 v124, v124, v38, vcc_lo
	v_cmp_eq_u32_e32 vcc_lo, 5, v0
	;; [unrolled: 5-line block ×13, first 2 shown]
	v_cndmask_b32_e32 v124, v124, v61, vcc_lo
	v_cmp_eq_u32_e32 vcc_lo, 28, v0
	s_delay_alu instid0(VALU_DEP_2) | instskip(SKIP_1) | instid1(VALU_DEP_1)
	v_cndmask_b32_e32 v124, v124, v62, vcc_lo
	s_wait_dscnt 0x0
	v_mul_f32_e32 v128, v124, v125
	s_cbranch_execz .LBB92_69
	s_branch .LBB92_70
.LBB92_68:
                                        ; implicit-def: $vgpr128
.LBB92_69:
	ds_load_b32 v128, v127
.LBB92_70:
	s_and_saveexec_b32 s5, s1
	s_cbranch_execz .LBB92_80
; %bb.71:
	v_subrev_nc_u32_e32 v126, 24, v0
	v_mov_b32_e32 v124, 23
	v_subrev_nc_u32_e32 v125, 23, v0
	s_mov_b32 s1, exec_lo
	s_delay_alu instid0(VALU_DEP_3)
	v_cmpx_lt_u32_e32 6, v126
	s_cbranch_execz .LBB92_75
; %bb.72:
	s_delay_alu instid0(VALU_DEP_2) | instskip(SKIP_3) | instid1(VALU_DEP_1)
	v_and_b32_e32 v124, -8, v125
	s_mov_b32 s6, 0
	s_mov_b64 s[2:3], 30
	s_movk_i32 s7, 0xdc
	v_sub_nc_u32_e32 v126, 0, v124
.LBB92_73:                              ; =>This Inner Loop Header: Depth=1
	s_add_co_i32 m0, s2, -7
	v_movrels_b32_e32 v129, v34
	v_mov_b32_e32 v124, s7
	s_add_co_i32 m0, s2, -6
	s_add_co_i32 s7, s7, 32
	v_movrels_b32_e32 v138, v34
	ds_load_2addr_b32 v[130:131], v124 offset1:1
	ds_load_2addr_b32 v[132:133], v124 offset0:2 offset1:3
	s_add_co_i32 m0, s2, -5
	s_wait_dscnt 0x1
	v_fmac_f32_e32 v128, v129, v130
	ds_load_2addr_b32 v[134:135], v124 offset0:4 offset1:5
	ds_load_2addr_b32 v[136:137], v124 offset0:6 offset1:7
	v_movrels_b32_e32 v124, v34
	s_add_co_i32 m0, s2, -4
	v_fmac_f32_e32 v128, v138, v131
	v_movrels_b32_e32 v129, v34
	s_add_co_i32 m0, s2, -3
	s_wait_dscnt 0x2
	s_delay_alu instid0(VALU_DEP_2) | instskip(SKIP_2) | instid1(VALU_DEP_2)
	v_fmac_f32_e32 v128, v124, v132
	v_movrels_b32_e32 v124, v34
	s_add_co_i32 m0, s2, -2
	v_fmac_f32_e32 v128, v129, v133
	v_movrels_b32_e32 v129, v34
	s_add_co_i32 m0, s2, -1
	s_wait_dscnt 0x1
	s_delay_alu instid0(VALU_DEP_2)
	v_fmac_f32_e32 v128, v124, v134
	v_movrels_b32_e32 v124, v34
	s_mov_b32 m0, s2
	s_add_nc_u64 s[2:3], s[2:3], 8
	v_movrels_b32_e32 v130, v34
	v_dual_fmac_f32 v128, v129, v135 :: v_dual_add_nc_u32 v129, s2, v126
	s_add_co_i32 s8, s2, -7
	s_wait_dscnt 0x0
	s_delay_alu instid0(VALU_DEP_1) | instskip(NEXT) | instid1(VALU_DEP_2)
	v_fmac_f32_e32 v128, v124, v136
	v_cmp_eq_u32_e32 vcc_lo, 30, v129
	s_delay_alu instid0(VALU_DEP_2) | instskip(SKIP_1) | instid1(SALU_CYCLE_1)
	v_dual_mov_b32 v124, s8 :: v_dual_fmac_f32 v128, v130, v137
	s_or_b32 s6, vcc_lo, s6
	s_and_not1_b32 exec_lo, exec_lo, s6
	s_cbranch_execnz .LBB92_73
; %bb.74:
	s_or_b32 exec_lo, exec_lo, s6
.LBB92_75:
	s_delay_alu instid0(SALU_CYCLE_1) | instskip(SKIP_3) | instid1(VALU_DEP_1)
	s_or_b32 exec_lo, exec_lo, s1
	v_and_b32_e32 v63, 7, v125
	s_mov_b32 s2, 0
	s_mov_b32 s1, exec_lo
	v_cmpx_ne_u32_e32 0, v63
	s_cbranch_execz .LBB92_79
; %bb.76:
	v_lshl_add_u32 v64, v124, 2, 0x80
	v_mov_b32_e32 v125, 0
.LBB92_77:                              ; =>This Inner Loop Header: Depth=1
	v_cmp_eq_u32_e32 vcc_lo, 1, v124
	ds_load_b32 v126, v64
	v_dual_add_nc_u32 v64, 4, v64 :: v_dual_add_nc_u32 v63, -1, v63
	v_cndmask_b32_e32 v65, v34, v35, vcc_lo
	v_cmp_eq_u32_e32 vcc_lo, 2, v124
	s_delay_alu instid0(VALU_DEP_2) | instskip(SKIP_1) | instid1(VALU_DEP_2)
	v_cndmask_b32_e32 v65, v65, v36, vcc_lo
	v_cmp_eq_u32_e32 vcc_lo, 3, v124
	v_cndmask_b32_e32 v65, v65, v37, vcc_lo
	v_cmp_eq_u32_e32 vcc_lo, 4, v124
	s_delay_alu instid0(VALU_DEP_2) | instskip(SKIP_1) | instid1(VALU_DEP_2)
	v_cndmask_b32_e32 v65, v65, v38, vcc_lo
	v_cmp_eq_u32_e32 vcc_lo, 5, v124
	;; [unrolled: 5-line block ×13, first 2 shown]
	v_cndmask_b32_e32 v65, v65, v61, vcc_lo
	v_cmp_eq_u32_e32 vcc_lo, 28, v124
	v_add_nc_u64_e32 v[124:125], 1, v[124:125]
	s_delay_alu instid0(VALU_DEP_3) | instskip(SKIP_2) | instid1(VALU_DEP_2)
	v_cndmask_b32_e32 v65, v65, v62, vcc_lo
	v_cmp_eq_u32_e32 vcc_lo, 0, v63
	s_wait_dscnt 0x0
	v_fmac_f32_e32 v128, v65, v126
	s_or_b32 s2, vcc_lo, s2
	s_delay_alu instid0(SALU_CYCLE_1)
	s_and_not1_b32 exec_lo, exec_lo, s2
	s_cbranch_execnz .LBB92_77
; %bb.78:
	s_or_b32 exec_lo, exec_lo, s2
.LBB92_79:
	s_delay_alu instid0(SALU_CYCLE_1)
	s_or_b32 exec_lo, exec_lo, s1
.LBB92_80:
	s_delay_alu instid0(SALU_CYCLE_1)
	s_or_b32 exec_lo, exec_lo, s5
	v_mov_b32_e32 v56, 0
	ds_load_b32 v56, v56 offset:88
	s_wait_dscnt 0x0
	v_mul_f32_e32 v56, v128, v56
.LBB92_81:
	s_or_b32 exec_lo, exec_lo, s4
	v_cmp_lt_u32_e64 s1, 21, v0
	ds_store_b32 v127, v55
	s_wait_dscnt 0x0
	s_barrier_signal -1
	s_barrier_wait -1
	s_and_saveexec_b32 s4, s1
	s_cbranch_execz .LBB92_97
; %bb.82:
	s_and_not1_b32 vcc_lo, exec_lo, s29
	s_cbranch_vccnz .LBB92_84
; %bb.83:
	v_cmp_eq_u32_e32 vcc_lo, 1, v0
	ds_load_b32 v125, v127
	v_cndmask_b32_e32 v124, v34, v35, vcc_lo
	v_cmp_eq_u32_e32 vcc_lo, 2, v0
	s_delay_alu instid0(VALU_DEP_2) | instskip(SKIP_1) | instid1(VALU_DEP_2)
	v_cndmask_b32_e32 v124, v124, v36, vcc_lo
	v_cmp_eq_u32_e32 vcc_lo, 3, v0
	v_cndmask_b32_e32 v124, v124, v37, vcc_lo
	v_cmp_eq_u32_e32 vcc_lo, 4, v0
	s_delay_alu instid0(VALU_DEP_2) | instskip(SKIP_1) | instid1(VALU_DEP_2)
	v_cndmask_b32_e32 v124, v124, v38, vcc_lo
	v_cmp_eq_u32_e32 vcc_lo, 5, v0
	;; [unrolled: 5-line block ×13, first 2 shown]
	v_cndmask_b32_e32 v124, v124, v61, vcc_lo
	v_cmp_eq_u32_e32 vcc_lo, 28, v0
	s_delay_alu instid0(VALU_DEP_2) | instskip(SKIP_1) | instid1(VALU_DEP_1)
	v_cndmask_b32_e32 v124, v124, v62, vcc_lo
	s_wait_dscnt 0x0
	v_mul_f32_e32 v128, v124, v125
	s_cbranch_execz .LBB92_85
	s_branch .LBB92_86
.LBB92_84:
                                        ; implicit-def: $vgpr128
.LBB92_85:
	ds_load_b32 v128, v127
.LBB92_86:
	s_and_saveexec_b32 s5, s0
	s_cbranch_execz .LBB92_96
; %bb.87:
	v_subrev_nc_u32_e32 v126, 23, v0
	v_mov_b32_e32 v124, 22
	v_subrev_nc_u32_e32 v125, 22, v0
	s_mov_b32 s0, exec_lo
	s_delay_alu instid0(VALU_DEP_3)
	v_cmpx_lt_u32_e32 6, v126
	s_cbranch_execz .LBB92_91
; %bb.88:
	s_delay_alu instid0(VALU_DEP_2) | instskip(SKIP_3) | instid1(VALU_DEP_1)
	v_and_b32_e32 v124, -8, v125
	s_mov_b32 s6, 0
	s_mov_b64 s[2:3], 29
	s_movk_i32 s7, 0xd8
	v_sub_nc_u32_e32 v126, 0, v124
.LBB92_89:                              ; =>This Inner Loop Header: Depth=1
	s_add_co_i32 m0, s2, -7
	v_movrels_b32_e32 v129, v34
	v_mov_b32_e32 v124, s7
	s_add_co_i32 m0, s2, -6
	s_add_co_i32 s7, s7, 32
	v_movrels_b32_e32 v138, v34
	s_add_co_i32 m0, s2, -5
	ds_load_2addr_b64 v[130:133], v124 offset1:1
	ds_load_2addr_b64 v[134:137], v124 offset0:2 offset1:3
	v_movrels_b32_e32 v124, v34
	s_add_co_i32 m0, s2, -4
	s_wait_dscnt 0x1
	v_fmac_f32_e32 v128, v129, v130
	v_movrels_b32_e32 v129, v34
	s_add_co_i32 m0, s2, -3
	s_delay_alu instid0(VALU_DEP_2) | instskip(NEXT) | instid1(VALU_DEP_1)
	v_fmac_f32_e32 v128, v138, v131
	v_fmac_f32_e32 v128, v124, v132
	v_movrels_b32_e32 v124, v34
	s_add_co_i32 m0, s2, -2
	s_delay_alu instid0(VALU_DEP_2) | instskip(SKIP_3) | instid1(VALU_DEP_2)
	v_fmac_f32_e32 v128, v129, v133
	v_movrels_b32_e32 v129, v34
	s_add_co_i32 m0, s2, -1
	s_wait_dscnt 0x0
	v_fmac_f32_e32 v128, v124, v134
	v_movrels_b32_e32 v124, v34
	s_mov_b32 m0, s2
	s_add_nc_u64 s[2:3], s[2:3], 8
	v_movrels_b32_e32 v130, v34
	v_dual_fmac_f32 v128, v129, v135 :: v_dual_add_nc_u32 v129, s2, v126
	s_add_co_i32 s8, s2, -7
	s_delay_alu instid0(VALU_DEP_1) | instskip(NEXT) | instid1(VALU_DEP_2)
	v_fmac_f32_e32 v128, v124, v136
	v_cmp_eq_u32_e32 vcc_lo, 29, v129
	s_delay_alu instid0(VALU_DEP_2) | instskip(SKIP_1) | instid1(SALU_CYCLE_1)
	v_dual_mov_b32 v124, s8 :: v_dual_fmac_f32 v128, v130, v137
	s_or_b32 s6, vcc_lo, s6
	s_and_not1_b32 exec_lo, exec_lo, s6
	s_cbranch_execnz .LBB92_89
; %bb.90:
	s_or_b32 exec_lo, exec_lo, s6
.LBB92_91:
	s_delay_alu instid0(SALU_CYCLE_1) | instskip(SKIP_3) | instid1(VALU_DEP_1)
	s_or_b32 exec_lo, exec_lo, s0
	v_and_b32_e32 v63, 7, v125
	s_mov_b32 s2, 0
	s_mov_b32 s0, exec_lo
	v_cmpx_ne_u32_e32 0, v63
	s_cbranch_execz .LBB92_95
; %bb.92:
	v_lshl_add_u32 v64, v124, 2, 0x80
	v_mov_b32_e32 v125, 0
.LBB92_93:                              ; =>This Inner Loop Header: Depth=1
	v_cmp_eq_u32_e32 vcc_lo, 1, v124
	ds_load_b32 v126, v64
	v_dual_add_nc_u32 v64, 4, v64 :: v_dual_add_nc_u32 v63, -1, v63
	v_cndmask_b32_e32 v65, v34, v35, vcc_lo
	v_cmp_eq_u32_e32 vcc_lo, 2, v124
	s_delay_alu instid0(VALU_DEP_2) | instskip(SKIP_1) | instid1(VALU_DEP_2)
	v_cndmask_b32_e32 v65, v65, v36, vcc_lo
	v_cmp_eq_u32_e32 vcc_lo, 3, v124
	v_cndmask_b32_e32 v65, v65, v37, vcc_lo
	v_cmp_eq_u32_e32 vcc_lo, 4, v124
	s_delay_alu instid0(VALU_DEP_2) | instskip(SKIP_1) | instid1(VALU_DEP_2)
	v_cndmask_b32_e32 v65, v65, v38, vcc_lo
	v_cmp_eq_u32_e32 vcc_lo, 5, v124
	;; [unrolled: 5-line block ×13, first 2 shown]
	v_cndmask_b32_e32 v65, v65, v61, vcc_lo
	v_cmp_eq_u32_e32 vcc_lo, 28, v124
	v_add_nc_u64_e32 v[124:125], 1, v[124:125]
	s_delay_alu instid0(VALU_DEP_3) | instskip(SKIP_2) | instid1(VALU_DEP_2)
	v_cndmask_b32_e32 v65, v65, v62, vcc_lo
	v_cmp_eq_u32_e32 vcc_lo, 0, v63
	s_wait_dscnt 0x0
	v_fmac_f32_e32 v128, v65, v126
	s_or_b32 s2, vcc_lo, s2
	s_delay_alu instid0(SALU_CYCLE_1)
	s_and_not1_b32 exec_lo, exec_lo, s2
	s_cbranch_execnz .LBB92_93
; %bb.94:
	s_or_b32 exec_lo, exec_lo, s2
.LBB92_95:
	s_delay_alu instid0(SALU_CYCLE_1)
	s_or_b32 exec_lo, exec_lo, s0
.LBB92_96:
	s_delay_alu instid0(SALU_CYCLE_1)
	s_or_b32 exec_lo, exec_lo, s5
	v_mov_b32_e32 v55, 0
	ds_load_b32 v55, v55 offset:84
	s_wait_dscnt 0x0
	v_mul_f32_e32 v55, v128, v55
.LBB92_97:
	s_or_b32 exec_lo, exec_lo, s4
	v_cmp_lt_u32_e64 s0, 20, v0
	ds_store_b32 v127, v54
	s_wait_dscnt 0x0
	s_barrier_signal -1
	s_barrier_wait -1
	s_and_saveexec_b32 s4, s0
	s_cbranch_execz .LBB92_113
; %bb.98:
	s_and_not1_b32 vcc_lo, exec_lo, s29
	s_cbranch_vccnz .LBB92_100
; %bb.99:
	v_cmp_eq_u32_e32 vcc_lo, 1, v0
	ds_load_b32 v125, v127
	v_cndmask_b32_e32 v124, v34, v35, vcc_lo
	v_cmp_eq_u32_e32 vcc_lo, 2, v0
	s_delay_alu instid0(VALU_DEP_2) | instskip(SKIP_1) | instid1(VALU_DEP_2)
	v_cndmask_b32_e32 v124, v124, v36, vcc_lo
	v_cmp_eq_u32_e32 vcc_lo, 3, v0
	v_cndmask_b32_e32 v124, v124, v37, vcc_lo
	v_cmp_eq_u32_e32 vcc_lo, 4, v0
	s_delay_alu instid0(VALU_DEP_2) | instskip(SKIP_1) | instid1(VALU_DEP_2)
	v_cndmask_b32_e32 v124, v124, v38, vcc_lo
	v_cmp_eq_u32_e32 vcc_lo, 5, v0
	;; [unrolled: 5-line block ×13, first 2 shown]
	v_cndmask_b32_e32 v124, v124, v61, vcc_lo
	v_cmp_eq_u32_e32 vcc_lo, 28, v0
	s_delay_alu instid0(VALU_DEP_2) | instskip(SKIP_1) | instid1(VALU_DEP_1)
	v_cndmask_b32_e32 v124, v124, v62, vcc_lo
	s_wait_dscnt 0x0
	v_mul_f32_e32 v128, v124, v125
	s_cbranch_execz .LBB92_101
	s_branch .LBB92_102
.LBB92_100:
                                        ; implicit-def: $vgpr128
.LBB92_101:
	ds_load_b32 v128, v127
.LBB92_102:
	s_and_saveexec_b32 s5, s1
	s_cbranch_execz .LBB92_112
; %bb.103:
	v_subrev_nc_u32_e32 v126, 22, v0
	v_mov_b32_e32 v124, 21
	v_subrev_nc_u32_e32 v125, 21, v0
	s_mov_b32 s1, exec_lo
	s_delay_alu instid0(VALU_DEP_3)
	v_cmpx_lt_u32_e32 6, v126
	s_cbranch_execz .LBB92_107
; %bb.104:
	s_delay_alu instid0(VALU_DEP_2) | instskip(SKIP_3) | instid1(VALU_DEP_1)
	v_and_b32_e32 v124, -8, v125
	s_mov_b32 s6, 0
	s_mov_b64 s[2:3], 28
	s_movk_i32 s7, 0xd4
	v_sub_nc_u32_e32 v126, 0, v124
.LBB92_105:                             ; =>This Inner Loop Header: Depth=1
	s_add_co_i32 m0, s2, -7
	v_movrels_b32_e32 v129, v34
	v_mov_b32_e32 v124, s7
	s_add_co_i32 m0, s2, -6
	s_add_co_i32 s7, s7, 32
	v_movrels_b32_e32 v138, v34
	ds_load_2addr_b32 v[130:131], v124 offset1:1
	ds_load_2addr_b32 v[132:133], v124 offset0:2 offset1:3
	s_add_co_i32 m0, s2, -5
	s_wait_dscnt 0x1
	v_fmac_f32_e32 v128, v129, v130
	ds_load_2addr_b32 v[134:135], v124 offset0:4 offset1:5
	ds_load_2addr_b32 v[136:137], v124 offset0:6 offset1:7
	v_movrels_b32_e32 v124, v34
	s_add_co_i32 m0, s2, -4
	v_fmac_f32_e32 v128, v138, v131
	v_movrels_b32_e32 v129, v34
	s_add_co_i32 m0, s2, -3
	s_wait_dscnt 0x2
	s_delay_alu instid0(VALU_DEP_2) | instskip(SKIP_2) | instid1(VALU_DEP_2)
	v_fmac_f32_e32 v128, v124, v132
	v_movrels_b32_e32 v124, v34
	s_add_co_i32 m0, s2, -2
	v_fmac_f32_e32 v128, v129, v133
	v_movrels_b32_e32 v129, v34
	s_add_co_i32 m0, s2, -1
	s_wait_dscnt 0x1
	s_delay_alu instid0(VALU_DEP_2)
	v_fmac_f32_e32 v128, v124, v134
	v_movrels_b32_e32 v124, v34
	s_mov_b32 m0, s2
	s_add_nc_u64 s[2:3], s[2:3], 8
	v_movrels_b32_e32 v130, v34
	v_dual_fmac_f32 v128, v129, v135 :: v_dual_add_nc_u32 v129, s2, v126
	s_add_co_i32 s8, s2, -7
	s_wait_dscnt 0x0
	s_delay_alu instid0(VALU_DEP_1) | instskip(NEXT) | instid1(VALU_DEP_2)
	v_fmac_f32_e32 v128, v124, v136
	v_cmp_eq_u32_e32 vcc_lo, 28, v129
	s_delay_alu instid0(VALU_DEP_2) | instskip(SKIP_1) | instid1(SALU_CYCLE_1)
	v_dual_mov_b32 v124, s8 :: v_dual_fmac_f32 v128, v130, v137
	s_or_b32 s6, vcc_lo, s6
	s_and_not1_b32 exec_lo, exec_lo, s6
	s_cbranch_execnz .LBB92_105
; %bb.106:
	s_or_b32 exec_lo, exec_lo, s6
.LBB92_107:
	s_delay_alu instid0(SALU_CYCLE_1) | instskip(SKIP_3) | instid1(VALU_DEP_1)
	s_or_b32 exec_lo, exec_lo, s1
	v_and_b32_e32 v63, 7, v125
	s_mov_b32 s2, 0
	s_mov_b32 s1, exec_lo
	v_cmpx_ne_u32_e32 0, v63
	s_cbranch_execz .LBB92_111
; %bb.108:
	v_lshl_add_u32 v64, v124, 2, 0x80
	v_mov_b32_e32 v125, 0
.LBB92_109:                             ; =>This Inner Loop Header: Depth=1
	v_cmp_eq_u32_e32 vcc_lo, 1, v124
	ds_load_b32 v126, v64
	v_dual_add_nc_u32 v64, 4, v64 :: v_dual_add_nc_u32 v63, -1, v63
	v_cndmask_b32_e32 v65, v34, v35, vcc_lo
	v_cmp_eq_u32_e32 vcc_lo, 2, v124
	s_delay_alu instid0(VALU_DEP_2) | instskip(SKIP_1) | instid1(VALU_DEP_2)
	v_cndmask_b32_e32 v65, v65, v36, vcc_lo
	v_cmp_eq_u32_e32 vcc_lo, 3, v124
	v_cndmask_b32_e32 v65, v65, v37, vcc_lo
	v_cmp_eq_u32_e32 vcc_lo, 4, v124
	s_delay_alu instid0(VALU_DEP_2) | instskip(SKIP_1) | instid1(VALU_DEP_2)
	v_cndmask_b32_e32 v65, v65, v38, vcc_lo
	v_cmp_eq_u32_e32 vcc_lo, 5, v124
	;; [unrolled: 5-line block ×13, first 2 shown]
	v_cndmask_b32_e32 v65, v65, v61, vcc_lo
	v_cmp_eq_u32_e32 vcc_lo, 28, v124
	v_add_nc_u64_e32 v[124:125], 1, v[124:125]
	s_delay_alu instid0(VALU_DEP_3) | instskip(SKIP_2) | instid1(VALU_DEP_2)
	v_cndmask_b32_e32 v65, v65, v62, vcc_lo
	v_cmp_eq_u32_e32 vcc_lo, 0, v63
	s_wait_dscnt 0x0
	v_fmac_f32_e32 v128, v65, v126
	s_or_b32 s2, vcc_lo, s2
	s_delay_alu instid0(SALU_CYCLE_1)
	s_and_not1_b32 exec_lo, exec_lo, s2
	s_cbranch_execnz .LBB92_109
; %bb.110:
	s_or_b32 exec_lo, exec_lo, s2
.LBB92_111:
	s_delay_alu instid0(SALU_CYCLE_1)
	s_or_b32 exec_lo, exec_lo, s1
.LBB92_112:
	s_delay_alu instid0(SALU_CYCLE_1)
	s_or_b32 exec_lo, exec_lo, s5
	v_mov_b32_e32 v54, 0
	ds_load_b32 v54, v54 offset:80
	s_wait_dscnt 0x0
	v_mul_f32_e32 v54, v128, v54
.LBB92_113:
	s_or_b32 exec_lo, exec_lo, s4
	v_cmp_lt_u32_e64 s1, 19, v0
	ds_store_b32 v127, v53
	s_wait_dscnt 0x0
	s_barrier_signal -1
	s_barrier_wait -1
	s_and_saveexec_b32 s4, s1
	s_cbranch_execz .LBB92_129
; %bb.114:
	s_and_not1_b32 vcc_lo, exec_lo, s29
	s_cbranch_vccnz .LBB92_116
; %bb.115:
	v_cmp_eq_u32_e32 vcc_lo, 1, v0
	ds_load_b32 v125, v127
	v_cndmask_b32_e32 v124, v34, v35, vcc_lo
	v_cmp_eq_u32_e32 vcc_lo, 2, v0
	s_delay_alu instid0(VALU_DEP_2) | instskip(SKIP_1) | instid1(VALU_DEP_2)
	v_cndmask_b32_e32 v124, v124, v36, vcc_lo
	v_cmp_eq_u32_e32 vcc_lo, 3, v0
	v_cndmask_b32_e32 v124, v124, v37, vcc_lo
	v_cmp_eq_u32_e32 vcc_lo, 4, v0
	s_delay_alu instid0(VALU_DEP_2) | instskip(SKIP_1) | instid1(VALU_DEP_2)
	v_cndmask_b32_e32 v124, v124, v38, vcc_lo
	v_cmp_eq_u32_e32 vcc_lo, 5, v0
	;; [unrolled: 5-line block ×13, first 2 shown]
	v_cndmask_b32_e32 v124, v124, v61, vcc_lo
	v_cmp_eq_u32_e32 vcc_lo, 28, v0
	s_delay_alu instid0(VALU_DEP_2) | instskip(SKIP_1) | instid1(VALU_DEP_1)
	v_cndmask_b32_e32 v124, v124, v62, vcc_lo
	s_wait_dscnt 0x0
	v_mul_f32_e32 v128, v124, v125
	s_cbranch_execz .LBB92_117
	s_branch .LBB92_118
.LBB92_116:
                                        ; implicit-def: $vgpr128
.LBB92_117:
	ds_load_b32 v128, v127
.LBB92_118:
	s_and_saveexec_b32 s5, s0
	s_cbranch_execz .LBB92_128
; %bb.119:
	v_subrev_nc_u32_e32 v126, 21, v0
	v_mov_b32_e32 v124, 20
	v_subrev_nc_u32_e32 v125, 20, v0
	s_mov_b32 s0, exec_lo
	s_delay_alu instid0(VALU_DEP_3)
	v_cmpx_lt_u32_e32 6, v126
	s_cbranch_execz .LBB92_123
; %bb.120:
	s_delay_alu instid0(VALU_DEP_2) | instskip(SKIP_3) | instid1(VALU_DEP_1)
	v_and_b32_e32 v124, -8, v125
	s_mov_b32 s6, 0
	s_mov_b64 s[2:3], 27
	s_movk_i32 s7, 0xd0
	v_sub_nc_u32_e32 v126, 0, v124
.LBB92_121:                             ; =>This Inner Loop Header: Depth=1
	s_add_co_i32 m0, s2, -7
	v_movrels_b32_e32 v129, v34
	v_mov_b32_e32 v124, s7
	s_add_co_i32 m0, s2, -6
	s_add_co_i32 s7, s7, 32
	v_movrels_b32_e32 v138, v34
	s_add_co_i32 m0, s2, -5
	ds_load_b128 v[130:133], v124
	ds_load_b128 v[134:137], v124 offset:16
	v_movrels_b32_e32 v124, v34
	s_add_co_i32 m0, s2, -4
	s_wait_dscnt 0x1
	v_fmac_f32_e32 v128, v129, v130
	v_movrels_b32_e32 v129, v34
	s_add_co_i32 m0, s2, -3
	s_delay_alu instid0(VALU_DEP_2) | instskip(NEXT) | instid1(VALU_DEP_1)
	v_fmac_f32_e32 v128, v138, v131
	v_fmac_f32_e32 v128, v124, v132
	v_movrels_b32_e32 v124, v34
	s_add_co_i32 m0, s2, -2
	s_delay_alu instid0(VALU_DEP_2) | instskip(SKIP_3) | instid1(VALU_DEP_2)
	v_fmac_f32_e32 v128, v129, v133
	v_movrels_b32_e32 v129, v34
	s_add_co_i32 m0, s2, -1
	s_wait_dscnt 0x0
	v_fmac_f32_e32 v128, v124, v134
	v_movrels_b32_e32 v124, v34
	s_mov_b32 m0, s2
	s_add_nc_u64 s[2:3], s[2:3], 8
	v_movrels_b32_e32 v130, v34
	v_dual_fmac_f32 v128, v129, v135 :: v_dual_add_nc_u32 v129, s2, v126
	s_add_co_i32 s8, s2, -7
	s_delay_alu instid0(VALU_DEP_1) | instskip(NEXT) | instid1(VALU_DEP_2)
	v_fmac_f32_e32 v128, v124, v136
	v_cmp_eq_u32_e32 vcc_lo, 27, v129
	s_delay_alu instid0(VALU_DEP_2) | instskip(SKIP_1) | instid1(SALU_CYCLE_1)
	v_dual_mov_b32 v124, s8 :: v_dual_fmac_f32 v128, v130, v137
	s_or_b32 s6, vcc_lo, s6
	s_and_not1_b32 exec_lo, exec_lo, s6
	s_cbranch_execnz .LBB92_121
; %bb.122:
	s_or_b32 exec_lo, exec_lo, s6
.LBB92_123:
	s_delay_alu instid0(SALU_CYCLE_1) | instskip(SKIP_3) | instid1(VALU_DEP_1)
	s_or_b32 exec_lo, exec_lo, s0
	v_and_b32_e32 v63, 7, v125
	s_mov_b32 s2, 0
	s_mov_b32 s0, exec_lo
	v_cmpx_ne_u32_e32 0, v63
	s_cbranch_execz .LBB92_127
; %bb.124:
	v_lshl_add_u32 v64, v124, 2, 0x80
	v_mov_b32_e32 v125, 0
.LBB92_125:                             ; =>This Inner Loop Header: Depth=1
	v_cmp_eq_u32_e32 vcc_lo, 1, v124
	ds_load_b32 v126, v64
	v_dual_add_nc_u32 v64, 4, v64 :: v_dual_add_nc_u32 v63, -1, v63
	v_cndmask_b32_e32 v65, v34, v35, vcc_lo
	v_cmp_eq_u32_e32 vcc_lo, 2, v124
	s_delay_alu instid0(VALU_DEP_2) | instskip(SKIP_1) | instid1(VALU_DEP_2)
	v_cndmask_b32_e32 v65, v65, v36, vcc_lo
	v_cmp_eq_u32_e32 vcc_lo, 3, v124
	v_cndmask_b32_e32 v65, v65, v37, vcc_lo
	v_cmp_eq_u32_e32 vcc_lo, 4, v124
	s_delay_alu instid0(VALU_DEP_2) | instskip(SKIP_1) | instid1(VALU_DEP_2)
	v_cndmask_b32_e32 v65, v65, v38, vcc_lo
	v_cmp_eq_u32_e32 vcc_lo, 5, v124
	;; [unrolled: 5-line block ×13, first 2 shown]
	v_cndmask_b32_e32 v65, v65, v61, vcc_lo
	v_cmp_eq_u32_e32 vcc_lo, 28, v124
	v_add_nc_u64_e32 v[124:125], 1, v[124:125]
	s_delay_alu instid0(VALU_DEP_3) | instskip(SKIP_2) | instid1(VALU_DEP_2)
	v_cndmask_b32_e32 v65, v65, v62, vcc_lo
	v_cmp_eq_u32_e32 vcc_lo, 0, v63
	s_wait_dscnt 0x0
	v_fmac_f32_e32 v128, v65, v126
	s_or_b32 s2, vcc_lo, s2
	s_delay_alu instid0(SALU_CYCLE_1)
	s_and_not1_b32 exec_lo, exec_lo, s2
	s_cbranch_execnz .LBB92_125
; %bb.126:
	s_or_b32 exec_lo, exec_lo, s2
.LBB92_127:
	s_delay_alu instid0(SALU_CYCLE_1)
	s_or_b32 exec_lo, exec_lo, s0
.LBB92_128:
	s_delay_alu instid0(SALU_CYCLE_1)
	s_or_b32 exec_lo, exec_lo, s5
	v_mov_b32_e32 v53, 0
	ds_load_b32 v53, v53 offset:76
	s_wait_dscnt 0x0
	v_mul_f32_e32 v53, v128, v53
.LBB92_129:
	s_or_b32 exec_lo, exec_lo, s4
	v_cmp_lt_u32_e64 s0, 18, v0
	ds_store_b32 v127, v52
	s_wait_dscnt 0x0
	s_barrier_signal -1
	s_barrier_wait -1
	s_and_saveexec_b32 s4, s0
	s_cbranch_execz .LBB92_145
; %bb.130:
	s_and_not1_b32 vcc_lo, exec_lo, s29
	s_cbranch_vccnz .LBB92_132
; %bb.131:
	v_cmp_eq_u32_e32 vcc_lo, 1, v0
	ds_load_b32 v125, v127
	v_cndmask_b32_e32 v124, v34, v35, vcc_lo
	v_cmp_eq_u32_e32 vcc_lo, 2, v0
	s_delay_alu instid0(VALU_DEP_2) | instskip(SKIP_1) | instid1(VALU_DEP_2)
	v_cndmask_b32_e32 v124, v124, v36, vcc_lo
	v_cmp_eq_u32_e32 vcc_lo, 3, v0
	v_cndmask_b32_e32 v124, v124, v37, vcc_lo
	v_cmp_eq_u32_e32 vcc_lo, 4, v0
	s_delay_alu instid0(VALU_DEP_2) | instskip(SKIP_1) | instid1(VALU_DEP_2)
	v_cndmask_b32_e32 v124, v124, v38, vcc_lo
	v_cmp_eq_u32_e32 vcc_lo, 5, v0
	v_cndmask_b32_e32 v124, v124, v39, vcc_lo
	v_cmp_eq_u32_e32 vcc_lo, 6, v0
	s_delay_alu instid0(VALU_DEP_2) | instskip(SKIP_1) | instid1(VALU_DEP_2)
	v_cndmask_b32_e32 v124, v124, v40, vcc_lo
	v_cmp_eq_u32_e32 vcc_lo, 7, v0
	v_cndmask_b32_e32 v124, v124, v41, vcc_lo
	v_cmp_eq_u32_e32 vcc_lo, 8, v0
	s_delay_alu instid0(VALU_DEP_2) | instskip(SKIP_1) | instid1(VALU_DEP_2)
	v_cndmask_b32_e32 v124, v124, v42, vcc_lo
	v_cmp_eq_u32_e32 vcc_lo, 9, v0
	v_cndmask_b32_e32 v124, v124, v43, vcc_lo
	v_cmp_eq_u32_e32 vcc_lo, 10, v0
	s_delay_alu instid0(VALU_DEP_2) | instskip(SKIP_1) | instid1(VALU_DEP_2)
	v_cndmask_b32_e32 v124, v124, v44, vcc_lo
	v_cmp_eq_u32_e32 vcc_lo, 11, v0
	v_cndmask_b32_e32 v124, v124, v45, vcc_lo
	v_cmp_eq_u32_e32 vcc_lo, 12, v0
	s_delay_alu instid0(VALU_DEP_2) | instskip(SKIP_1) | instid1(VALU_DEP_2)
	v_cndmask_b32_e32 v124, v124, v46, vcc_lo
	v_cmp_eq_u32_e32 vcc_lo, 13, v0
	v_cndmask_b32_e32 v124, v124, v47, vcc_lo
	v_cmp_eq_u32_e32 vcc_lo, 14, v0
	s_delay_alu instid0(VALU_DEP_2) | instskip(SKIP_1) | instid1(VALU_DEP_2)
	v_cndmask_b32_e32 v124, v124, v48, vcc_lo
	v_cmp_eq_u32_e32 vcc_lo, 15, v0
	v_cndmask_b32_e32 v124, v124, v49, vcc_lo
	v_cmp_eq_u32_e32 vcc_lo, 16, v0
	s_delay_alu instid0(VALU_DEP_2) | instskip(SKIP_1) | instid1(VALU_DEP_2)
	v_cndmask_b32_e32 v124, v124, v50, vcc_lo
	v_cmp_eq_u32_e32 vcc_lo, 17, v0
	v_cndmask_b32_e32 v124, v124, v51, vcc_lo
	v_cmp_eq_u32_e32 vcc_lo, 18, v0
	s_delay_alu instid0(VALU_DEP_2) | instskip(SKIP_1) | instid1(VALU_DEP_2)
	v_cndmask_b32_e32 v124, v124, v52, vcc_lo
	v_cmp_eq_u32_e32 vcc_lo, 19, v0
	v_cndmask_b32_e32 v124, v124, v53, vcc_lo
	v_cmp_eq_u32_e32 vcc_lo, 20, v0
	s_delay_alu instid0(VALU_DEP_2) | instskip(SKIP_1) | instid1(VALU_DEP_2)
	v_cndmask_b32_e32 v124, v124, v54, vcc_lo
	v_cmp_eq_u32_e32 vcc_lo, 21, v0
	v_cndmask_b32_e32 v124, v124, v55, vcc_lo
	v_cmp_eq_u32_e32 vcc_lo, 22, v0
	s_delay_alu instid0(VALU_DEP_2) | instskip(SKIP_1) | instid1(VALU_DEP_2)
	v_cndmask_b32_e32 v124, v124, v56, vcc_lo
	v_cmp_eq_u32_e32 vcc_lo, 23, v0
	v_cndmask_b32_e32 v124, v124, v57, vcc_lo
	v_cmp_eq_u32_e32 vcc_lo, 24, v0
	s_delay_alu instid0(VALU_DEP_2) | instskip(SKIP_1) | instid1(VALU_DEP_2)
	v_cndmask_b32_e32 v124, v124, v58, vcc_lo
	v_cmp_eq_u32_e32 vcc_lo, 25, v0
	v_cndmask_b32_e32 v124, v124, v59, vcc_lo
	v_cmp_eq_u32_e32 vcc_lo, 26, v0
	s_delay_alu instid0(VALU_DEP_2) | instskip(SKIP_1) | instid1(VALU_DEP_2)
	v_cndmask_b32_e32 v124, v124, v60, vcc_lo
	v_cmp_eq_u32_e32 vcc_lo, 27, v0
	v_cndmask_b32_e32 v124, v124, v61, vcc_lo
	v_cmp_eq_u32_e32 vcc_lo, 28, v0
	s_delay_alu instid0(VALU_DEP_2) | instskip(SKIP_1) | instid1(VALU_DEP_1)
	v_cndmask_b32_e32 v124, v124, v62, vcc_lo
	s_wait_dscnt 0x0
	v_mul_f32_e32 v128, v124, v125
	s_cbranch_execz .LBB92_133
	s_branch .LBB92_134
.LBB92_132:
                                        ; implicit-def: $vgpr128
.LBB92_133:
	ds_load_b32 v128, v127
.LBB92_134:
	s_and_saveexec_b32 s5, s1
	s_cbranch_execz .LBB92_144
; %bb.135:
	v_subrev_nc_u32_e32 v126, 20, v0
	v_mov_b32_e32 v124, 19
	v_subrev_nc_u32_e32 v125, 19, v0
	s_mov_b32 s1, exec_lo
	s_delay_alu instid0(VALU_DEP_3)
	v_cmpx_lt_u32_e32 6, v126
	s_cbranch_execz .LBB92_139
; %bb.136:
	s_delay_alu instid0(VALU_DEP_2) | instskip(SKIP_3) | instid1(VALU_DEP_1)
	v_and_b32_e32 v124, -8, v125
	s_mov_b32 s6, 0
	s_mov_b64 s[2:3], 26
	s_movk_i32 s7, 0xcc
	v_sub_nc_u32_e32 v126, 0, v124
.LBB92_137:                             ; =>This Inner Loop Header: Depth=1
	s_add_co_i32 m0, s2, -7
	v_movrels_b32_e32 v129, v34
	v_mov_b32_e32 v124, s7
	s_add_co_i32 m0, s2, -6
	s_add_co_i32 s7, s7, 32
	v_movrels_b32_e32 v138, v34
	ds_load_2addr_b32 v[130:131], v124 offset1:1
	ds_load_2addr_b32 v[132:133], v124 offset0:2 offset1:3
	s_add_co_i32 m0, s2, -5
	s_wait_dscnt 0x1
	v_fmac_f32_e32 v128, v129, v130
	ds_load_2addr_b32 v[134:135], v124 offset0:4 offset1:5
	ds_load_2addr_b32 v[136:137], v124 offset0:6 offset1:7
	v_movrels_b32_e32 v124, v34
	s_add_co_i32 m0, s2, -4
	v_fmac_f32_e32 v128, v138, v131
	v_movrels_b32_e32 v129, v34
	s_add_co_i32 m0, s2, -3
	s_wait_dscnt 0x2
	s_delay_alu instid0(VALU_DEP_2) | instskip(SKIP_2) | instid1(VALU_DEP_2)
	v_fmac_f32_e32 v128, v124, v132
	v_movrels_b32_e32 v124, v34
	s_add_co_i32 m0, s2, -2
	v_fmac_f32_e32 v128, v129, v133
	v_movrels_b32_e32 v129, v34
	s_add_co_i32 m0, s2, -1
	s_wait_dscnt 0x1
	s_delay_alu instid0(VALU_DEP_2)
	v_fmac_f32_e32 v128, v124, v134
	v_movrels_b32_e32 v124, v34
	s_mov_b32 m0, s2
	s_add_nc_u64 s[2:3], s[2:3], 8
	v_movrels_b32_e32 v130, v34
	v_dual_fmac_f32 v128, v129, v135 :: v_dual_add_nc_u32 v129, s2, v126
	s_add_co_i32 s8, s2, -7
	s_wait_dscnt 0x0
	s_delay_alu instid0(VALU_DEP_1) | instskip(NEXT) | instid1(VALU_DEP_2)
	v_fmac_f32_e32 v128, v124, v136
	v_cmp_eq_u32_e32 vcc_lo, 26, v129
	s_delay_alu instid0(VALU_DEP_2) | instskip(SKIP_1) | instid1(SALU_CYCLE_1)
	v_dual_mov_b32 v124, s8 :: v_dual_fmac_f32 v128, v130, v137
	s_or_b32 s6, vcc_lo, s6
	s_and_not1_b32 exec_lo, exec_lo, s6
	s_cbranch_execnz .LBB92_137
; %bb.138:
	s_or_b32 exec_lo, exec_lo, s6
.LBB92_139:
	s_delay_alu instid0(SALU_CYCLE_1) | instskip(SKIP_3) | instid1(VALU_DEP_1)
	s_or_b32 exec_lo, exec_lo, s1
	v_and_b32_e32 v63, 7, v125
	s_mov_b32 s2, 0
	s_mov_b32 s1, exec_lo
	v_cmpx_ne_u32_e32 0, v63
	s_cbranch_execz .LBB92_143
; %bb.140:
	v_lshl_add_u32 v64, v124, 2, 0x80
	v_mov_b32_e32 v125, 0
.LBB92_141:                             ; =>This Inner Loop Header: Depth=1
	v_cmp_eq_u32_e32 vcc_lo, 1, v124
	ds_load_b32 v126, v64
	v_dual_add_nc_u32 v64, 4, v64 :: v_dual_add_nc_u32 v63, -1, v63
	v_cndmask_b32_e32 v65, v34, v35, vcc_lo
	v_cmp_eq_u32_e32 vcc_lo, 2, v124
	s_delay_alu instid0(VALU_DEP_2) | instskip(SKIP_1) | instid1(VALU_DEP_2)
	v_cndmask_b32_e32 v65, v65, v36, vcc_lo
	v_cmp_eq_u32_e32 vcc_lo, 3, v124
	v_cndmask_b32_e32 v65, v65, v37, vcc_lo
	v_cmp_eq_u32_e32 vcc_lo, 4, v124
	s_delay_alu instid0(VALU_DEP_2) | instskip(SKIP_1) | instid1(VALU_DEP_2)
	v_cndmask_b32_e32 v65, v65, v38, vcc_lo
	v_cmp_eq_u32_e32 vcc_lo, 5, v124
	;; [unrolled: 5-line block ×13, first 2 shown]
	v_cndmask_b32_e32 v65, v65, v61, vcc_lo
	v_cmp_eq_u32_e32 vcc_lo, 28, v124
	v_add_nc_u64_e32 v[124:125], 1, v[124:125]
	s_delay_alu instid0(VALU_DEP_3) | instskip(SKIP_2) | instid1(VALU_DEP_2)
	v_cndmask_b32_e32 v65, v65, v62, vcc_lo
	v_cmp_eq_u32_e32 vcc_lo, 0, v63
	s_wait_dscnt 0x0
	v_fmac_f32_e32 v128, v65, v126
	s_or_b32 s2, vcc_lo, s2
	s_delay_alu instid0(SALU_CYCLE_1)
	s_and_not1_b32 exec_lo, exec_lo, s2
	s_cbranch_execnz .LBB92_141
; %bb.142:
	s_or_b32 exec_lo, exec_lo, s2
.LBB92_143:
	s_delay_alu instid0(SALU_CYCLE_1)
	s_or_b32 exec_lo, exec_lo, s1
.LBB92_144:
	s_delay_alu instid0(SALU_CYCLE_1)
	s_or_b32 exec_lo, exec_lo, s5
	v_mov_b32_e32 v52, 0
	ds_load_b32 v52, v52 offset:72
	s_wait_dscnt 0x0
	v_mul_f32_e32 v52, v128, v52
.LBB92_145:
	s_or_b32 exec_lo, exec_lo, s4
	v_cmp_lt_u32_e64 s1, 17, v0
	ds_store_b32 v127, v51
	s_wait_dscnt 0x0
	s_barrier_signal -1
	s_barrier_wait -1
	s_and_saveexec_b32 s4, s1
	s_cbranch_execz .LBB92_161
; %bb.146:
	s_and_not1_b32 vcc_lo, exec_lo, s29
	s_cbranch_vccnz .LBB92_148
; %bb.147:
	v_cmp_eq_u32_e32 vcc_lo, 1, v0
	ds_load_b32 v125, v127
	v_cndmask_b32_e32 v124, v34, v35, vcc_lo
	v_cmp_eq_u32_e32 vcc_lo, 2, v0
	s_delay_alu instid0(VALU_DEP_2) | instskip(SKIP_1) | instid1(VALU_DEP_2)
	v_cndmask_b32_e32 v124, v124, v36, vcc_lo
	v_cmp_eq_u32_e32 vcc_lo, 3, v0
	v_cndmask_b32_e32 v124, v124, v37, vcc_lo
	v_cmp_eq_u32_e32 vcc_lo, 4, v0
	s_delay_alu instid0(VALU_DEP_2) | instskip(SKIP_1) | instid1(VALU_DEP_2)
	v_cndmask_b32_e32 v124, v124, v38, vcc_lo
	v_cmp_eq_u32_e32 vcc_lo, 5, v0
	;; [unrolled: 5-line block ×13, first 2 shown]
	v_cndmask_b32_e32 v124, v124, v61, vcc_lo
	v_cmp_eq_u32_e32 vcc_lo, 28, v0
	s_delay_alu instid0(VALU_DEP_2) | instskip(SKIP_1) | instid1(VALU_DEP_1)
	v_cndmask_b32_e32 v124, v124, v62, vcc_lo
	s_wait_dscnt 0x0
	v_mul_f32_e32 v128, v124, v125
	s_cbranch_execz .LBB92_149
	s_branch .LBB92_150
.LBB92_148:
                                        ; implicit-def: $vgpr128
.LBB92_149:
	ds_load_b32 v128, v127
.LBB92_150:
	s_and_saveexec_b32 s5, s0
	s_cbranch_execz .LBB92_160
; %bb.151:
	v_subrev_nc_u32_e32 v126, 19, v0
	v_mov_b32_e32 v124, 18
	v_subrev_nc_u32_e32 v125, 18, v0
	s_mov_b32 s0, exec_lo
	s_delay_alu instid0(VALU_DEP_3)
	v_cmpx_lt_u32_e32 6, v126
	s_cbranch_execz .LBB92_155
; %bb.152:
	s_delay_alu instid0(VALU_DEP_2) | instskip(SKIP_3) | instid1(VALU_DEP_1)
	v_and_b32_e32 v124, -8, v125
	s_mov_b32 s6, 0
	s_mov_b64 s[2:3], 25
	s_movk_i32 s7, 0xc8
	v_sub_nc_u32_e32 v126, 0, v124
.LBB92_153:                             ; =>This Inner Loop Header: Depth=1
	s_add_co_i32 m0, s2, -7
	v_movrels_b32_e32 v129, v34
	v_mov_b32_e32 v124, s7
	s_add_co_i32 m0, s2, -6
	s_add_co_i32 s7, s7, 32
	v_movrels_b32_e32 v138, v34
	s_add_co_i32 m0, s2, -5
	ds_load_2addr_b64 v[130:133], v124 offset1:1
	ds_load_2addr_b64 v[134:137], v124 offset0:2 offset1:3
	v_movrels_b32_e32 v124, v34
	s_add_co_i32 m0, s2, -4
	s_wait_dscnt 0x1
	v_fmac_f32_e32 v128, v129, v130
	v_movrels_b32_e32 v129, v34
	s_add_co_i32 m0, s2, -3
	s_delay_alu instid0(VALU_DEP_2) | instskip(NEXT) | instid1(VALU_DEP_1)
	v_fmac_f32_e32 v128, v138, v131
	v_fmac_f32_e32 v128, v124, v132
	v_movrels_b32_e32 v124, v34
	s_add_co_i32 m0, s2, -2
	s_delay_alu instid0(VALU_DEP_2) | instskip(SKIP_3) | instid1(VALU_DEP_2)
	v_fmac_f32_e32 v128, v129, v133
	v_movrels_b32_e32 v129, v34
	s_add_co_i32 m0, s2, -1
	s_wait_dscnt 0x0
	v_fmac_f32_e32 v128, v124, v134
	v_movrels_b32_e32 v124, v34
	s_mov_b32 m0, s2
	s_add_nc_u64 s[2:3], s[2:3], 8
	v_movrels_b32_e32 v130, v34
	v_dual_fmac_f32 v128, v129, v135 :: v_dual_add_nc_u32 v129, s2, v126
	s_add_co_i32 s8, s2, -7
	s_delay_alu instid0(VALU_DEP_1) | instskip(NEXT) | instid1(VALU_DEP_2)
	v_fmac_f32_e32 v128, v124, v136
	v_cmp_eq_u32_e32 vcc_lo, 25, v129
	s_delay_alu instid0(VALU_DEP_2) | instskip(SKIP_1) | instid1(SALU_CYCLE_1)
	v_dual_mov_b32 v124, s8 :: v_dual_fmac_f32 v128, v130, v137
	s_or_b32 s6, vcc_lo, s6
	s_and_not1_b32 exec_lo, exec_lo, s6
	s_cbranch_execnz .LBB92_153
; %bb.154:
	s_or_b32 exec_lo, exec_lo, s6
.LBB92_155:
	s_delay_alu instid0(SALU_CYCLE_1) | instskip(SKIP_3) | instid1(VALU_DEP_1)
	s_or_b32 exec_lo, exec_lo, s0
	v_and_b32_e32 v63, 7, v125
	s_mov_b32 s2, 0
	s_mov_b32 s0, exec_lo
	v_cmpx_ne_u32_e32 0, v63
	s_cbranch_execz .LBB92_159
; %bb.156:
	v_lshl_add_u32 v64, v124, 2, 0x80
	v_mov_b32_e32 v125, 0
.LBB92_157:                             ; =>This Inner Loop Header: Depth=1
	v_cmp_eq_u32_e32 vcc_lo, 1, v124
	ds_load_b32 v126, v64
	v_dual_add_nc_u32 v64, 4, v64 :: v_dual_add_nc_u32 v63, -1, v63
	v_cndmask_b32_e32 v65, v34, v35, vcc_lo
	v_cmp_eq_u32_e32 vcc_lo, 2, v124
	s_delay_alu instid0(VALU_DEP_2) | instskip(SKIP_1) | instid1(VALU_DEP_2)
	v_cndmask_b32_e32 v65, v65, v36, vcc_lo
	v_cmp_eq_u32_e32 vcc_lo, 3, v124
	v_cndmask_b32_e32 v65, v65, v37, vcc_lo
	v_cmp_eq_u32_e32 vcc_lo, 4, v124
	s_delay_alu instid0(VALU_DEP_2) | instskip(SKIP_1) | instid1(VALU_DEP_2)
	v_cndmask_b32_e32 v65, v65, v38, vcc_lo
	v_cmp_eq_u32_e32 vcc_lo, 5, v124
	;; [unrolled: 5-line block ×13, first 2 shown]
	v_cndmask_b32_e32 v65, v65, v61, vcc_lo
	v_cmp_eq_u32_e32 vcc_lo, 28, v124
	v_add_nc_u64_e32 v[124:125], 1, v[124:125]
	s_delay_alu instid0(VALU_DEP_3) | instskip(SKIP_2) | instid1(VALU_DEP_2)
	v_cndmask_b32_e32 v65, v65, v62, vcc_lo
	v_cmp_eq_u32_e32 vcc_lo, 0, v63
	s_wait_dscnt 0x0
	v_fmac_f32_e32 v128, v65, v126
	s_or_b32 s2, vcc_lo, s2
	s_delay_alu instid0(SALU_CYCLE_1)
	s_and_not1_b32 exec_lo, exec_lo, s2
	s_cbranch_execnz .LBB92_157
; %bb.158:
	s_or_b32 exec_lo, exec_lo, s2
.LBB92_159:
	s_delay_alu instid0(SALU_CYCLE_1)
	s_or_b32 exec_lo, exec_lo, s0
.LBB92_160:
	s_delay_alu instid0(SALU_CYCLE_1)
	s_or_b32 exec_lo, exec_lo, s5
	v_mov_b32_e32 v51, 0
	ds_load_b32 v51, v51 offset:68
	s_wait_dscnt 0x0
	v_mul_f32_e32 v51, v128, v51
.LBB92_161:
	s_or_b32 exec_lo, exec_lo, s4
	v_cmp_lt_u32_e64 s0, 16, v0
	ds_store_b32 v127, v50
	s_wait_dscnt 0x0
	s_barrier_signal -1
	s_barrier_wait -1
	s_and_saveexec_b32 s4, s0
	s_cbranch_execz .LBB92_177
; %bb.162:
	s_and_not1_b32 vcc_lo, exec_lo, s29
	s_cbranch_vccnz .LBB92_164
; %bb.163:
	v_cmp_eq_u32_e32 vcc_lo, 1, v0
	ds_load_b32 v125, v127
	v_cndmask_b32_e32 v124, v34, v35, vcc_lo
	v_cmp_eq_u32_e32 vcc_lo, 2, v0
	s_delay_alu instid0(VALU_DEP_2) | instskip(SKIP_1) | instid1(VALU_DEP_2)
	v_cndmask_b32_e32 v124, v124, v36, vcc_lo
	v_cmp_eq_u32_e32 vcc_lo, 3, v0
	v_cndmask_b32_e32 v124, v124, v37, vcc_lo
	v_cmp_eq_u32_e32 vcc_lo, 4, v0
	s_delay_alu instid0(VALU_DEP_2) | instskip(SKIP_1) | instid1(VALU_DEP_2)
	v_cndmask_b32_e32 v124, v124, v38, vcc_lo
	v_cmp_eq_u32_e32 vcc_lo, 5, v0
	;; [unrolled: 5-line block ×13, first 2 shown]
	v_cndmask_b32_e32 v124, v124, v61, vcc_lo
	v_cmp_eq_u32_e32 vcc_lo, 28, v0
	s_delay_alu instid0(VALU_DEP_2) | instskip(SKIP_1) | instid1(VALU_DEP_1)
	v_cndmask_b32_e32 v124, v124, v62, vcc_lo
	s_wait_dscnt 0x0
	v_mul_f32_e32 v128, v124, v125
	s_cbranch_execz .LBB92_165
	s_branch .LBB92_166
.LBB92_164:
                                        ; implicit-def: $vgpr128
.LBB92_165:
	ds_load_b32 v128, v127
.LBB92_166:
	s_and_saveexec_b32 s5, s1
	s_cbranch_execz .LBB92_176
; %bb.167:
	v_subrev_nc_u32_e32 v126, 18, v0
	v_mov_b32_e32 v124, 17
	v_subrev_nc_u32_e32 v125, 17, v0
	s_mov_b32 s1, exec_lo
	s_delay_alu instid0(VALU_DEP_3)
	v_cmpx_lt_u32_e32 6, v126
	s_cbranch_execz .LBB92_171
; %bb.168:
	s_delay_alu instid0(VALU_DEP_2) | instskip(SKIP_3) | instid1(VALU_DEP_1)
	v_and_b32_e32 v124, -8, v125
	s_mov_b32 s6, 0
	s_mov_b64 s[2:3], 24
	s_movk_i32 s7, 0xc4
	v_sub_nc_u32_e32 v126, 0, v124
.LBB92_169:                             ; =>This Inner Loop Header: Depth=1
	s_add_co_i32 m0, s2, -7
	v_movrels_b32_e32 v129, v34
	v_mov_b32_e32 v124, s7
	s_add_co_i32 m0, s2, -6
	s_add_co_i32 s7, s7, 32
	v_movrels_b32_e32 v138, v34
	ds_load_2addr_b32 v[130:131], v124 offset1:1
	ds_load_2addr_b32 v[132:133], v124 offset0:2 offset1:3
	s_add_co_i32 m0, s2, -5
	s_wait_dscnt 0x1
	v_fmac_f32_e32 v128, v129, v130
	ds_load_2addr_b32 v[134:135], v124 offset0:4 offset1:5
	ds_load_2addr_b32 v[136:137], v124 offset0:6 offset1:7
	v_movrels_b32_e32 v124, v34
	s_add_co_i32 m0, s2, -4
	v_fmac_f32_e32 v128, v138, v131
	v_movrels_b32_e32 v129, v34
	s_add_co_i32 m0, s2, -3
	s_wait_dscnt 0x2
	s_delay_alu instid0(VALU_DEP_2) | instskip(SKIP_2) | instid1(VALU_DEP_2)
	v_fmac_f32_e32 v128, v124, v132
	v_movrels_b32_e32 v124, v34
	s_add_co_i32 m0, s2, -2
	v_fmac_f32_e32 v128, v129, v133
	v_movrels_b32_e32 v129, v34
	s_add_co_i32 m0, s2, -1
	s_wait_dscnt 0x1
	s_delay_alu instid0(VALU_DEP_2)
	v_fmac_f32_e32 v128, v124, v134
	v_movrels_b32_e32 v124, v34
	s_mov_b32 m0, s2
	s_add_nc_u64 s[2:3], s[2:3], 8
	v_movrels_b32_e32 v130, v34
	v_dual_fmac_f32 v128, v129, v135 :: v_dual_add_nc_u32 v129, s2, v126
	s_add_co_i32 s8, s2, -7
	s_wait_dscnt 0x0
	s_delay_alu instid0(VALU_DEP_1) | instskip(NEXT) | instid1(VALU_DEP_2)
	v_fmac_f32_e32 v128, v124, v136
	v_cmp_eq_u32_e32 vcc_lo, 24, v129
	s_delay_alu instid0(VALU_DEP_2) | instskip(SKIP_1) | instid1(SALU_CYCLE_1)
	v_dual_mov_b32 v124, s8 :: v_dual_fmac_f32 v128, v130, v137
	s_or_b32 s6, vcc_lo, s6
	s_and_not1_b32 exec_lo, exec_lo, s6
	s_cbranch_execnz .LBB92_169
; %bb.170:
	s_or_b32 exec_lo, exec_lo, s6
.LBB92_171:
	s_delay_alu instid0(SALU_CYCLE_1) | instskip(SKIP_3) | instid1(VALU_DEP_1)
	s_or_b32 exec_lo, exec_lo, s1
	v_and_b32_e32 v63, 7, v125
	s_mov_b32 s2, 0
	s_mov_b32 s1, exec_lo
	v_cmpx_ne_u32_e32 0, v63
	s_cbranch_execz .LBB92_175
; %bb.172:
	v_lshl_add_u32 v64, v124, 2, 0x80
	v_mov_b32_e32 v125, 0
.LBB92_173:                             ; =>This Inner Loop Header: Depth=1
	v_cmp_eq_u32_e32 vcc_lo, 1, v124
	ds_load_b32 v126, v64
	v_dual_add_nc_u32 v64, 4, v64 :: v_dual_add_nc_u32 v63, -1, v63
	v_cndmask_b32_e32 v65, v34, v35, vcc_lo
	v_cmp_eq_u32_e32 vcc_lo, 2, v124
	s_delay_alu instid0(VALU_DEP_2) | instskip(SKIP_1) | instid1(VALU_DEP_2)
	v_cndmask_b32_e32 v65, v65, v36, vcc_lo
	v_cmp_eq_u32_e32 vcc_lo, 3, v124
	v_cndmask_b32_e32 v65, v65, v37, vcc_lo
	v_cmp_eq_u32_e32 vcc_lo, 4, v124
	s_delay_alu instid0(VALU_DEP_2) | instskip(SKIP_1) | instid1(VALU_DEP_2)
	v_cndmask_b32_e32 v65, v65, v38, vcc_lo
	v_cmp_eq_u32_e32 vcc_lo, 5, v124
	;; [unrolled: 5-line block ×13, first 2 shown]
	v_cndmask_b32_e32 v65, v65, v61, vcc_lo
	v_cmp_eq_u32_e32 vcc_lo, 28, v124
	v_add_nc_u64_e32 v[124:125], 1, v[124:125]
	s_delay_alu instid0(VALU_DEP_3) | instskip(SKIP_2) | instid1(VALU_DEP_2)
	v_cndmask_b32_e32 v65, v65, v62, vcc_lo
	v_cmp_eq_u32_e32 vcc_lo, 0, v63
	s_wait_dscnt 0x0
	v_fmac_f32_e32 v128, v65, v126
	s_or_b32 s2, vcc_lo, s2
	s_delay_alu instid0(SALU_CYCLE_1)
	s_and_not1_b32 exec_lo, exec_lo, s2
	s_cbranch_execnz .LBB92_173
; %bb.174:
	s_or_b32 exec_lo, exec_lo, s2
.LBB92_175:
	s_delay_alu instid0(SALU_CYCLE_1)
	s_or_b32 exec_lo, exec_lo, s1
.LBB92_176:
	s_delay_alu instid0(SALU_CYCLE_1)
	s_or_b32 exec_lo, exec_lo, s5
	v_mov_b32_e32 v50, 0
	ds_load_b32 v50, v50 offset:64
	s_wait_dscnt 0x0
	v_mul_f32_e32 v50, v128, v50
.LBB92_177:
	s_or_b32 exec_lo, exec_lo, s4
	v_cmp_lt_u32_e64 s1, 15, v0
	ds_store_b32 v127, v49
	s_wait_dscnt 0x0
	s_barrier_signal -1
	s_barrier_wait -1
	s_and_saveexec_b32 s4, s1
	s_cbranch_execz .LBB92_193
; %bb.178:
	s_and_not1_b32 vcc_lo, exec_lo, s29
	s_cbranch_vccnz .LBB92_180
; %bb.179:
	v_cmp_eq_u32_e32 vcc_lo, 1, v0
	ds_load_b32 v125, v127
	v_cndmask_b32_e32 v124, v34, v35, vcc_lo
	v_cmp_eq_u32_e32 vcc_lo, 2, v0
	s_delay_alu instid0(VALU_DEP_2) | instskip(SKIP_1) | instid1(VALU_DEP_2)
	v_cndmask_b32_e32 v124, v124, v36, vcc_lo
	v_cmp_eq_u32_e32 vcc_lo, 3, v0
	v_cndmask_b32_e32 v124, v124, v37, vcc_lo
	v_cmp_eq_u32_e32 vcc_lo, 4, v0
	s_delay_alu instid0(VALU_DEP_2) | instskip(SKIP_1) | instid1(VALU_DEP_2)
	v_cndmask_b32_e32 v124, v124, v38, vcc_lo
	v_cmp_eq_u32_e32 vcc_lo, 5, v0
	;; [unrolled: 5-line block ×13, first 2 shown]
	v_cndmask_b32_e32 v124, v124, v61, vcc_lo
	v_cmp_eq_u32_e32 vcc_lo, 28, v0
	s_delay_alu instid0(VALU_DEP_2) | instskip(SKIP_1) | instid1(VALU_DEP_1)
	v_cndmask_b32_e32 v124, v124, v62, vcc_lo
	s_wait_dscnt 0x0
	v_mul_f32_e32 v128, v124, v125
	s_cbranch_execz .LBB92_181
	s_branch .LBB92_182
.LBB92_180:
                                        ; implicit-def: $vgpr128
.LBB92_181:
	ds_load_b32 v128, v127
.LBB92_182:
	s_and_saveexec_b32 s5, s0
	s_cbranch_execz .LBB92_192
; %bb.183:
	v_subrev_nc_u32_e32 v124, 17, v0
	s_delay_alu instid0(VALU_DEP_1)
	v_cmp_lt_u32_e32 vcc_lo, 6, v124
	v_mov_b32_e32 v124, 16
	s_and_saveexec_b32 s0, vcc_lo
	s_cbranch_execz .LBB92_187
; %bb.184:
	v_and_b32_e32 v124, 24, v0
	s_mov_b32 s6, 0
	s_mov_b64 s[2:3], 23
	s_movk_i32 s7, 0xc0
	s_delay_alu instid0(VALU_DEP_1)
	v_sub_nc_u32_e32 v126, 0, v124
.LBB92_185:                             ; =>This Inner Loop Header: Depth=1
	s_add_co_i32 m0, s2, -7
	v_movrels_b32_e32 v125, v34
	v_mov_b32_e32 v124, s7
	s_add_co_i32 m0, s2, -6
	s_add_co_i32 s7, s7, 32
	v_movrels_b32_e32 v129, v34
	s_add_co_i32 m0, s2, -5
	ds_load_b128 v[130:133], v124
	ds_load_b128 v[134:137], v124 offset:16
	v_movrels_b32_e32 v124, v34
	s_add_co_i32 m0, s2, -4
	s_wait_dscnt 0x1
	v_fmac_f32_e32 v128, v125, v130
	v_movrels_b32_e32 v125, v34
	s_add_co_i32 m0, s2, -3
	s_delay_alu instid0(VALU_DEP_2) | instskip(NEXT) | instid1(VALU_DEP_1)
	v_fmac_f32_e32 v128, v129, v131
	v_fmac_f32_e32 v128, v124, v132
	v_movrels_b32_e32 v124, v34
	s_add_co_i32 m0, s2, -2
	s_delay_alu instid0(VALU_DEP_2) | instskip(SKIP_3) | instid1(VALU_DEP_2)
	v_fmac_f32_e32 v128, v125, v133
	v_movrels_b32_e32 v125, v34
	s_add_co_i32 m0, s2, -1
	s_wait_dscnt 0x0
	v_fmac_f32_e32 v128, v124, v134
	v_movrels_b32_e32 v124, v34
	s_mov_b32 m0, s2
	s_add_nc_u64 s[2:3], s[2:3], 8
	v_movrels_b32_e32 v129, v34
	v_dual_fmac_f32 v128, v125, v135 :: v_dual_add_nc_u32 v125, s2, v126
	s_add_co_i32 s8, s2, -7
	s_delay_alu instid0(VALU_DEP_1) | instskip(NEXT) | instid1(VALU_DEP_2)
	v_fmac_f32_e32 v128, v124, v136
	v_cmp_eq_u32_e32 vcc_lo, 7, v125
	s_delay_alu instid0(VALU_DEP_2) | instskip(SKIP_1) | instid1(SALU_CYCLE_1)
	v_dual_mov_b32 v124, s8 :: v_dual_fmac_f32 v128, v129, v137
	s_or_b32 s6, vcc_lo, s6
	s_and_not1_b32 exec_lo, exec_lo, s6
	s_cbranch_execnz .LBB92_185
; %bb.186:
	s_or_b32 exec_lo, exec_lo, s6
.LBB92_187:
	s_delay_alu instid0(SALU_CYCLE_1) | instskip(SKIP_3) | instid1(VALU_DEP_1)
	s_or_b32 exec_lo, exec_lo, s0
	v_and_b32_e32 v63, 7, v0
	s_mov_b32 s2, 0
	s_mov_b32 s0, exec_lo
	v_cmpx_ne_u32_e32 0, v63
	s_cbranch_execz .LBB92_191
; %bb.188:
	v_lshl_add_u32 v64, v124, 2, 0x80
	v_mov_b32_e32 v125, 0
.LBB92_189:                             ; =>This Inner Loop Header: Depth=1
	v_cmp_eq_u32_e32 vcc_lo, 1, v124
	ds_load_b32 v126, v64
	v_dual_add_nc_u32 v64, 4, v64 :: v_dual_add_nc_u32 v63, -1, v63
	v_cndmask_b32_e32 v65, v34, v35, vcc_lo
	v_cmp_eq_u32_e32 vcc_lo, 2, v124
	s_delay_alu instid0(VALU_DEP_2) | instskip(SKIP_1) | instid1(VALU_DEP_2)
	v_cndmask_b32_e32 v65, v65, v36, vcc_lo
	v_cmp_eq_u32_e32 vcc_lo, 3, v124
	v_cndmask_b32_e32 v65, v65, v37, vcc_lo
	v_cmp_eq_u32_e32 vcc_lo, 4, v124
	s_delay_alu instid0(VALU_DEP_2) | instskip(SKIP_1) | instid1(VALU_DEP_2)
	v_cndmask_b32_e32 v65, v65, v38, vcc_lo
	v_cmp_eq_u32_e32 vcc_lo, 5, v124
	;; [unrolled: 5-line block ×13, first 2 shown]
	v_cndmask_b32_e32 v65, v65, v61, vcc_lo
	v_cmp_eq_u32_e32 vcc_lo, 28, v124
	v_add_nc_u64_e32 v[124:125], 1, v[124:125]
	s_delay_alu instid0(VALU_DEP_3) | instskip(SKIP_2) | instid1(VALU_DEP_2)
	v_cndmask_b32_e32 v65, v65, v62, vcc_lo
	v_cmp_eq_u32_e32 vcc_lo, 0, v63
	s_wait_dscnt 0x0
	v_fmac_f32_e32 v128, v65, v126
	s_or_b32 s2, vcc_lo, s2
	s_delay_alu instid0(SALU_CYCLE_1)
	s_and_not1_b32 exec_lo, exec_lo, s2
	s_cbranch_execnz .LBB92_189
; %bb.190:
	s_or_b32 exec_lo, exec_lo, s2
.LBB92_191:
	s_delay_alu instid0(SALU_CYCLE_1)
	s_or_b32 exec_lo, exec_lo, s0
.LBB92_192:
	s_delay_alu instid0(SALU_CYCLE_1)
	s_or_b32 exec_lo, exec_lo, s5
	v_mov_b32_e32 v49, 0
	ds_load_b32 v49, v49 offset:60
	s_wait_dscnt 0x0
	v_mul_f32_e32 v49, v128, v49
.LBB92_193:
	s_or_b32 exec_lo, exec_lo, s4
	v_cmp_lt_u32_e64 s0, 14, v0
	ds_store_b32 v127, v48
	s_wait_dscnt 0x0
	s_barrier_signal -1
	s_barrier_wait -1
	s_and_saveexec_b32 s4, s0
	s_cbranch_execz .LBB92_209
; %bb.194:
	s_and_not1_b32 vcc_lo, exec_lo, s29
	s_cbranch_vccnz .LBB92_196
; %bb.195:
	v_cmp_eq_u32_e32 vcc_lo, 1, v0
	ds_load_b32 v125, v127
	v_cndmask_b32_e32 v124, v34, v35, vcc_lo
	v_cmp_eq_u32_e32 vcc_lo, 2, v0
	s_delay_alu instid0(VALU_DEP_2) | instskip(SKIP_1) | instid1(VALU_DEP_2)
	v_cndmask_b32_e32 v124, v124, v36, vcc_lo
	v_cmp_eq_u32_e32 vcc_lo, 3, v0
	v_cndmask_b32_e32 v124, v124, v37, vcc_lo
	v_cmp_eq_u32_e32 vcc_lo, 4, v0
	s_delay_alu instid0(VALU_DEP_2) | instskip(SKIP_1) | instid1(VALU_DEP_2)
	v_cndmask_b32_e32 v124, v124, v38, vcc_lo
	v_cmp_eq_u32_e32 vcc_lo, 5, v0
	v_cndmask_b32_e32 v124, v124, v39, vcc_lo
	v_cmp_eq_u32_e32 vcc_lo, 6, v0
	s_delay_alu instid0(VALU_DEP_2) | instskip(SKIP_1) | instid1(VALU_DEP_2)
	v_cndmask_b32_e32 v124, v124, v40, vcc_lo
	v_cmp_eq_u32_e32 vcc_lo, 7, v0
	v_cndmask_b32_e32 v124, v124, v41, vcc_lo
	v_cmp_eq_u32_e32 vcc_lo, 8, v0
	s_delay_alu instid0(VALU_DEP_2) | instskip(SKIP_1) | instid1(VALU_DEP_2)
	v_cndmask_b32_e32 v124, v124, v42, vcc_lo
	v_cmp_eq_u32_e32 vcc_lo, 9, v0
	v_cndmask_b32_e32 v124, v124, v43, vcc_lo
	v_cmp_eq_u32_e32 vcc_lo, 10, v0
	s_delay_alu instid0(VALU_DEP_2) | instskip(SKIP_1) | instid1(VALU_DEP_2)
	v_cndmask_b32_e32 v124, v124, v44, vcc_lo
	v_cmp_eq_u32_e32 vcc_lo, 11, v0
	v_cndmask_b32_e32 v124, v124, v45, vcc_lo
	v_cmp_eq_u32_e32 vcc_lo, 12, v0
	s_delay_alu instid0(VALU_DEP_2) | instskip(SKIP_1) | instid1(VALU_DEP_2)
	v_cndmask_b32_e32 v124, v124, v46, vcc_lo
	v_cmp_eq_u32_e32 vcc_lo, 13, v0
	v_cndmask_b32_e32 v124, v124, v47, vcc_lo
	v_cmp_eq_u32_e32 vcc_lo, 14, v0
	s_delay_alu instid0(VALU_DEP_2) | instskip(SKIP_1) | instid1(VALU_DEP_2)
	v_cndmask_b32_e32 v124, v124, v48, vcc_lo
	v_cmp_eq_u32_e32 vcc_lo, 15, v0
	v_cndmask_b32_e32 v124, v124, v49, vcc_lo
	v_cmp_eq_u32_e32 vcc_lo, 16, v0
	s_delay_alu instid0(VALU_DEP_2) | instskip(SKIP_1) | instid1(VALU_DEP_2)
	v_cndmask_b32_e32 v124, v124, v50, vcc_lo
	v_cmp_eq_u32_e32 vcc_lo, 17, v0
	v_cndmask_b32_e32 v124, v124, v51, vcc_lo
	v_cmp_eq_u32_e32 vcc_lo, 18, v0
	s_delay_alu instid0(VALU_DEP_2) | instskip(SKIP_1) | instid1(VALU_DEP_2)
	v_cndmask_b32_e32 v124, v124, v52, vcc_lo
	v_cmp_eq_u32_e32 vcc_lo, 19, v0
	v_cndmask_b32_e32 v124, v124, v53, vcc_lo
	v_cmp_eq_u32_e32 vcc_lo, 20, v0
	s_delay_alu instid0(VALU_DEP_2) | instskip(SKIP_1) | instid1(VALU_DEP_2)
	v_cndmask_b32_e32 v124, v124, v54, vcc_lo
	v_cmp_eq_u32_e32 vcc_lo, 21, v0
	v_cndmask_b32_e32 v124, v124, v55, vcc_lo
	v_cmp_eq_u32_e32 vcc_lo, 22, v0
	s_delay_alu instid0(VALU_DEP_2) | instskip(SKIP_1) | instid1(VALU_DEP_2)
	v_cndmask_b32_e32 v124, v124, v56, vcc_lo
	v_cmp_eq_u32_e32 vcc_lo, 23, v0
	v_cndmask_b32_e32 v124, v124, v57, vcc_lo
	v_cmp_eq_u32_e32 vcc_lo, 24, v0
	s_delay_alu instid0(VALU_DEP_2) | instskip(SKIP_1) | instid1(VALU_DEP_2)
	v_cndmask_b32_e32 v124, v124, v58, vcc_lo
	v_cmp_eq_u32_e32 vcc_lo, 25, v0
	v_cndmask_b32_e32 v124, v124, v59, vcc_lo
	v_cmp_eq_u32_e32 vcc_lo, 26, v0
	s_delay_alu instid0(VALU_DEP_2) | instskip(SKIP_1) | instid1(VALU_DEP_2)
	v_cndmask_b32_e32 v124, v124, v60, vcc_lo
	v_cmp_eq_u32_e32 vcc_lo, 27, v0
	v_cndmask_b32_e32 v124, v124, v61, vcc_lo
	v_cmp_eq_u32_e32 vcc_lo, 28, v0
	s_delay_alu instid0(VALU_DEP_2) | instskip(SKIP_1) | instid1(VALU_DEP_1)
	v_cndmask_b32_e32 v124, v124, v62, vcc_lo
	s_wait_dscnt 0x0
	v_mul_f32_e32 v128, v124, v125
	s_cbranch_execz .LBB92_197
	s_branch .LBB92_198
.LBB92_196:
                                        ; implicit-def: $vgpr128
.LBB92_197:
	ds_load_b32 v128, v127
.LBB92_198:
	s_and_saveexec_b32 s5, s1
	s_cbranch_execz .LBB92_208
; %bb.199:
	v_dual_add_nc_u32 v124, -16, v0 :: v_dual_add_nc_u32 v125, -15, v0
	s_delay_alu instid0(VALU_DEP_1)
	v_cmp_lt_u32_e32 vcc_lo, 6, v124
	v_mov_b32_e32 v124, 15
	s_and_saveexec_b32 s1, vcc_lo
	s_cbranch_execz .LBB92_203
; %bb.200:
	v_and_b32_e32 v124, -8, v125
	s_mov_b32 s6, 0
	s_mov_b64 s[2:3], 22
	s_movk_i32 s7, 0xbc
	s_delay_alu instid0(VALU_DEP_1)
	v_sub_nc_u32_e32 v126, 0, v124
.LBB92_201:                             ; =>This Inner Loop Header: Depth=1
	s_add_co_i32 m0, s2, -7
	v_movrels_b32_e32 v129, v34
	v_mov_b32_e32 v124, s7
	s_add_co_i32 m0, s2, -6
	s_add_co_i32 s7, s7, 32
	v_movrels_b32_e32 v138, v34
	ds_load_2addr_b32 v[130:131], v124 offset1:1
	ds_load_2addr_b32 v[132:133], v124 offset0:2 offset1:3
	s_add_co_i32 m0, s2, -5
	s_wait_dscnt 0x1
	v_fmac_f32_e32 v128, v129, v130
	ds_load_2addr_b32 v[134:135], v124 offset0:4 offset1:5
	ds_load_2addr_b32 v[136:137], v124 offset0:6 offset1:7
	v_movrels_b32_e32 v124, v34
	s_add_co_i32 m0, s2, -4
	v_fmac_f32_e32 v128, v138, v131
	v_movrels_b32_e32 v129, v34
	s_add_co_i32 m0, s2, -3
	s_wait_dscnt 0x2
	s_delay_alu instid0(VALU_DEP_2) | instskip(SKIP_2) | instid1(VALU_DEP_2)
	v_fmac_f32_e32 v128, v124, v132
	v_movrels_b32_e32 v124, v34
	s_add_co_i32 m0, s2, -2
	v_fmac_f32_e32 v128, v129, v133
	v_movrels_b32_e32 v129, v34
	s_add_co_i32 m0, s2, -1
	s_wait_dscnt 0x1
	s_delay_alu instid0(VALU_DEP_2)
	v_fmac_f32_e32 v128, v124, v134
	v_movrels_b32_e32 v124, v34
	s_mov_b32 m0, s2
	s_add_nc_u64 s[2:3], s[2:3], 8
	v_movrels_b32_e32 v130, v34
	v_dual_fmac_f32 v128, v129, v135 :: v_dual_add_nc_u32 v129, s2, v126
	s_add_co_i32 s8, s2, -7
	s_wait_dscnt 0x0
	s_delay_alu instid0(VALU_DEP_1) | instskip(NEXT) | instid1(VALU_DEP_2)
	v_fmac_f32_e32 v128, v124, v136
	v_cmp_eq_u32_e32 vcc_lo, 22, v129
	s_delay_alu instid0(VALU_DEP_2) | instskip(SKIP_1) | instid1(SALU_CYCLE_1)
	v_dual_mov_b32 v124, s8 :: v_dual_fmac_f32 v128, v130, v137
	s_or_b32 s6, vcc_lo, s6
	s_and_not1_b32 exec_lo, exec_lo, s6
	s_cbranch_execnz .LBB92_201
; %bb.202:
	s_or_b32 exec_lo, exec_lo, s6
.LBB92_203:
	s_delay_alu instid0(SALU_CYCLE_1) | instskip(SKIP_3) | instid1(VALU_DEP_1)
	s_or_b32 exec_lo, exec_lo, s1
	v_and_b32_e32 v63, 7, v125
	s_mov_b32 s2, 0
	s_mov_b32 s1, exec_lo
	v_cmpx_ne_u32_e32 0, v63
	s_cbranch_execz .LBB92_207
; %bb.204:
	v_lshl_add_u32 v64, v124, 2, 0x80
	v_mov_b32_e32 v125, 0
.LBB92_205:                             ; =>This Inner Loop Header: Depth=1
	v_cmp_eq_u32_e32 vcc_lo, 1, v124
	ds_load_b32 v126, v64
	v_dual_add_nc_u32 v64, 4, v64 :: v_dual_add_nc_u32 v63, -1, v63
	v_cndmask_b32_e32 v65, v34, v35, vcc_lo
	v_cmp_eq_u32_e32 vcc_lo, 2, v124
	s_delay_alu instid0(VALU_DEP_2) | instskip(SKIP_1) | instid1(VALU_DEP_2)
	v_cndmask_b32_e32 v65, v65, v36, vcc_lo
	v_cmp_eq_u32_e32 vcc_lo, 3, v124
	v_cndmask_b32_e32 v65, v65, v37, vcc_lo
	v_cmp_eq_u32_e32 vcc_lo, 4, v124
	s_delay_alu instid0(VALU_DEP_2) | instskip(SKIP_1) | instid1(VALU_DEP_2)
	v_cndmask_b32_e32 v65, v65, v38, vcc_lo
	v_cmp_eq_u32_e32 vcc_lo, 5, v124
	;; [unrolled: 5-line block ×13, first 2 shown]
	v_cndmask_b32_e32 v65, v65, v61, vcc_lo
	v_cmp_eq_u32_e32 vcc_lo, 28, v124
	v_add_nc_u64_e32 v[124:125], 1, v[124:125]
	s_delay_alu instid0(VALU_DEP_3) | instskip(SKIP_2) | instid1(VALU_DEP_2)
	v_cndmask_b32_e32 v65, v65, v62, vcc_lo
	v_cmp_eq_u32_e32 vcc_lo, 0, v63
	s_wait_dscnt 0x0
	v_fmac_f32_e32 v128, v65, v126
	s_or_b32 s2, vcc_lo, s2
	s_delay_alu instid0(SALU_CYCLE_1)
	s_and_not1_b32 exec_lo, exec_lo, s2
	s_cbranch_execnz .LBB92_205
; %bb.206:
	s_or_b32 exec_lo, exec_lo, s2
.LBB92_207:
	s_delay_alu instid0(SALU_CYCLE_1)
	s_or_b32 exec_lo, exec_lo, s1
.LBB92_208:
	s_delay_alu instid0(SALU_CYCLE_1)
	s_or_b32 exec_lo, exec_lo, s5
	v_mov_b32_e32 v48, 0
	ds_load_b32 v48, v48 offset:56
	s_wait_dscnt 0x0
	v_mul_f32_e32 v48, v128, v48
.LBB92_209:
	s_or_b32 exec_lo, exec_lo, s4
	v_cmp_lt_u32_e64 s1, 13, v0
	ds_store_b32 v127, v47
	s_wait_dscnt 0x0
	s_barrier_signal -1
	s_barrier_wait -1
	s_and_saveexec_b32 s4, s1
	s_cbranch_execz .LBB92_225
; %bb.210:
	s_and_not1_b32 vcc_lo, exec_lo, s29
	s_cbranch_vccnz .LBB92_212
; %bb.211:
	v_cmp_eq_u32_e32 vcc_lo, 1, v0
	ds_load_b32 v125, v127
	v_cndmask_b32_e32 v124, v34, v35, vcc_lo
	v_cmp_eq_u32_e32 vcc_lo, 2, v0
	s_delay_alu instid0(VALU_DEP_2) | instskip(SKIP_1) | instid1(VALU_DEP_2)
	v_cndmask_b32_e32 v124, v124, v36, vcc_lo
	v_cmp_eq_u32_e32 vcc_lo, 3, v0
	v_cndmask_b32_e32 v124, v124, v37, vcc_lo
	v_cmp_eq_u32_e32 vcc_lo, 4, v0
	s_delay_alu instid0(VALU_DEP_2) | instskip(SKIP_1) | instid1(VALU_DEP_2)
	v_cndmask_b32_e32 v124, v124, v38, vcc_lo
	v_cmp_eq_u32_e32 vcc_lo, 5, v0
	;; [unrolled: 5-line block ×13, first 2 shown]
	v_cndmask_b32_e32 v124, v124, v61, vcc_lo
	v_cmp_eq_u32_e32 vcc_lo, 28, v0
	s_delay_alu instid0(VALU_DEP_2) | instskip(SKIP_1) | instid1(VALU_DEP_1)
	v_cndmask_b32_e32 v124, v124, v62, vcc_lo
	s_wait_dscnt 0x0
	v_mul_f32_e32 v128, v124, v125
	s_cbranch_execz .LBB92_213
	s_branch .LBB92_214
.LBB92_212:
                                        ; implicit-def: $vgpr128
.LBB92_213:
	ds_load_b32 v128, v127
.LBB92_214:
	s_and_saveexec_b32 s5, s0
	s_cbranch_execz .LBB92_224
; %bb.215:
	v_dual_add_nc_u32 v124, -15, v0 :: v_dual_add_nc_u32 v125, -14, v0
	s_delay_alu instid0(VALU_DEP_1)
	v_cmp_lt_u32_e32 vcc_lo, 6, v124
	v_mov_b32_e32 v124, 14
	s_and_saveexec_b32 s0, vcc_lo
	s_cbranch_execz .LBB92_219
; %bb.216:
	v_and_b32_e32 v124, -8, v125
	s_mov_b32 s6, 0
	s_mov_b64 s[2:3], 21
	s_movk_i32 s7, 0xb8
	s_delay_alu instid0(VALU_DEP_1)
	v_sub_nc_u32_e32 v126, 0, v124
.LBB92_217:                             ; =>This Inner Loop Header: Depth=1
	s_add_co_i32 m0, s2, -7
	v_movrels_b32_e32 v129, v34
	v_mov_b32_e32 v124, s7
	s_add_co_i32 m0, s2, -6
	s_add_co_i32 s7, s7, 32
	v_movrels_b32_e32 v138, v34
	s_add_co_i32 m0, s2, -5
	ds_load_2addr_b64 v[130:133], v124 offset1:1
	ds_load_2addr_b64 v[134:137], v124 offset0:2 offset1:3
	v_movrels_b32_e32 v124, v34
	s_add_co_i32 m0, s2, -4
	s_wait_dscnt 0x1
	v_fmac_f32_e32 v128, v129, v130
	v_movrels_b32_e32 v129, v34
	s_add_co_i32 m0, s2, -3
	s_delay_alu instid0(VALU_DEP_2) | instskip(NEXT) | instid1(VALU_DEP_1)
	v_fmac_f32_e32 v128, v138, v131
	v_fmac_f32_e32 v128, v124, v132
	v_movrels_b32_e32 v124, v34
	s_add_co_i32 m0, s2, -2
	s_delay_alu instid0(VALU_DEP_2) | instskip(SKIP_3) | instid1(VALU_DEP_2)
	v_fmac_f32_e32 v128, v129, v133
	v_movrels_b32_e32 v129, v34
	s_add_co_i32 m0, s2, -1
	s_wait_dscnt 0x0
	v_fmac_f32_e32 v128, v124, v134
	v_movrels_b32_e32 v124, v34
	s_mov_b32 m0, s2
	s_add_nc_u64 s[2:3], s[2:3], 8
	v_movrels_b32_e32 v130, v34
	v_dual_fmac_f32 v128, v129, v135 :: v_dual_add_nc_u32 v129, s2, v126
	s_add_co_i32 s8, s2, -7
	s_delay_alu instid0(VALU_DEP_1) | instskip(NEXT) | instid1(VALU_DEP_2)
	v_fmac_f32_e32 v128, v124, v136
	v_cmp_eq_u32_e32 vcc_lo, 21, v129
	s_delay_alu instid0(VALU_DEP_2) | instskip(SKIP_1) | instid1(SALU_CYCLE_1)
	v_dual_mov_b32 v124, s8 :: v_dual_fmac_f32 v128, v130, v137
	s_or_b32 s6, vcc_lo, s6
	s_and_not1_b32 exec_lo, exec_lo, s6
	s_cbranch_execnz .LBB92_217
; %bb.218:
	s_or_b32 exec_lo, exec_lo, s6
.LBB92_219:
	s_delay_alu instid0(SALU_CYCLE_1) | instskip(SKIP_3) | instid1(VALU_DEP_1)
	s_or_b32 exec_lo, exec_lo, s0
	v_and_b32_e32 v63, 7, v125
	s_mov_b32 s2, 0
	s_mov_b32 s0, exec_lo
	v_cmpx_ne_u32_e32 0, v63
	s_cbranch_execz .LBB92_223
; %bb.220:
	v_lshl_add_u32 v64, v124, 2, 0x80
	v_mov_b32_e32 v125, 0
.LBB92_221:                             ; =>This Inner Loop Header: Depth=1
	v_cmp_eq_u32_e32 vcc_lo, 1, v124
	ds_load_b32 v126, v64
	v_dual_add_nc_u32 v64, 4, v64 :: v_dual_add_nc_u32 v63, -1, v63
	v_cndmask_b32_e32 v65, v34, v35, vcc_lo
	v_cmp_eq_u32_e32 vcc_lo, 2, v124
	s_delay_alu instid0(VALU_DEP_2) | instskip(SKIP_1) | instid1(VALU_DEP_2)
	v_cndmask_b32_e32 v65, v65, v36, vcc_lo
	v_cmp_eq_u32_e32 vcc_lo, 3, v124
	v_cndmask_b32_e32 v65, v65, v37, vcc_lo
	v_cmp_eq_u32_e32 vcc_lo, 4, v124
	s_delay_alu instid0(VALU_DEP_2) | instskip(SKIP_1) | instid1(VALU_DEP_2)
	v_cndmask_b32_e32 v65, v65, v38, vcc_lo
	v_cmp_eq_u32_e32 vcc_lo, 5, v124
	;; [unrolled: 5-line block ×13, first 2 shown]
	v_cndmask_b32_e32 v65, v65, v61, vcc_lo
	v_cmp_eq_u32_e32 vcc_lo, 28, v124
	v_add_nc_u64_e32 v[124:125], 1, v[124:125]
	s_delay_alu instid0(VALU_DEP_3) | instskip(SKIP_2) | instid1(VALU_DEP_2)
	v_cndmask_b32_e32 v65, v65, v62, vcc_lo
	v_cmp_eq_u32_e32 vcc_lo, 0, v63
	s_wait_dscnt 0x0
	v_fmac_f32_e32 v128, v65, v126
	s_or_b32 s2, vcc_lo, s2
	s_delay_alu instid0(SALU_CYCLE_1)
	s_and_not1_b32 exec_lo, exec_lo, s2
	s_cbranch_execnz .LBB92_221
; %bb.222:
	s_or_b32 exec_lo, exec_lo, s2
.LBB92_223:
	s_delay_alu instid0(SALU_CYCLE_1)
	s_or_b32 exec_lo, exec_lo, s0
.LBB92_224:
	s_delay_alu instid0(SALU_CYCLE_1)
	s_or_b32 exec_lo, exec_lo, s5
	v_mov_b32_e32 v47, 0
	ds_load_b32 v47, v47 offset:52
	s_wait_dscnt 0x0
	v_mul_f32_e32 v47, v128, v47
.LBB92_225:
	s_or_b32 exec_lo, exec_lo, s4
	v_cmp_lt_u32_e64 s0, 12, v0
	ds_store_b32 v127, v46
	s_wait_dscnt 0x0
	s_barrier_signal -1
	s_barrier_wait -1
	s_and_saveexec_b32 s4, s0
	s_cbranch_execz .LBB92_241
; %bb.226:
	s_and_not1_b32 vcc_lo, exec_lo, s29
	s_cbranch_vccnz .LBB92_228
; %bb.227:
	v_cmp_eq_u32_e32 vcc_lo, 1, v0
	ds_load_b32 v125, v127
	v_cndmask_b32_e32 v124, v34, v35, vcc_lo
	v_cmp_eq_u32_e32 vcc_lo, 2, v0
	s_delay_alu instid0(VALU_DEP_2) | instskip(SKIP_1) | instid1(VALU_DEP_2)
	v_cndmask_b32_e32 v124, v124, v36, vcc_lo
	v_cmp_eq_u32_e32 vcc_lo, 3, v0
	v_cndmask_b32_e32 v124, v124, v37, vcc_lo
	v_cmp_eq_u32_e32 vcc_lo, 4, v0
	s_delay_alu instid0(VALU_DEP_2) | instskip(SKIP_1) | instid1(VALU_DEP_2)
	v_cndmask_b32_e32 v124, v124, v38, vcc_lo
	v_cmp_eq_u32_e32 vcc_lo, 5, v0
	;; [unrolled: 5-line block ×13, first 2 shown]
	v_cndmask_b32_e32 v124, v124, v61, vcc_lo
	v_cmp_eq_u32_e32 vcc_lo, 28, v0
	s_delay_alu instid0(VALU_DEP_2) | instskip(SKIP_1) | instid1(VALU_DEP_1)
	v_cndmask_b32_e32 v124, v124, v62, vcc_lo
	s_wait_dscnt 0x0
	v_mul_f32_e32 v128, v124, v125
	s_cbranch_execz .LBB92_229
	s_branch .LBB92_230
.LBB92_228:
                                        ; implicit-def: $vgpr128
.LBB92_229:
	ds_load_b32 v128, v127
.LBB92_230:
	s_and_saveexec_b32 s5, s1
	s_cbranch_execz .LBB92_240
; %bb.231:
	v_dual_add_nc_u32 v124, -14, v0 :: v_dual_add_nc_u32 v125, -13, v0
	s_delay_alu instid0(VALU_DEP_1)
	v_cmp_lt_u32_e32 vcc_lo, 6, v124
	v_mov_b32_e32 v124, 13
	s_and_saveexec_b32 s1, vcc_lo
	s_cbranch_execz .LBB92_235
; %bb.232:
	v_and_b32_e32 v124, -8, v125
	s_mov_b32 s6, 0
	s_mov_b64 s[2:3], 20
	s_movk_i32 s7, 0xb4
	s_delay_alu instid0(VALU_DEP_1)
	v_sub_nc_u32_e32 v126, 0, v124
.LBB92_233:                             ; =>This Inner Loop Header: Depth=1
	s_add_co_i32 m0, s2, -7
	v_movrels_b32_e32 v129, v34
	v_mov_b32_e32 v124, s7
	s_add_co_i32 m0, s2, -6
	s_add_co_i32 s7, s7, 32
	v_movrels_b32_e32 v138, v34
	ds_load_2addr_b32 v[130:131], v124 offset1:1
	ds_load_2addr_b32 v[132:133], v124 offset0:2 offset1:3
	s_add_co_i32 m0, s2, -5
	s_wait_dscnt 0x1
	v_fmac_f32_e32 v128, v129, v130
	ds_load_2addr_b32 v[134:135], v124 offset0:4 offset1:5
	ds_load_2addr_b32 v[136:137], v124 offset0:6 offset1:7
	v_movrels_b32_e32 v124, v34
	s_add_co_i32 m0, s2, -4
	v_fmac_f32_e32 v128, v138, v131
	v_movrels_b32_e32 v129, v34
	s_add_co_i32 m0, s2, -3
	s_wait_dscnt 0x2
	s_delay_alu instid0(VALU_DEP_2) | instskip(SKIP_2) | instid1(VALU_DEP_2)
	v_fmac_f32_e32 v128, v124, v132
	v_movrels_b32_e32 v124, v34
	s_add_co_i32 m0, s2, -2
	v_fmac_f32_e32 v128, v129, v133
	v_movrels_b32_e32 v129, v34
	s_add_co_i32 m0, s2, -1
	s_wait_dscnt 0x1
	s_delay_alu instid0(VALU_DEP_2)
	v_fmac_f32_e32 v128, v124, v134
	v_movrels_b32_e32 v124, v34
	s_mov_b32 m0, s2
	s_add_nc_u64 s[2:3], s[2:3], 8
	v_movrels_b32_e32 v130, v34
	v_dual_fmac_f32 v128, v129, v135 :: v_dual_add_nc_u32 v129, s2, v126
	s_add_co_i32 s8, s2, -7
	s_wait_dscnt 0x0
	s_delay_alu instid0(VALU_DEP_1) | instskip(NEXT) | instid1(VALU_DEP_2)
	v_fmac_f32_e32 v128, v124, v136
	v_cmp_eq_u32_e32 vcc_lo, 20, v129
	s_delay_alu instid0(VALU_DEP_2) | instskip(SKIP_1) | instid1(SALU_CYCLE_1)
	v_dual_mov_b32 v124, s8 :: v_dual_fmac_f32 v128, v130, v137
	s_or_b32 s6, vcc_lo, s6
	s_and_not1_b32 exec_lo, exec_lo, s6
	s_cbranch_execnz .LBB92_233
; %bb.234:
	s_or_b32 exec_lo, exec_lo, s6
.LBB92_235:
	s_delay_alu instid0(SALU_CYCLE_1) | instskip(SKIP_3) | instid1(VALU_DEP_1)
	s_or_b32 exec_lo, exec_lo, s1
	v_and_b32_e32 v63, 7, v125
	s_mov_b32 s2, 0
	s_mov_b32 s1, exec_lo
	v_cmpx_ne_u32_e32 0, v63
	s_cbranch_execz .LBB92_239
; %bb.236:
	v_lshl_add_u32 v64, v124, 2, 0x80
	v_mov_b32_e32 v125, 0
.LBB92_237:                             ; =>This Inner Loop Header: Depth=1
	v_cmp_eq_u32_e32 vcc_lo, 1, v124
	ds_load_b32 v126, v64
	v_dual_add_nc_u32 v64, 4, v64 :: v_dual_add_nc_u32 v63, -1, v63
	v_cndmask_b32_e32 v65, v34, v35, vcc_lo
	v_cmp_eq_u32_e32 vcc_lo, 2, v124
	s_delay_alu instid0(VALU_DEP_2) | instskip(SKIP_1) | instid1(VALU_DEP_2)
	v_cndmask_b32_e32 v65, v65, v36, vcc_lo
	v_cmp_eq_u32_e32 vcc_lo, 3, v124
	v_cndmask_b32_e32 v65, v65, v37, vcc_lo
	v_cmp_eq_u32_e32 vcc_lo, 4, v124
	s_delay_alu instid0(VALU_DEP_2) | instskip(SKIP_1) | instid1(VALU_DEP_2)
	v_cndmask_b32_e32 v65, v65, v38, vcc_lo
	v_cmp_eq_u32_e32 vcc_lo, 5, v124
	;; [unrolled: 5-line block ×13, first 2 shown]
	v_cndmask_b32_e32 v65, v65, v61, vcc_lo
	v_cmp_eq_u32_e32 vcc_lo, 28, v124
	v_add_nc_u64_e32 v[124:125], 1, v[124:125]
	s_delay_alu instid0(VALU_DEP_3) | instskip(SKIP_2) | instid1(VALU_DEP_2)
	v_cndmask_b32_e32 v65, v65, v62, vcc_lo
	v_cmp_eq_u32_e32 vcc_lo, 0, v63
	s_wait_dscnt 0x0
	v_fmac_f32_e32 v128, v65, v126
	s_or_b32 s2, vcc_lo, s2
	s_delay_alu instid0(SALU_CYCLE_1)
	s_and_not1_b32 exec_lo, exec_lo, s2
	s_cbranch_execnz .LBB92_237
; %bb.238:
	s_or_b32 exec_lo, exec_lo, s2
.LBB92_239:
	s_delay_alu instid0(SALU_CYCLE_1)
	s_or_b32 exec_lo, exec_lo, s1
.LBB92_240:
	s_delay_alu instid0(SALU_CYCLE_1)
	s_or_b32 exec_lo, exec_lo, s5
	v_mov_b32_e32 v46, 0
	ds_load_b32 v46, v46 offset:48
	s_wait_dscnt 0x0
	v_mul_f32_e32 v46, v128, v46
.LBB92_241:
	s_or_b32 exec_lo, exec_lo, s4
	v_cmp_lt_u32_e64 s1, 11, v0
	ds_store_b32 v127, v45
	s_wait_dscnt 0x0
	s_barrier_signal -1
	s_barrier_wait -1
	s_and_saveexec_b32 s4, s1
	s_cbranch_execz .LBB92_257
; %bb.242:
	s_and_not1_b32 vcc_lo, exec_lo, s29
	s_cbranch_vccnz .LBB92_244
; %bb.243:
	v_cmp_eq_u32_e32 vcc_lo, 1, v0
	ds_load_b32 v125, v127
	v_cndmask_b32_e32 v124, v34, v35, vcc_lo
	v_cmp_eq_u32_e32 vcc_lo, 2, v0
	s_delay_alu instid0(VALU_DEP_2) | instskip(SKIP_1) | instid1(VALU_DEP_2)
	v_cndmask_b32_e32 v124, v124, v36, vcc_lo
	v_cmp_eq_u32_e32 vcc_lo, 3, v0
	v_cndmask_b32_e32 v124, v124, v37, vcc_lo
	v_cmp_eq_u32_e32 vcc_lo, 4, v0
	s_delay_alu instid0(VALU_DEP_2) | instskip(SKIP_1) | instid1(VALU_DEP_2)
	v_cndmask_b32_e32 v124, v124, v38, vcc_lo
	v_cmp_eq_u32_e32 vcc_lo, 5, v0
	;; [unrolled: 5-line block ×13, first 2 shown]
	v_cndmask_b32_e32 v124, v124, v61, vcc_lo
	v_cmp_eq_u32_e32 vcc_lo, 28, v0
	s_delay_alu instid0(VALU_DEP_2) | instskip(SKIP_1) | instid1(VALU_DEP_1)
	v_cndmask_b32_e32 v124, v124, v62, vcc_lo
	s_wait_dscnt 0x0
	v_mul_f32_e32 v128, v124, v125
	s_cbranch_execz .LBB92_245
	s_branch .LBB92_246
.LBB92_244:
                                        ; implicit-def: $vgpr128
.LBB92_245:
	ds_load_b32 v128, v127
.LBB92_246:
	s_and_saveexec_b32 s5, s0
	s_cbranch_execz .LBB92_256
; %bb.247:
	v_dual_add_nc_u32 v124, -13, v0 :: v_dual_add_nc_u32 v125, -12, v0
	s_delay_alu instid0(VALU_DEP_1)
	v_cmp_lt_u32_e32 vcc_lo, 6, v124
	v_mov_b32_e32 v124, 12
	s_and_saveexec_b32 s0, vcc_lo
	s_cbranch_execz .LBB92_251
; %bb.248:
	v_and_b32_e32 v124, -8, v125
	s_mov_b32 s6, 0
	s_mov_b64 s[2:3], 19
	s_movk_i32 s7, 0xb0
	s_delay_alu instid0(VALU_DEP_1)
	v_sub_nc_u32_e32 v126, 0, v124
.LBB92_249:                             ; =>This Inner Loop Header: Depth=1
	s_add_co_i32 m0, s2, -7
	v_movrels_b32_e32 v129, v34
	v_mov_b32_e32 v124, s7
	s_add_co_i32 m0, s2, -6
	s_add_co_i32 s7, s7, 32
	v_movrels_b32_e32 v138, v34
	s_add_co_i32 m0, s2, -5
	ds_load_b128 v[130:133], v124
	ds_load_b128 v[134:137], v124 offset:16
	v_movrels_b32_e32 v124, v34
	s_add_co_i32 m0, s2, -4
	s_wait_dscnt 0x1
	v_fmac_f32_e32 v128, v129, v130
	v_movrels_b32_e32 v129, v34
	s_add_co_i32 m0, s2, -3
	s_delay_alu instid0(VALU_DEP_2) | instskip(NEXT) | instid1(VALU_DEP_1)
	v_fmac_f32_e32 v128, v138, v131
	v_fmac_f32_e32 v128, v124, v132
	v_movrels_b32_e32 v124, v34
	s_add_co_i32 m0, s2, -2
	s_delay_alu instid0(VALU_DEP_2) | instskip(SKIP_3) | instid1(VALU_DEP_2)
	v_fmac_f32_e32 v128, v129, v133
	v_movrels_b32_e32 v129, v34
	s_add_co_i32 m0, s2, -1
	s_wait_dscnt 0x0
	v_fmac_f32_e32 v128, v124, v134
	v_movrels_b32_e32 v124, v34
	s_mov_b32 m0, s2
	s_add_nc_u64 s[2:3], s[2:3], 8
	v_movrels_b32_e32 v130, v34
	v_dual_fmac_f32 v128, v129, v135 :: v_dual_add_nc_u32 v129, s2, v126
	s_add_co_i32 s8, s2, -7
	s_delay_alu instid0(VALU_DEP_1) | instskip(NEXT) | instid1(VALU_DEP_2)
	v_fmac_f32_e32 v128, v124, v136
	v_cmp_eq_u32_e32 vcc_lo, 19, v129
	s_delay_alu instid0(VALU_DEP_2) | instskip(SKIP_1) | instid1(SALU_CYCLE_1)
	v_dual_mov_b32 v124, s8 :: v_dual_fmac_f32 v128, v130, v137
	s_or_b32 s6, vcc_lo, s6
	s_and_not1_b32 exec_lo, exec_lo, s6
	s_cbranch_execnz .LBB92_249
; %bb.250:
	s_or_b32 exec_lo, exec_lo, s6
.LBB92_251:
	s_delay_alu instid0(SALU_CYCLE_1) | instskip(SKIP_3) | instid1(VALU_DEP_1)
	s_or_b32 exec_lo, exec_lo, s0
	v_and_b32_e32 v63, 7, v125
	s_mov_b32 s2, 0
	s_mov_b32 s0, exec_lo
	v_cmpx_ne_u32_e32 0, v63
	s_cbranch_execz .LBB92_255
; %bb.252:
	v_lshl_add_u32 v64, v124, 2, 0x80
	v_mov_b32_e32 v125, 0
.LBB92_253:                             ; =>This Inner Loop Header: Depth=1
	v_cmp_eq_u32_e32 vcc_lo, 1, v124
	ds_load_b32 v126, v64
	v_dual_add_nc_u32 v64, 4, v64 :: v_dual_add_nc_u32 v63, -1, v63
	v_cndmask_b32_e32 v65, v34, v35, vcc_lo
	v_cmp_eq_u32_e32 vcc_lo, 2, v124
	s_delay_alu instid0(VALU_DEP_2) | instskip(SKIP_1) | instid1(VALU_DEP_2)
	v_cndmask_b32_e32 v65, v65, v36, vcc_lo
	v_cmp_eq_u32_e32 vcc_lo, 3, v124
	v_cndmask_b32_e32 v65, v65, v37, vcc_lo
	v_cmp_eq_u32_e32 vcc_lo, 4, v124
	s_delay_alu instid0(VALU_DEP_2) | instskip(SKIP_1) | instid1(VALU_DEP_2)
	v_cndmask_b32_e32 v65, v65, v38, vcc_lo
	v_cmp_eq_u32_e32 vcc_lo, 5, v124
	;; [unrolled: 5-line block ×13, first 2 shown]
	v_cndmask_b32_e32 v65, v65, v61, vcc_lo
	v_cmp_eq_u32_e32 vcc_lo, 28, v124
	v_add_nc_u64_e32 v[124:125], 1, v[124:125]
	s_delay_alu instid0(VALU_DEP_3) | instskip(SKIP_2) | instid1(VALU_DEP_2)
	v_cndmask_b32_e32 v65, v65, v62, vcc_lo
	v_cmp_eq_u32_e32 vcc_lo, 0, v63
	s_wait_dscnt 0x0
	v_fmac_f32_e32 v128, v65, v126
	s_or_b32 s2, vcc_lo, s2
	s_delay_alu instid0(SALU_CYCLE_1)
	s_and_not1_b32 exec_lo, exec_lo, s2
	s_cbranch_execnz .LBB92_253
; %bb.254:
	s_or_b32 exec_lo, exec_lo, s2
.LBB92_255:
	s_delay_alu instid0(SALU_CYCLE_1)
	s_or_b32 exec_lo, exec_lo, s0
.LBB92_256:
	s_delay_alu instid0(SALU_CYCLE_1)
	s_or_b32 exec_lo, exec_lo, s5
	v_mov_b32_e32 v45, 0
	ds_load_b32 v45, v45 offset:44
	s_wait_dscnt 0x0
	v_mul_f32_e32 v45, v128, v45
.LBB92_257:
	s_or_b32 exec_lo, exec_lo, s4
	v_cmp_lt_u32_e64 s0, 10, v0
	ds_store_b32 v127, v44
	s_wait_dscnt 0x0
	s_barrier_signal -1
	s_barrier_wait -1
	s_and_saveexec_b32 s4, s0
	s_cbranch_execz .LBB92_273
; %bb.258:
	s_and_not1_b32 vcc_lo, exec_lo, s29
	s_cbranch_vccnz .LBB92_260
; %bb.259:
	v_cmp_eq_u32_e32 vcc_lo, 1, v0
	ds_load_b32 v125, v127
	v_cndmask_b32_e32 v124, v34, v35, vcc_lo
	v_cmp_eq_u32_e32 vcc_lo, 2, v0
	s_delay_alu instid0(VALU_DEP_2) | instskip(SKIP_1) | instid1(VALU_DEP_2)
	v_cndmask_b32_e32 v124, v124, v36, vcc_lo
	v_cmp_eq_u32_e32 vcc_lo, 3, v0
	v_cndmask_b32_e32 v124, v124, v37, vcc_lo
	v_cmp_eq_u32_e32 vcc_lo, 4, v0
	s_delay_alu instid0(VALU_DEP_2) | instskip(SKIP_1) | instid1(VALU_DEP_2)
	v_cndmask_b32_e32 v124, v124, v38, vcc_lo
	v_cmp_eq_u32_e32 vcc_lo, 5, v0
	;; [unrolled: 5-line block ×13, first 2 shown]
	v_cndmask_b32_e32 v124, v124, v61, vcc_lo
	v_cmp_eq_u32_e32 vcc_lo, 28, v0
	s_delay_alu instid0(VALU_DEP_2) | instskip(SKIP_1) | instid1(VALU_DEP_1)
	v_cndmask_b32_e32 v124, v124, v62, vcc_lo
	s_wait_dscnt 0x0
	v_mul_f32_e32 v128, v124, v125
	s_cbranch_execz .LBB92_261
	s_branch .LBB92_262
.LBB92_260:
                                        ; implicit-def: $vgpr128
.LBB92_261:
	ds_load_b32 v128, v127
.LBB92_262:
	s_and_saveexec_b32 s5, s1
	s_cbranch_execz .LBB92_272
; %bb.263:
	v_dual_add_nc_u32 v124, -12, v0 :: v_dual_add_nc_u32 v125, -11, v0
	s_delay_alu instid0(VALU_DEP_1)
	v_cmp_lt_u32_e32 vcc_lo, 6, v124
	v_mov_b32_e32 v124, 11
	s_and_saveexec_b32 s1, vcc_lo
	s_cbranch_execz .LBB92_267
; %bb.264:
	v_and_b32_e32 v124, -8, v125
	s_mov_b32 s6, 0
	s_mov_b64 s[2:3], 18
	s_movk_i32 s7, 0xac
	s_delay_alu instid0(VALU_DEP_1)
	v_sub_nc_u32_e32 v126, 0, v124
.LBB92_265:                             ; =>This Inner Loop Header: Depth=1
	s_add_co_i32 m0, s2, -7
	v_movrels_b32_e32 v129, v34
	v_mov_b32_e32 v124, s7
	s_add_co_i32 m0, s2, -6
	s_add_co_i32 s7, s7, 32
	v_movrels_b32_e32 v138, v34
	ds_load_2addr_b32 v[130:131], v124 offset1:1
	ds_load_2addr_b32 v[132:133], v124 offset0:2 offset1:3
	s_add_co_i32 m0, s2, -5
	s_wait_dscnt 0x1
	v_fmac_f32_e32 v128, v129, v130
	ds_load_2addr_b32 v[134:135], v124 offset0:4 offset1:5
	ds_load_2addr_b32 v[136:137], v124 offset0:6 offset1:7
	v_movrels_b32_e32 v124, v34
	s_add_co_i32 m0, s2, -4
	v_fmac_f32_e32 v128, v138, v131
	v_movrels_b32_e32 v129, v34
	s_add_co_i32 m0, s2, -3
	s_wait_dscnt 0x2
	s_delay_alu instid0(VALU_DEP_2) | instskip(SKIP_2) | instid1(VALU_DEP_2)
	v_fmac_f32_e32 v128, v124, v132
	v_movrels_b32_e32 v124, v34
	s_add_co_i32 m0, s2, -2
	v_fmac_f32_e32 v128, v129, v133
	v_movrels_b32_e32 v129, v34
	s_add_co_i32 m0, s2, -1
	s_wait_dscnt 0x1
	s_delay_alu instid0(VALU_DEP_2)
	v_fmac_f32_e32 v128, v124, v134
	v_movrels_b32_e32 v124, v34
	s_mov_b32 m0, s2
	s_add_nc_u64 s[2:3], s[2:3], 8
	v_movrels_b32_e32 v130, v34
	v_dual_fmac_f32 v128, v129, v135 :: v_dual_add_nc_u32 v129, s2, v126
	s_add_co_i32 s8, s2, -7
	s_wait_dscnt 0x0
	s_delay_alu instid0(VALU_DEP_1) | instskip(NEXT) | instid1(VALU_DEP_2)
	v_fmac_f32_e32 v128, v124, v136
	v_cmp_eq_u32_e32 vcc_lo, 18, v129
	s_delay_alu instid0(VALU_DEP_2) | instskip(SKIP_1) | instid1(SALU_CYCLE_1)
	v_dual_mov_b32 v124, s8 :: v_dual_fmac_f32 v128, v130, v137
	s_or_b32 s6, vcc_lo, s6
	s_and_not1_b32 exec_lo, exec_lo, s6
	s_cbranch_execnz .LBB92_265
; %bb.266:
	s_or_b32 exec_lo, exec_lo, s6
.LBB92_267:
	s_delay_alu instid0(SALU_CYCLE_1) | instskip(SKIP_3) | instid1(VALU_DEP_1)
	s_or_b32 exec_lo, exec_lo, s1
	v_and_b32_e32 v63, 7, v125
	s_mov_b32 s2, 0
	s_mov_b32 s1, exec_lo
	v_cmpx_ne_u32_e32 0, v63
	s_cbranch_execz .LBB92_271
; %bb.268:
	v_lshl_add_u32 v64, v124, 2, 0x80
	v_mov_b32_e32 v125, 0
.LBB92_269:                             ; =>This Inner Loop Header: Depth=1
	v_cmp_eq_u32_e32 vcc_lo, 1, v124
	ds_load_b32 v126, v64
	v_dual_add_nc_u32 v64, 4, v64 :: v_dual_add_nc_u32 v63, -1, v63
	v_cndmask_b32_e32 v65, v34, v35, vcc_lo
	v_cmp_eq_u32_e32 vcc_lo, 2, v124
	s_delay_alu instid0(VALU_DEP_2) | instskip(SKIP_1) | instid1(VALU_DEP_2)
	v_cndmask_b32_e32 v65, v65, v36, vcc_lo
	v_cmp_eq_u32_e32 vcc_lo, 3, v124
	v_cndmask_b32_e32 v65, v65, v37, vcc_lo
	v_cmp_eq_u32_e32 vcc_lo, 4, v124
	s_delay_alu instid0(VALU_DEP_2) | instskip(SKIP_1) | instid1(VALU_DEP_2)
	v_cndmask_b32_e32 v65, v65, v38, vcc_lo
	v_cmp_eq_u32_e32 vcc_lo, 5, v124
	;; [unrolled: 5-line block ×13, first 2 shown]
	v_cndmask_b32_e32 v65, v65, v61, vcc_lo
	v_cmp_eq_u32_e32 vcc_lo, 28, v124
	v_add_nc_u64_e32 v[124:125], 1, v[124:125]
	s_delay_alu instid0(VALU_DEP_3) | instskip(SKIP_2) | instid1(VALU_DEP_2)
	v_cndmask_b32_e32 v65, v65, v62, vcc_lo
	v_cmp_eq_u32_e32 vcc_lo, 0, v63
	s_wait_dscnt 0x0
	v_fmac_f32_e32 v128, v65, v126
	s_or_b32 s2, vcc_lo, s2
	s_delay_alu instid0(SALU_CYCLE_1)
	s_and_not1_b32 exec_lo, exec_lo, s2
	s_cbranch_execnz .LBB92_269
; %bb.270:
	s_or_b32 exec_lo, exec_lo, s2
.LBB92_271:
	s_delay_alu instid0(SALU_CYCLE_1)
	s_or_b32 exec_lo, exec_lo, s1
.LBB92_272:
	s_delay_alu instid0(SALU_CYCLE_1)
	s_or_b32 exec_lo, exec_lo, s5
	v_mov_b32_e32 v44, 0
	ds_load_b32 v44, v44 offset:40
	s_wait_dscnt 0x0
	v_mul_f32_e32 v44, v128, v44
.LBB92_273:
	s_or_b32 exec_lo, exec_lo, s4
	v_cmp_lt_u32_e64 s1, 9, v0
	ds_store_b32 v127, v43
	s_wait_dscnt 0x0
	s_barrier_signal -1
	s_barrier_wait -1
	s_and_saveexec_b32 s4, s1
	s_cbranch_execz .LBB92_289
; %bb.274:
	s_and_not1_b32 vcc_lo, exec_lo, s29
	s_cbranch_vccnz .LBB92_276
; %bb.275:
	v_cmp_eq_u32_e32 vcc_lo, 1, v0
	ds_load_b32 v125, v127
	v_cndmask_b32_e32 v124, v34, v35, vcc_lo
	v_cmp_eq_u32_e32 vcc_lo, 2, v0
	s_delay_alu instid0(VALU_DEP_2) | instskip(SKIP_1) | instid1(VALU_DEP_2)
	v_cndmask_b32_e32 v124, v124, v36, vcc_lo
	v_cmp_eq_u32_e32 vcc_lo, 3, v0
	v_cndmask_b32_e32 v124, v124, v37, vcc_lo
	v_cmp_eq_u32_e32 vcc_lo, 4, v0
	s_delay_alu instid0(VALU_DEP_2) | instskip(SKIP_1) | instid1(VALU_DEP_2)
	v_cndmask_b32_e32 v124, v124, v38, vcc_lo
	v_cmp_eq_u32_e32 vcc_lo, 5, v0
	;; [unrolled: 5-line block ×13, first 2 shown]
	v_cndmask_b32_e32 v124, v124, v61, vcc_lo
	v_cmp_eq_u32_e32 vcc_lo, 28, v0
	s_delay_alu instid0(VALU_DEP_2) | instskip(SKIP_1) | instid1(VALU_DEP_1)
	v_cndmask_b32_e32 v124, v124, v62, vcc_lo
	s_wait_dscnt 0x0
	v_mul_f32_e32 v128, v124, v125
	s_cbranch_execz .LBB92_277
	s_branch .LBB92_278
.LBB92_276:
                                        ; implicit-def: $vgpr128
.LBB92_277:
	ds_load_b32 v128, v127
.LBB92_278:
	s_and_saveexec_b32 s5, s0
	s_cbranch_execz .LBB92_288
; %bb.279:
	v_dual_add_nc_u32 v124, -11, v0 :: v_dual_add_nc_u32 v125, -10, v0
	s_delay_alu instid0(VALU_DEP_1)
	v_cmp_lt_u32_e32 vcc_lo, 6, v124
	v_mov_b32_e32 v124, 10
	s_and_saveexec_b32 s0, vcc_lo
	s_cbranch_execz .LBB92_283
; %bb.280:
	v_and_b32_e32 v124, -8, v125
	s_mov_b32 s6, 0
	s_mov_b64 s[2:3], 17
	s_movk_i32 s7, 0xa8
	s_delay_alu instid0(VALU_DEP_1)
	v_sub_nc_u32_e32 v126, 0, v124
.LBB92_281:                             ; =>This Inner Loop Header: Depth=1
	s_add_co_i32 m0, s2, -7
	v_movrels_b32_e32 v129, v34
	v_mov_b32_e32 v124, s7
	s_add_co_i32 m0, s2, -6
	s_add_co_i32 s7, s7, 32
	v_movrels_b32_e32 v138, v34
	s_add_co_i32 m0, s2, -5
	ds_load_2addr_b64 v[130:133], v124 offset1:1
	ds_load_2addr_b64 v[134:137], v124 offset0:2 offset1:3
	v_movrels_b32_e32 v124, v34
	s_add_co_i32 m0, s2, -4
	s_wait_dscnt 0x1
	v_fmac_f32_e32 v128, v129, v130
	v_movrels_b32_e32 v129, v34
	s_add_co_i32 m0, s2, -3
	s_delay_alu instid0(VALU_DEP_2) | instskip(NEXT) | instid1(VALU_DEP_1)
	v_fmac_f32_e32 v128, v138, v131
	v_fmac_f32_e32 v128, v124, v132
	v_movrels_b32_e32 v124, v34
	s_add_co_i32 m0, s2, -2
	s_delay_alu instid0(VALU_DEP_2) | instskip(SKIP_3) | instid1(VALU_DEP_2)
	v_fmac_f32_e32 v128, v129, v133
	v_movrels_b32_e32 v129, v34
	s_add_co_i32 m0, s2, -1
	s_wait_dscnt 0x0
	v_fmac_f32_e32 v128, v124, v134
	v_movrels_b32_e32 v124, v34
	s_mov_b32 m0, s2
	s_add_nc_u64 s[2:3], s[2:3], 8
	v_movrels_b32_e32 v130, v34
	v_dual_fmac_f32 v128, v129, v135 :: v_dual_add_nc_u32 v129, s2, v126
	s_add_co_i32 s8, s2, -7
	s_delay_alu instid0(VALU_DEP_1) | instskip(NEXT) | instid1(VALU_DEP_2)
	v_fmac_f32_e32 v128, v124, v136
	v_cmp_eq_u32_e32 vcc_lo, 17, v129
	s_delay_alu instid0(VALU_DEP_2) | instskip(SKIP_1) | instid1(SALU_CYCLE_1)
	v_dual_mov_b32 v124, s8 :: v_dual_fmac_f32 v128, v130, v137
	s_or_b32 s6, vcc_lo, s6
	s_and_not1_b32 exec_lo, exec_lo, s6
	s_cbranch_execnz .LBB92_281
; %bb.282:
	s_or_b32 exec_lo, exec_lo, s6
.LBB92_283:
	s_delay_alu instid0(SALU_CYCLE_1) | instskip(SKIP_3) | instid1(VALU_DEP_1)
	s_or_b32 exec_lo, exec_lo, s0
	v_and_b32_e32 v63, 7, v125
	s_mov_b32 s2, 0
	s_mov_b32 s0, exec_lo
	v_cmpx_ne_u32_e32 0, v63
	s_cbranch_execz .LBB92_287
; %bb.284:
	v_lshl_add_u32 v64, v124, 2, 0x80
	v_mov_b32_e32 v125, 0
.LBB92_285:                             ; =>This Inner Loop Header: Depth=1
	v_cmp_eq_u32_e32 vcc_lo, 1, v124
	ds_load_b32 v126, v64
	v_dual_add_nc_u32 v64, 4, v64 :: v_dual_add_nc_u32 v63, -1, v63
	v_cndmask_b32_e32 v65, v34, v35, vcc_lo
	v_cmp_eq_u32_e32 vcc_lo, 2, v124
	s_delay_alu instid0(VALU_DEP_2) | instskip(SKIP_1) | instid1(VALU_DEP_2)
	v_cndmask_b32_e32 v65, v65, v36, vcc_lo
	v_cmp_eq_u32_e32 vcc_lo, 3, v124
	v_cndmask_b32_e32 v65, v65, v37, vcc_lo
	v_cmp_eq_u32_e32 vcc_lo, 4, v124
	s_delay_alu instid0(VALU_DEP_2) | instskip(SKIP_1) | instid1(VALU_DEP_2)
	v_cndmask_b32_e32 v65, v65, v38, vcc_lo
	v_cmp_eq_u32_e32 vcc_lo, 5, v124
	;; [unrolled: 5-line block ×13, first 2 shown]
	v_cndmask_b32_e32 v65, v65, v61, vcc_lo
	v_cmp_eq_u32_e32 vcc_lo, 28, v124
	v_add_nc_u64_e32 v[124:125], 1, v[124:125]
	s_delay_alu instid0(VALU_DEP_3) | instskip(SKIP_2) | instid1(VALU_DEP_2)
	v_cndmask_b32_e32 v65, v65, v62, vcc_lo
	v_cmp_eq_u32_e32 vcc_lo, 0, v63
	s_wait_dscnt 0x0
	v_fmac_f32_e32 v128, v65, v126
	s_or_b32 s2, vcc_lo, s2
	s_delay_alu instid0(SALU_CYCLE_1)
	s_and_not1_b32 exec_lo, exec_lo, s2
	s_cbranch_execnz .LBB92_285
; %bb.286:
	s_or_b32 exec_lo, exec_lo, s2
.LBB92_287:
	s_delay_alu instid0(SALU_CYCLE_1)
	s_or_b32 exec_lo, exec_lo, s0
.LBB92_288:
	s_delay_alu instid0(SALU_CYCLE_1)
	s_or_b32 exec_lo, exec_lo, s5
	v_mov_b32_e32 v43, 0
	ds_load_b32 v43, v43 offset:36
	s_wait_dscnt 0x0
	v_mul_f32_e32 v43, v128, v43
.LBB92_289:
	s_or_b32 exec_lo, exec_lo, s4
	v_cmp_lt_u32_e64 s0, 8, v0
	ds_store_b32 v127, v42
	s_wait_dscnt 0x0
	s_barrier_signal -1
	s_barrier_wait -1
	s_and_saveexec_b32 s4, s0
	s_cbranch_execz .LBB92_305
; %bb.290:
	s_and_not1_b32 vcc_lo, exec_lo, s29
	s_cbranch_vccnz .LBB92_292
; %bb.291:
	v_cmp_eq_u32_e32 vcc_lo, 1, v0
	ds_load_b32 v125, v127
	v_cndmask_b32_e32 v124, v34, v35, vcc_lo
	v_cmp_eq_u32_e32 vcc_lo, 2, v0
	s_delay_alu instid0(VALU_DEP_2) | instskip(SKIP_1) | instid1(VALU_DEP_2)
	v_cndmask_b32_e32 v124, v124, v36, vcc_lo
	v_cmp_eq_u32_e32 vcc_lo, 3, v0
	v_cndmask_b32_e32 v124, v124, v37, vcc_lo
	v_cmp_eq_u32_e32 vcc_lo, 4, v0
	s_delay_alu instid0(VALU_DEP_2) | instskip(SKIP_1) | instid1(VALU_DEP_2)
	v_cndmask_b32_e32 v124, v124, v38, vcc_lo
	v_cmp_eq_u32_e32 vcc_lo, 5, v0
	v_cndmask_b32_e32 v124, v124, v39, vcc_lo
	v_cmp_eq_u32_e32 vcc_lo, 6, v0
	s_delay_alu instid0(VALU_DEP_2) | instskip(SKIP_1) | instid1(VALU_DEP_2)
	v_cndmask_b32_e32 v124, v124, v40, vcc_lo
	v_cmp_eq_u32_e32 vcc_lo, 7, v0
	v_cndmask_b32_e32 v124, v124, v41, vcc_lo
	v_cmp_eq_u32_e32 vcc_lo, 8, v0
	s_delay_alu instid0(VALU_DEP_2) | instskip(SKIP_1) | instid1(VALU_DEP_2)
	v_cndmask_b32_e32 v124, v124, v42, vcc_lo
	v_cmp_eq_u32_e32 vcc_lo, 9, v0
	v_cndmask_b32_e32 v124, v124, v43, vcc_lo
	v_cmp_eq_u32_e32 vcc_lo, 10, v0
	s_delay_alu instid0(VALU_DEP_2) | instskip(SKIP_1) | instid1(VALU_DEP_2)
	v_cndmask_b32_e32 v124, v124, v44, vcc_lo
	v_cmp_eq_u32_e32 vcc_lo, 11, v0
	v_cndmask_b32_e32 v124, v124, v45, vcc_lo
	v_cmp_eq_u32_e32 vcc_lo, 12, v0
	s_delay_alu instid0(VALU_DEP_2) | instskip(SKIP_1) | instid1(VALU_DEP_2)
	v_cndmask_b32_e32 v124, v124, v46, vcc_lo
	v_cmp_eq_u32_e32 vcc_lo, 13, v0
	v_cndmask_b32_e32 v124, v124, v47, vcc_lo
	v_cmp_eq_u32_e32 vcc_lo, 14, v0
	s_delay_alu instid0(VALU_DEP_2) | instskip(SKIP_1) | instid1(VALU_DEP_2)
	v_cndmask_b32_e32 v124, v124, v48, vcc_lo
	v_cmp_eq_u32_e32 vcc_lo, 15, v0
	v_cndmask_b32_e32 v124, v124, v49, vcc_lo
	v_cmp_eq_u32_e32 vcc_lo, 16, v0
	s_delay_alu instid0(VALU_DEP_2) | instskip(SKIP_1) | instid1(VALU_DEP_2)
	v_cndmask_b32_e32 v124, v124, v50, vcc_lo
	v_cmp_eq_u32_e32 vcc_lo, 17, v0
	v_cndmask_b32_e32 v124, v124, v51, vcc_lo
	v_cmp_eq_u32_e32 vcc_lo, 18, v0
	s_delay_alu instid0(VALU_DEP_2) | instskip(SKIP_1) | instid1(VALU_DEP_2)
	v_cndmask_b32_e32 v124, v124, v52, vcc_lo
	v_cmp_eq_u32_e32 vcc_lo, 19, v0
	v_cndmask_b32_e32 v124, v124, v53, vcc_lo
	v_cmp_eq_u32_e32 vcc_lo, 20, v0
	s_delay_alu instid0(VALU_DEP_2) | instskip(SKIP_1) | instid1(VALU_DEP_2)
	v_cndmask_b32_e32 v124, v124, v54, vcc_lo
	v_cmp_eq_u32_e32 vcc_lo, 21, v0
	v_cndmask_b32_e32 v124, v124, v55, vcc_lo
	v_cmp_eq_u32_e32 vcc_lo, 22, v0
	s_delay_alu instid0(VALU_DEP_2) | instskip(SKIP_1) | instid1(VALU_DEP_2)
	v_cndmask_b32_e32 v124, v124, v56, vcc_lo
	v_cmp_eq_u32_e32 vcc_lo, 23, v0
	v_cndmask_b32_e32 v124, v124, v57, vcc_lo
	v_cmp_eq_u32_e32 vcc_lo, 24, v0
	s_delay_alu instid0(VALU_DEP_2) | instskip(SKIP_1) | instid1(VALU_DEP_2)
	v_cndmask_b32_e32 v124, v124, v58, vcc_lo
	v_cmp_eq_u32_e32 vcc_lo, 25, v0
	v_cndmask_b32_e32 v124, v124, v59, vcc_lo
	v_cmp_eq_u32_e32 vcc_lo, 26, v0
	s_delay_alu instid0(VALU_DEP_2) | instskip(SKIP_1) | instid1(VALU_DEP_2)
	v_cndmask_b32_e32 v124, v124, v60, vcc_lo
	v_cmp_eq_u32_e32 vcc_lo, 27, v0
	v_cndmask_b32_e32 v124, v124, v61, vcc_lo
	v_cmp_eq_u32_e32 vcc_lo, 28, v0
	s_delay_alu instid0(VALU_DEP_2) | instskip(SKIP_1) | instid1(VALU_DEP_1)
	v_cndmask_b32_e32 v124, v124, v62, vcc_lo
	s_wait_dscnt 0x0
	v_mul_f32_e32 v128, v124, v125
	s_cbranch_execz .LBB92_293
	s_branch .LBB92_294
.LBB92_292:
                                        ; implicit-def: $vgpr128
.LBB92_293:
	ds_load_b32 v128, v127
.LBB92_294:
	s_and_saveexec_b32 s5, s1
	s_cbranch_execz .LBB92_304
; %bb.295:
	v_dual_add_nc_u32 v124, -10, v0 :: v_dual_add_nc_u32 v125, -9, v0
	s_delay_alu instid0(VALU_DEP_1)
	v_cmp_lt_u32_e32 vcc_lo, 6, v124
	v_mov_b32_e32 v124, 9
	s_and_saveexec_b32 s1, vcc_lo
	s_cbranch_execz .LBB92_299
; %bb.296:
	v_and_b32_e32 v124, -8, v125
	s_mov_b32 s6, 0
	s_mov_b64 s[2:3], 16
	s_movk_i32 s7, 0xa4
	s_delay_alu instid0(VALU_DEP_1)
	v_sub_nc_u32_e32 v126, 0, v124
.LBB92_297:                             ; =>This Inner Loop Header: Depth=1
	s_add_co_i32 m0, s2, -7
	v_movrels_b32_e32 v129, v34
	v_mov_b32_e32 v124, s7
	s_add_co_i32 m0, s2, -6
	s_add_co_i32 s7, s7, 32
	v_movrels_b32_e32 v138, v34
	ds_load_2addr_b32 v[130:131], v124 offset1:1
	ds_load_2addr_b32 v[132:133], v124 offset0:2 offset1:3
	s_add_co_i32 m0, s2, -5
	s_wait_dscnt 0x1
	v_fmac_f32_e32 v128, v129, v130
	ds_load_2addr_b32 v[134:135], v124 offset0:4 offset1:5
	ds_load_2addr_b32 v[136:137], v124 offset0:6 offset1:7
	v_movrels_b32_e32 v124, v34
	s_add_co_i32 m0, s2, -4
	v_fmac_f32_e32 v128, v138, v131
	v_movrels_b32_e32 v129, v34
	s_add_co_i32 m0, s2, -3
	s_wait_dscnt 0x2
	s_delay_alu instid0(VALU_DEP_2) | instskip(SKIP_2) | instid1(VALU_DEP_2)
	v_fmac_f32_e32 v128, v124, v132
	v_movrels_b32_e32 v124, v34
	s_add_co_i32 m0, s2, -2
	v_fmac_f32_e32 v128, v129, v133
	v_movrels_b32_e32 v129, v34
	s_add_co_i32 m0, s2, -1
	s_wait_dscnt 0x1
	s_delay_alu instid0(VALU_DEP_2)
	v_fmac_f32_e32 v128, v124, v134
	v_movrels_b32_e32 v124, v34
	s_mov_b32 m0, s2
	s_add_nc_u64 s[2:3], s[2:3], 8
	v_movrels_b32_e32 v130, v34
	v_dual_fmac_f32 v128, v129, v135 :: v_dual_add_nc_u32 v129, s2, v126
	s_add_co_i32 s8, s2, -7
	s_wait_dscnt 0x0
	s_delay_alu instid0(VALU_DEP_1) | instskip(NEXT) | instid1(VALU_DEP_2)
	v_fmac_f32_e32 v128, v124, v136
	v_cmp_eq_u32_e32 vcc_lo, 16, v129
	s_delay_alu instid0(VALU_DEP_2) | instskip(SKIP_1) | instid1(SALU_CYCLE_1)
	v_dual_mov_b32 v124, s8 :: v_dual_fmac_f32 v128, v130, v137
	s_or_b32 s6, vcc_lo, s6
	s_and_not1_b32 exec_lo, exec_lo, s6
	s_cbranch_execnz .LBB92_297
; %bb.298:
	s_or_b32 exec_lo, exec_lo, s6
.LBB92_299:
	s_delay_alu instid0(SALU_CYCLE_1) | instskip(SKIP_3) | instid1(VALU_DEP_1)
	s_or_b32 exec_lo, exec_lo, s1
	v_and_b32_e32 v63, 7, v125
	s_mov_b32 s2, 0
	s_mov_b32 s1, exec_lo
	v_cmpx_ne_u32_e32 0, v63
	s_cbranch_execz .LBB92_303
; %bb.300:
	v_lshl_add_u32 v64, v124, 2, 0x80
	v_mov_b32_e32 v125, 0
.LBB92_301:                             ; =>This Inner Loop Header: Depth=1
	v_cmp_eq_u32_e32 vcc_lo, 1, v124
	ds_load_b32 v126, v64
	v_dual_add_nc_u32 v64, 4, v64 :: v_dual_add_nc_u32 v63, -1, v63
	v_cndmask_b32_e32 v65, v34, v35, vcc_lo
	v_cmp_eq_u32_e32 vcc_lo, 2, v124
	s_delay_alu instid0(VALU_DEP_2) | instskip(SKIP_1) | instid1(VALU_DEP_2)
	v_cndmask_b32_e32 v65, v65, v36, vcc_lo
	v_cmp_eq_u32_e32 vcc_lo, 3, v124
	v_cndmask_b32_e32 v65, v65, v37, vcc_lo
	v_cmp_eq_u32_e32 vcc_lo, 4, v124
	s_delay_alu instid0(VALU_DEP_2) | instskip(SKIP_1) | instid1(VALU_DEP_2)
	v_cndmask_b32_e32 v65, v65, v38, vcc_lo
	v_cmp_eq_u32_e32 vcc_lo, 5, v124
	;; [unrolled: 5-line block ×13, first 2 shown]
	v_cndmask_b32_e32 v65, v65, v61, vcc_lo
	v_cmp_eq_u32_e32 vcc_lo, 28, v124
	v_add_nc_u64_e32 v[124:125], 1, v[124:125]
	s_delay_alu instid0(VALU_DEP_3) | instskip(SKIP_2) | instid1(VALU_DEP_2)
	v_cndmask_b32_e32 v65, v65, v62, vcc_lo
	v_cmp_eq_u32_e32 vcc_lo, 0, v63
	s_wait_dscnt 0x0
	v_fmac_f32_e32 v128, v65, v126
	s_or_b32 s2, vcc_lo, s2
	s_delay_alu instid0(SALU_CYCLE_1)
	s_and_not1_b32 exec_lo, exec_lo, s2
	s_cbranch_execnz .LBB92_301
; %bb.302:
	s_or_b32 exec_lo, exec_lo, s2
.LBB92_303:
	s_delay_alu instid0(SALU_CYCLE_1)
	s_or_b32 exec_lo, exec_lo, s1
.LBB92_304:
	s_delay_alu instid0(SALU_CYCLE_1)
	s_or_b32 exec_lo, exec_lo, s5
	v_mov_b32_e32 v42, 0
	ds_load_b32 v42, v42 offset:32
	s_wait_dscnt 0x0
	v_mul_f32_e32 v42, v128, v42
.LBB92_305:
	s_or_b32 exec_lo, exec_lo, s4
	v_cmp_lt_u32_e64 s1, 7, v0
	ds_store_b32 v127, v41
	s_wait_dscnt 0x0
	s_barrier_signal -1
	s_barrier_wait -1
	s_and_saveexec_b32 s4, s1
	s_cbranch_execz .LBB92_321
; %bb.306:
	s_and_not1_b32 vcc_lo, exec_lo, s29
	s_cbranch_vccnz .LBB92_308
; %bb.307:
	v_cmp_eq_u32_e32 vcc_lo, 1, v0
	ds_load_b32 v125, v127
	v_cndmask_b32_e32 v124, v34, v35, vcc_lo
	v_cmp_eq_u32_e32 vcc_lo, 2, v0
	s_delay_alu instid0(VALU_DEP_2) | instskip(SKIP_1) | instid1(VALU_DEP_2)
	v_cndmask_b32_e32 v124, v124, v36, vcc_lo
	v_cmp_eq_u32_e32 vcc_lo, 3, v0
	v_cndmask_b32_e32 v124, v124, v37, vcc_lo
	v_cmp_eq_u32_e32 vcc_lo, 4, v0
	s_delay_alu instid0(VALU_DEP_2) | instskip(SKIP_1) | instid1(VALU_DEP_2)
	v_cndmask_b32_e32 v124, v124, v38, vcc_lo
	v_cmp_eq_u32_e32 vcc_lo, 5, v0
	;; [unrolled: 5-line block ×13, first 2 shown]
	v_cndmask_b32_e32 v124, v124, v61, vcc_lo
	v_cmp_eq_u32_e32 vcc_lo, 28, v0
	s_delay_alu instid0(VALU_DEP_2) | instskip(SKIP_1) | instid1(VALU_DEP_1)
	v_cndmask_b32_e32 v124, v124, v62, vcc_lo
	s_wait_dscnt 0x0
	v_mul_f32_e32 v128, v124, v125
	s_cbranch_execz .LBB92_309
	s_branch .LBB92_310
.LBB92_308:
                                        ; implicit-def: $vgpr128
.LBB92_309:
	ds_load_b32 v128, v127
.LBB92_310:
	s_and_saveexec_b32 s5, s0
	s_cbranch_execz .LBB92_320
; %bb.311:
	v_add_nc_u32_e32 v124, -9, v0
	s_delay_alu instid0(VALU_DEP_1)
	v_cmp_lt_u32_e32 vcc_lo, 6, v124
	v_mov_b32_e32 v124, 8
	s_and_saveexec_b32 s0, vcc_lo
	s_cbranch_execz .LBB92_315
; %bb.312:
	v_and_b32_e32 v124, 24, v0
	s_mov_b32 s6, 0
	s_mov_b64 s[2:3], 15
	s_movk_i32 s7, 0xa0
	s_delay_alu instid0(VALU_DEP_1)
	v_sub_nc_u32_e32 v126, 0, v124
.LBB92_313:                             ; =>This Inner Loop Header: Depth=1
	s_add_co_i32 m0, s2, -7
	v_movrels_b32_e32 v125, v34
	v_mov_b32_e32 v124, s7
	s_add_co_i32 m0, s2, -6
	s_add_co_i32 s7, s7, 32
	v_movrels_b32_e32 v129, v34
	s_add_co_i32 m0, s2, -5
	ds_load_b128 v[130:133], v124
	ds_load_b128 v[134:137], v124 offset:16
	v_movrels_b32_e32 v124, v34
	s_add_co_i32 m0, s2, -4
	s_wait_dscnt 0x1
	v_fmac_f32_e32 v128, v125, v130
	v_movrels_b32_e32 v125, v34
	s_add_co_i32 m0, s2, -3
	s_delay_alu instid0(VALU_DEP_2) | instskip(NEXT) | instid1(VALU_DEP_1)
	v_fmac_f32_e32 v128, v129, v131
	v_fmac_f32_e32 v128, v124, v132
	v_movrels_b32_e32 v124, v34
	s_add_co_i32 m0, s2, -2
	s_delay_alu instid0(VALU_DEP_2) | instskip(SKIP_3) | instid1(VALU_DEP_2)
	v_fmac_f32_e32 v128, v125, v133
	v_movrels_b32_e32 v125, v34
	s_add_co_i32 m0, s2, -1
	s_wait_dscnt 0x0
	v_fmac_f32_e32 v128, v124, v134
	v_movrels_b32_e32 v124, v34
	s_mov_b32 m0, s2
	s_add_nc_u64 s[2:3], s[2:3], 8
	v_movrels_b32_e32 v129, v34
	v_dual_fmac_f32 v128, v125, v135 :: v_dual_add_nc_u32 v125, s2, v126
	s_add_co_i32 s8, s2, -7
	s_delay_alu instid0(VALU_DEP_1) | instskip(NEXT) | instid1(VALU_DEP_2)
	v_fmac_f32_e32 v128, v124, v136
	v_cmp_eq_u32_e32 vcc_lo, 7, v125
	s_delay_alu instid0(VALU_DEP_2) | instskip(SKIP_1) | instid1(SALU_CYCLE_1)
	v_dual_mov_b32 v124, s8 :: v_dual_fmac_f32 v128, v129, v137
	s_or_b32 s6, vcc_lo, s6
	s_and_not1_b32 exec_lo, exec_lo, s6
	s_cbranch_execnz .LBB92_313
; %bb.314:
	s_or_b32 exec_lo, exec_lo, s6
.LBB92_315:
	s_delay_alu instid0(SALU_CYCLE_1) | instskip(SKIP_3) | instid1(VALU_DEP_1)
	s_or_b32 exec_lo, exec_lo, s0
	v_and_b32_e32 v63, 7, v0
	s_mov_b32 s2, 0
	s_mov_b32 s0, exec_lo
	v_cmpx_ne_u32_e32 0, v63
	s_cbranch_execz .LBB92_319
; %bb.316:
	v_lshl_add_u32 v64, v124, 2, 0x80
	v_mov_b32_e32 v125, 0
.LBB92_317:                             ; =>This Inner Loop Header: Depth=1
	v_cmp_eq_u32_e32 vcc_lo, 1, v124
	ds_load_b32 v126, v64
	v_dual_add_nc_u32 v64, 4, v64 :: v_dual_add_nc_u32 v63, -1, v63
	v_cndmask_b32_e32 v65, v34, v35, vcc_lo
	v_cmp_eq_u32_e32 vcc_lo, 2, v124
	s_delay_alu instid0(VALU_DEP_2) | instskip(SKIP_1) | instid1(VALU_DEP_2)
	v_cndmask_b32_e32 v65, v65, v36, vcc_lo
	v_cmp_eq_u32_e32 vcc_lo, 3, v124
	v_cndmask_b32_e32 v65, v65, v37, vcc_lo
	v_cmp_eq_u32_e32 vcc_lo, 4, v124
	s_delay_alu instid0(VALU_DEP_2) | instskip(SKIP_1) | instid1(VALU_DEP_2)
	v_cndmask_b32_e32 v65, v65, v38, vcc_lo
	v_cmp_eq_u32_e32 vcc_lo, 5, v124
	v_cndmask_b32_e32 v65, v65, v39, vcc_lo
	v_cmp_eq_u32_e32 vcc_lo, 6, v124
	s_delay_alu instid0(VALU_DEP_2) | instskip(SKIP_1) | instid1(VALU_DEP_2)
	v_cndmask_b32_e32 v65, v65, v40, vcc_lo
	v_cmp_eq_u32_e32 vcc_lo, 7, v124
	v_cndmask_b32_e32 v65, v65, v41, vcc_lo
	v_cmp_eq_u32_e32 vcc_lo, 8, v124
	s_delay_alu instid0(VALU_DEP_2) | instskip(SKIP_1) | instid1(VALU_DEP_2)
	v_cndmask_b32_e32 v65, v65, v42, vcc_lo
	v_cmp_eq_u32_e32 vcc_lo, 9, v124
	v_cndmask_b32_e32 v65, v65, v43, vcc_lo
	v_cmp_eq_u32_e32 vcc_lo, 10, v124
	s_delay_alu instid0(VALU_DEP_2) | instskip(SKIP_1) | instid1(VALU_DEP_2)
	v_cndmask_b32_e32 v65, v65, v44, vcc_lo
	v_cmp_eq_u32_e32 vcc_lo, 11, v124
	v_cndmask_b32_e32 v65, v65, v45, vcc_lo
	v_cmp_eq_u32_e32 vcc_lo, 12, v124
	s_delay_alu instid0(VALU_DEP_2) | instskip(SKIP_1) | instid1(VALU_DEP_2)
	v_cndmask_b32_e32 v65, v65, v46, vcc_lo
	v_cmp_eq_u32_e32 vcc_lo, 13, v124
	v_cndmask_b32_e32 v65, v65, v47, vcc_lo
	v_cmp_eq_u32_e32 vcc_lo, 14, v124
	s_delay_alu instid0(VALU_DEP_2) | instskip(SKIP_1) | instid1(VALU_DEP_2)
	v_cndmask_b32_e32 v65, v65, v48, vcc_lo
	v_cmp_eq_u32_e32 vcc_lo, 15, v124
	v_cndmask_b32_e32 v65, v65, v49, vcc_lo
	v_cmp_eq_u32_e32 vcc_lo, 16, v124
	s_delay_alu instid0(VALU_DEP_2) | instskip(SKIP_1) | instid1(VALU_DEP_2)
	v_cndmask_b32_e32 v65, v65, v50, vcc_lo
	v_cmp_eq_u32_e32 vcc_lo, 17, v124
	v_cndmask_b32_e32 v65, v65, v51, vcc_lo
	v_cmp_eq_u32_e32 vcc_lo, 18, v124
	s_delay_alu instid0(VALU_DEP_2) | instskip(SKIP_1) | instid1(VALU_DEP_2)
	v_cndmask_b32_e32 v65, v65, v52, vcc_lo
	v_cmp_eq_u32_e32 vcc_lo, 19, v124
	v_cndmask_b32_e32 v65, v65, v53, vcc_lo
	v_cmp_eq_u32_e32 vcc_lo, 20, v124
	s_delay_alu instid0(VALU_DEP_2) | instskip(SKIP_1) | instid1(VALU_DEP_2)
	v_cndmask_b32_e32 v65, v65, v54, vcc_lo
	v_cmp_eq_u32_e32 vcc_lo, 21, v124
	v_cndmask_b32_e32 v65, v65, v55, vcc_lo
	v_cmp_eq_u32_e32 vcc_lo, 22, v124
	s_delay_alu instid0(VALU_DEP_2) | instskip(SKIP_1) | instid1(VALU_DEP_2)
	v_cndmask_b32_e32 v65, v65, v56, vcc_lo
	v_cmp_eq_u32_e32 vcc_lo, 23, v124
	v_cndmask_b32_e32 v65, v65, v57, vcc_lo
	v_cmp_eq_u32_e32 vcc_lo, 24, v124
	s_delay_alu instid0(VALU_DEP_2) | instskip(SKIP_1) | instid1(VALU_DEP_2)
	v_cndmask_b32_e32 v65, v65, v58, vcc_lo
	v_cmp_eq_u32_e32 vcc_lo, 25, v124
	v_cndmask_b32_e32 v65, v65, v59, vcc_lo
	v_cmp_eq_u32_e32 vcc_lo, 26, v124
	s_delay_alu instid0(VALU_DEP_2) | instskip(SKIP_1) | instid1(VALU_DEP_2)
	v_cndmask_b32_e32 v65, v65, v60, vcc_lo
	v_cmp_eq_u32_e32 vcc_lo, 27, v124
	v_cndmask_b32_e32 v65, v65, v61, vcc_lo
	v_cmp_eq_u32_e32 vcc_lo, 28, v124
	v_add_nc_u64_e32 v[124:125], 1, v[124:125]
	s_delay_alu instid0(VALU_DEP_3) | instskip(SKIP_2) | instid1(VALU_DEP_2)
	v_cndmask_b32_e32 v65, v65, v62, vcc_lo
	v_cmp_eq_u32_e32 vcc_lo, 0, v63
	s_wait_dscnt 0x0
	v_fmac_f32_e32 v128, v65, v126
	s_or_b32 s2, vcc_lo, s2
	s_delay_alu instid0(SALU_CYCLE_1)
	s_and_not1_b32 exec_lo, exec_lo, s2
	s_cbranch_execnz .LBB92_317
; %bb.318:
	s_or_b32 exec_lo, exec_lo, s2
.LBB92_319:
	s_delay_alu instid0(SALU_CYCLE_1)
	s_or_b32 exec_lo, exec_lo, s0
.LBB92_320:
	s_delay_alu instid0(SALU_CYCLE_1)
	s_or_b32 exec_lo, exec_lo, s5
	v_mov_b32_e32 v41, 0
	ds_load_b32 v41, v41 offset:28
	s_wait_dscnt 0x0
	v_mul_f32_e32 v41, v128, v41
.LBB92_321:
	s_or_b32 exec_lo, exec_lo, s4
	v_cmp_lt_u32_e64 s0, 6, v0
	ds_store_b32 v127, v40
	s_wait_dscnt 0x0
	s_barrier_signal -1
	s_barrier_wait -1
	s_and_saveexec_b32 s4, s0
	s_cbranch_execz .LBB92_337
; %bb.322:
	s_and_not1_b32 vcc_lo, exec_lo, s29
	s_cbranch_vccnz .LBB92_324
; %bb.323:
	v_cmp_eq_u32_e32 vcc_lo, 1, v0
	ds_load_b32 v125, v127
	v_cndmask_b32_e32 v124, v34, v35, vcc_lo
	v_cmp_eq_u32_e32 vcc_lo, 2, v0
	s_delay_alu instid0(VALU_DEP_2) | instskip(SKIP_1) | instid1(VALU_DEP_2)
	v_cndmask_b32_e32 v124, v124, v36, vcc_lo
	v_cmp_eq_u32_e32 vcc_lo, 3, v0
	v_cndmask_b32_e32 v124, v124, v37, vcc_lo
	v_cmp_eq_u32_e32 vcc_lo, 4, v0
	s_delay_alu instid0(VALU_DEP_2) | instskip(SKIP_1) | instid1(VALU_DEP_2)
	v_cndmask_b32_e32 v124, v124, v38, vcc_lo
	v_cmp_eq_u32_e32 vcc_lo, 5, v0
	;; [unrolled: 5-line block ×13, first 2 shown]
	v_cndmask_b32_e32 v124, v124, v61, vcc_lo
	v_cmp_eq_u32_e32 vcc_lo, 28, v0
	s_delay_alu instid0(VALU_DEP_2) | instskip(SKIP_1) | instid1(VALU_DEP_1)
	v_cndmask_b32_e32 v124, v124, v62, vcc_lo
	s_wait_dscnt 0x0
	v_mul_f32_e32 v128, v124, v125
	s_cbranch_execz .LBB92_325
	s_branch .LBB92_326
.LBB92_324:
                                        ; implicit-def: $vgpr128
.LBB92_325:
	ds_load_b32 v128, v127
.LBB92_326:
	s_and_saveexec_b32 s5, s1
	s_cbranch_execz .LBB92_336
; %bb.327:
	v_dual_add_nc_u32 v124, -8, v0 :: v_dual_add_nc_u32 v125, -7, v0
	s_delay_alu instid0(VALU_DEP_1)
	v_cmp_lt_u32_e32 vcc_lo, 6, v124
	v_mov_b32_e32 v124, 7
	s_and_saveexec_b32 s1, vcc_lo
	s_cbranch_execz .LBB92_331
; %bb.328:
	v_and_b32_e32 v124, -8, v125
	s_mov_b32 s6, 0
	s_mov_b64 s[2:3], 14
	s_movk_i32 s7, 0x9c
	s_delay_alu instid0(VALU_DEP_1)
	v_sub_nc_u32_e32 v126, 0, v124
.LBB92_329:                             ; =>This Inner Loop Header: Depth=1
	s_add_co_i32 m0, s2, -7
	v_movrels_b32_e32 v129, v34
	v_mov_b32_e32 v124, s7
	s_add_co_i32 m0, s2, -6
	s_add_co_i32 s7, s7, 32
	v_movrels_b32_e32 v138, v34
	ds_load_2addr_b32 v[130:131], v124 offset1:1
	ds_load_2addr_b32 v[132:133], v124 offset0:2 offset1:3
	s_add_co_i32 m0, s2, -5
	s_wait_dscnt 0x1
	v_fmac_f32_e32 v128, v129, v130
	ds_load_2addr_b32 v[134:135], v124 offset0:4 offset1:5
	ds_load_2addr_b32 v[136:137], v124 offset0:6 offset1:7
	v_movrels_b32_e32 v124, v34
	s_add_co_i32 m0, s2, -4
	v_fmac_f32_e32 v128, v138, v131
	v_movrels_b32_e32 v129, v34
	s_add_co_i32 m0, s2, -3
	s_wait_dscnt 0x2
	s_delay_alu instid0(VALU_DEP_2) | instskip(SKIP_2) | instid1(VALU_DEP_2)
	v_fmac_f32_e32 v128, v124, v132
	v_movrels_b32_e32 v124, v34
	s_add_co_i32 m0, s2, -2
	v_fmac_f32_e32 v128, v129, v133
	v_movrels_b32_e32 v129, v34
	s_add_co_i32 m0, s2, -1
	s_wait_dscnt 0x1
	s_delay_alu instid0(VALU_DEP_2)
	v_fmac_f32_e32 v128, v124, v134
	v_movrels_b32_e32 v124, v34
	s_mov_b32 m0, s2
	s_add_nc_u64 s[2:3], s[2:3], 8
	v_movrels_b32_e32 v130, v34
	v_dual_fmac_f32 v128, v129, v135 :: v_dual_add_nc_u32 v129, s2, v126
	s_add_co_i32 s8, s2, -7
	s_wait_dscnt 0x0
	s_delay_alu instid0(VALU_DEP_1) | instskip(NEXT) | instid1(VALU_DEP_2)
	v_fmac_f32_e32 v128, v124, v136
	v_cmp_eq_u32_e32 vcc_lo, 14, v129
	s_delay_alu instid0(VALU_DEP_2) | instskip(SKIP_1) | instid1(SALU_CYCLE_1)
	v_dual_mov_b32 v124, s8 :: v_dual_fmac_f32 v128, v130, v137
	s_or_b32 s6, vcc_lo, s6
	s_and_not1_b32 exec_lo, exec_lo, s6
	s_cbranch_execnz .LBB92_329
; %bb.330:
	s_or_b32 exec_lo, exec_lo, s6
.LBB92_331:
	s_delay_alu instid0(SALU_CYCLE_1) | instskip(SKIP_3) | instid1(VALU_DEP_1)
	s_or_b32 exec_lo, exec_lo, s1
	v_and_b32_e32 v63, 7, v125
	s_mov_b32 s2, 0
	s_mov_b32 s1, exec_lo
	v_cmpx_ne_u32_e32 0, v63
	s_cbranch_execz .LBB92_335
; %bb.332:
	v_lshl_add_u32 v64, v124, 2, 0x80
	v_mov_b32_e32 v125, 0
.LBB92_333:                             ; =>This Inner Loop Header: Depth=1
	v_cmp_eq_u32_e32 vcc_lo, 1, v124
	ds_load_b32 v126, v64
	v_dual_add_nc_u32 v64, 4, v64 :: v_dual_add_nc_u32 v63, -1, v63
	v_cndmask_b32_e32 v65, v34, v35, vcc_lo
	v_cmp_eq_u32_e32 vcc_lo, 2, v124
	s_delay_alu instid0(VALU_DEP_2) | instskip(SKIP_1) | instid1(VALU_DEP_2)
	v_cndmask_b32_e32 v65, v65, v36, vcc_lo
	v_cmp_eq_u32_e32 vcc_lo, 3, v124
	v_cndmask_b32_e32 v65, v65, v37, vcc_lo
	v_cmp_eq_u32_e32 vcc_lo, 4, v124
	s_delay_alu instid0(VALU_DEP_2) | instskip(SKIP_1) | instid1(VALU_DEP_2)
	v_cndmask_b32_e32 v65, v65, v38, vcc_lo
	v_cmp_eq_u32_e32 vcc_lo, 5, v124
	;; [unrolled: 5-line block ×13, first 2 shown]
	v_cndmask_b32_e32 v65, v65, v61, vcc_lo
	v_cmp_eq_u32_e32 vcc_lo, 28, v124
	v_add_nc_u64_e32 v[124:125], 1, v[124:125]
	s_delay_alu instid0(VALU_DEP_3) | instskip(SKIP_2) | instid1(VALU_DEP_2)
	v_cndmask_b32_e32 v65, v65, v62, vcc_lo
	v_cmp_eq_u32_e32 vcc_lo, 0, v63
	s_wait_dscnt 0x0
	v_fmac_f32_e32 v128, v65, v126
	s_or_b32 s2, vcc_lo, s2
	s_delay_alu instid0(SALU_CYCLE_1)
	s_and_not1_b32 exec_lo, exec_lo, s2
	s_cbranch_execnz .LBB92_333
; %bb.334:
	s_or_b32 exec_lo, exec_lo, s2
.LBB92_335:
	s_delay_alu instid0(SALU_CYCLE_1)
	s_or_b32 exec_lo, exec_lo, s1
.LBB92_336:
	s_delay_alu instid0(SALU_CYCLE_1)
	s_or_b32 exec_lo, exec_lo, s5
	v_mov_b32_e32 v40, 0
	ds_load_b32 v40, v40 offset:24
	s_wait_dscnt 0x0
	v_mul_f32_e32 v40, v128, v40
.LBB92_337:
	s_or_b32 exec_lo, exec_lo, s4
	v_cmp_lt_u32_e64 s1, 5, v0
	ds_store_b32 v127, v39
	s_wait_dscnt 0x0
	s_barrier_signal -1
	s_barrier_wait -1
	s_and_saveexec_b32 s4, s1
	s_cbranch_execz .LBB92_353
; %bb.338:
	s_and_not1_b32 vcc_lo, exec_lo, s29
	s_cbranch_vccnz .LBB92_340
; %bb.339:
	v_cmp_eq_u32_e32 vcc_lo, 1, v0
	ds_load_b32 v125, v127
	v_cndmask_b32_e32 v124, v34, v35, vcc_lo
	v_cmp_eq_u32_e32 vcc_lo, 2, v0
	s_delay_alu instid0(VALU_DEP_2) | instskip(SKIP_1) | instid1(VALU_DEP_2)
	v_cndmask_b32_e32 v124, v124, v36, vcc_lo
	v_cmp_eq_u32_e32 vcc_lo, 3, v0
	v_cndmask_b32_e32 v124, v124, v37, vcc_lo
	v_cmp_eq_u32_e32 vcc_lo, 4, v0
	s_delay_alu instid0(VALU_DEP_2) | instskip(SKIP_1) | instid1(VALU_DEP_2)
	v_cndmask_b32_e32 v124, v124, v38, vcc_lo
	v_cmp_eq_u32_e32 vcc_lo, 5, v0
	;; [unrolled: 5-line block ×13, first 2 shown]
	v_cndmask_b32_e32 v124, v124, v61, vcc_lo
	v_cmp_eq_u32_e32 vcc_lo, 28, v0
	s_delay_alu instid0(VALU_DEP_2) | instskip(SKIP_1) | instid1(VALU_DEP_1)
	v_cndmask_b32_e32 v124, v124, v62, vcc_lo
	s_wait_dscnt 0x0
	v_mul_f32_e32 v128, v124, v125
	s_cbranch_execz .LBB92_341
	s_branch .LBB92_342
.LBB92_340:
                                        ; implicit-def: $vgpr128
.LBB92_341:
	ds_load_b32 v128, v127
.LBB92_342:
	s_and_saveexec_b32 s5, s0
	s_cbranch_execz .LBB92_352
; %bb.343:
	v_dual_add_nc_u32 v126, -7, v0 :: v_dual_add_nc_u32 v125, -6, v0
	v_mov_b32_e32 v124, 6
	s_mov_b32 s0, exec_lo
	s_delay_alu instid0(VALU_DEP_2)
	v_cmpx_lt_u32_e32 6, v126
	s_cbranch_execz .LBB92_347
; %bb.344:
	v_and_b32_e32 v124, -8, v125
	s_mov_b32 s6, 0
	s_mov_b64 s[2:3], 13
	s_movk_i32 s7, 0x98
	s_delay_alu instid0(VALU_DEP_1)
	v_sub_nc_u32_e32 v126, 0, v124
.LBB92_345:                             ; =>This Inner Loop Header: Depth=1
	s_add_co_i32 m0, s2, -7
	v_movrels_b32_e32 v129, v34
	v_mov_b32_e32 v124, s7
	s_add_co_i32 m0, s2, -6
	s_add_co_i32 s7, s7, 32
	v_movrels_b32_e32 v138, v34
	s_add_co_i32 m0, s2, -5
	ds_load_2addr_b64 v[130:133], v124 offset1:1
	ds_load_2addr_b64 v[134:137], v124 offset0:2 offset1:3
	v_movrels_b32_e32 v124, v34
	s_add_co_i32 m0, s2, -4
	s_wait_dscnt 0x1
	v_fmac_f32_e32 v128, v129, v130
	v_movrels_b32_e32 v129, v34
	s_add_co_i32 m0, s2, -3
	s_delay_alu instid0(VALU_DEP_2) | instskip(NEXT) | instid1(VALU_DEP_1)
	v_fmac_f32_e32 v128, v138, v131
	v_fmac_f32_e32 v128, v124, v132
	v_movrels_b32_e32 v124, v34
	s_add_co_i32 m0, s2, -2
	s_delay_alu instid0(VALU_DEP_2) | instskip(SKIP_3) | instid1(VALU_DEP_2)
	v_fmac_f32_e32 v128, v129, v133
	v_movrels_b32_e32 v129, v34
	s_add_co_i32 m0, s2, -1
	s_wait_dscnt 0x0
	v_fmac_f32_e32 v128, v124, v134
	v_movrels_b32_e32 v124, v34
	s_mov_b32 m0, s2
	s_add_nc_u64 s[2:3], s[2:3], 8
	v_movrels_b32_e32 v130, v34
	v_dual_fmac_f32 v128, v129, v135 :: v_dual_add_nc_u32 v129, s2, v126
	s_add_co_i32 s8, s2, -7
	s_delay_alu instid0(VALU_DEP_1) | instskip(NEXT) | instid1(VALU_DEP_2)
	v_fmac_f32_e32 v128, v124, v136
	v_cmp_eq_u32_e32 vcc_lo, 13, v129
	s_delay_alu instid0(VALU_DEP_2) | instskip(SKIP_1) | instid1(SALU_CYCLE_1)
	v_dual_mov_b32 v124, s8 :: v_dual_fmac_f32 v128, v130, v137
	s_or_b32 s6, vcc_lo, s6
	s_and_not1_b32 exec_lo, exec_lo, s6
	s_cbranch_execnz .LBB92_345
; %bb.346:
	s_or_b32 exec_lo, exec_lo, s6
.LBB92_347:
	s_delay_alu instid0(SALU_CYCLE_1) | instskip(SKIP_3) | instid1(VALU_DEP_1)
	s_or_b32 exec_lo, exec_lo, s0
	v_and_b32_e32 v63, 7, v125
	s_mov_b32 s2, 0
	s_mov_b32 s0, exec_lo
	v_cmpx_ne_u32_e32 0, v63
	s_cbranch_execz .LBB92_351
; %bb.348:
	v_lshl_add_u32 v64, v124, 2, 0x80
	v_mov_b32_e32 v125, 0
.LBB92_349:                             ; =>This Inner Loop Header: Depth=1
	v_cmp_eq_u32_e32 vcc_lo, 1, v124
	ds_load_b32 v126, v64
	v_dual_add_nc_u32 v64, 4, v64 :: v_dual_add_nc_u32 v63, -1, v63
	v_cndmask_b32_e32 v65, v34, v35, vcc_lo
	v_cmp_eq_u32_e32 vcc_lo, 2, v124
	s_delay_alu instid0(VALU_DEP_2) | instskip(SKIP_1) | instid1(VALU_DEP_2)
	v_cndmask_b32_e32 v65, v65, v36, vcc_lo
	v_cmp_eq_u32_e32 vcc_lo, 3, v124
	v_cndmask_b32_e32 v65, v65, v37, vcc_lo
	v_cmp_eq_u32_e32 vcc_lo, 4, v124
	s_delay_alu instid0(VALU_DEP_2) | instskip(SKIP_1) | instid1(VALU_DEP_2)
	v_cndmask_b32_e32 v65, v65, v38, vcc_lo
	v_cmp_eq_u32_e32 vcc_lo, 5, v124
	;; [unrolled: 5-line block ×13, first 2 shown]
	v_cndmask_b32_e32 v65, v65, v61, vcc_lo
	v_cmp_eq_u32_e32 vcc_lo, 28, v124
	v_add_nc_u64_e32 v[124:125], 1, v[124:125]
	s_delay_alu instid0(VALU_DEP_3) | instskip(SKIP_2) | instid1(VALU_DEP_2)
	v_cndmask_b32_e32 v65, v65, v62, vcc_lo
	v_cmp_eq_u32_e32 vcc_lo, 0, v63
	s_wait_dscnt 0x0
	v_fmac_f32_e32 v128, v65, v126
	s_or_b32 s2, vcc_lo, s2
	s_delay_alu instid0(SALU_CYCLE_1)
	s_and_not1_b32 exec_lo, exec_lo, s2
	s_cbranch_execnz .LBB92_349
; %bb.350:
	s_or_b32 exec_lo, exec_lo, s2
.LBB92_351:
	s_delay_alu instid0(SALU_CYCLE_1)
	s_or_b32 exec_lo, exec_lo, s0
.LBB92_352:
	s_delay_alu instid0(SALU_CYCLE_1)
	s_or_b32 exec_lo, exec_lo, s5
	v_mov_b32_e32 v39, 0
	ds_load_b32 v39, v39 offset:20
	s_wait_dscnt 0x0
	v_mul_f32_e32 v39, v128, v39
.LBB92_353:
	s_or_b32 exec_lo, exec_lo, s4
	v_cmp_lt_u32_e64 s0, 4, v0
	ds_store_b32 v127, v38
	s_wait_dscnt 0x0
	s_barrier_signal -1
	s_barrier_wait -1
	s_and_saveexec_b32 s4, s0
	s_cbranch_execz .LBB92_369
; %bb.354:
	s_and_not1_b32 vcc_lo, exec_lo, s29
	s_cbranch_vccnz .LBB92_356
; %bb.355:
	v_cmp_eq_u32_e32 vcc_lo, 1, v0
	ds_load_b32 v125, v127
	v_cndmask_b32_e32 v124, v34, v35, vcc_lo
	v_cmp_eq_u32_e32 vcc_lo, 2, v0
	s_delay_alu instid0(VALU_DEP_2) | instskip(SKIP_1) | instid1(VALU_DEP_2)
	v_cndmask_b32_e32 v124, v124, v36, vcc_lo
	v_cmp_eq_u32_e32 vcc_lo, 3, v0
	v_cndmask_b32_e32 v124, v124, v37, vcc_lo
	v_cmp_eq_u32_e32 vcc_lo, 4, v0
	s_delay_alu instid0(VALU_DEP_2) | instskip(SKIP_1) | instid1(VALU_DEP_2)
	v_cndmask_b32_e32 v124, v124, v38, vcc_lo
	v_cmp_eq_u32_e32 vcc_lo, 5, v0
	;; [unrolled: 5-line block ×13, first 2 shown]
	v_cndmask_b32_e32 v124, v124, v61, vcc_lo
	v_cmp_eq_u32_e32 vcc_lo, 28, v0
	s_delay_alu instid0(VALU_DEP_2) | instskip(SKIP_1) | instid1(VALU_DEP_1)
	v_cndmask_b32_e32 v124, v124, v62, vcc_lo
	s_wait_dscnt 0x0
	v_mul_f32_e32 v128, v124, v125
	s_cbranch_execz .LBB92_357
	s_branch .LBB92_358
.LBB92_356:
                                        ; implicit-def: $vgpr128
.LBB92_357:
	ds_load_b32 v128, v127
.LBB92_358:
	s_and_saveexec_b32 s5, s1
	s_cbranch_execz .LBB92_368
; %bb.359:
	v_dual_add_nc_u32 v124, -6, v0 :: v_dual_add_nc_u32 v125, -5, v0
	s_delay_alu instid0(VALU_DEP_1)
	v_cmp_lt_u32_e32 vcc_lo, 6, v124
	v_mov_b32_e32 v124, 5
	s_and_saveexec_b32 s1, vcc_lo
	s_cbranch_execz .LBB92_363
; %bb.360:
	v_and_b32_e32 v124, -8, v125
	s_mov_b32 s6, 0
	s_mov_b64 s[2:3], 12
	s_movk_i32 s7, 0x94
	s_delay_alu instid0(VALU_DEP_1)
	v_sub_nc_u32_e32 v126, 0, v124
.LBB92_361:                             ; =>This Inner Loop Header: Depth=1
	s_add_co_i32 m0, s2, -7
	v_movrels_b32_e32 v129, v34
	v_mov_b32_e32 v124, s7
	s_add_co_i32 m0, s2, -6
	s_add_co_i32 s7, s7, 32
	v_movrels_b32_e32 v138, v34
	ds_load_2addr_b32 v[130:131], v124 offset1:1
	ds_load_2addr_b32 v[132:133], v124 offset0:2 offset1:3
	s_add_co_i32 m0, s2, -5
	s_wait_dscnt 0x1
	v_fmac_f32_e32 v128, v129, v130
	ds_load_2addr_b32 v[134:135], v124 offset0:4 offset1:5
	ds_load_2addr_b32 v[136:137], v124 offset0:6 offset1:7
	v_movrels_b32_e32 v124, v34
	s_add_co_i32 m0, s2, -4
	v_fmac_f32_e32 v128, v138, v131
	v_movrels_b32_e32 v129, v34
	s_add_co_i32 m0, s2, -3
	s_wait_dscnt 0x2
	s_delay_alu instid0(VALU_DEP_2) | instskip(SKIP_2) | instid1(VALU_DEP_2)
	v_fmac_f32_e32 v128, v124, v132
	v_movrels_b32_e32 v124, v34
	s_add_co_i32 m0, s2, -2
	v_fmac_f32_e32 v128, v129, v133
	v_movrels_b32_e32 v129, v34
	s_add_co_i32 m0, s2, -1
	s_wait_dscnt 0x1
	s_delay_alu instid0(VALU_DEP_2)
	v_fmac_f32_e32 v128, v124, v134
	v_movrels_b32_e32 v124, v34
	s_mov_b32 m0, s2
	s_add_nc_u64 s[2:3], s[2:3], 8
	v_movrels_b32_e32 v130, v34
	v_dual_fmac_f32 v128, v129, v135 :: v_dual_add_nc_u32 v129, s2, v126
	s_add_co_i32 s8, s2, -7
	s_wait_dscnt 0x0
	s_delay_alu instid0(VALU_DEP_1) | instskip(NEXT) | instid1(VALU_DEP_2)
	v_fmac_f32_e32 v128, v124, v136
	v_cmp_eq_u32_e32 vcc_lo, 12, v129
	s_delay_alu instid0(VALU_DEP_2) | instskip(SKIP_1) | instid1(SALU_CYCLE_1)
	v_dual_mov_b32 v124, s8 :: v_dual_fmac_f32 v128, v130, v137
	s_or_b32 s6, vcc_lo, s6
	s_and_not1_b32 exec_lo, exec_lo, s6
	s_cbranch_execnz .LBB92_361
; %bb.362:
	s_or_b32 exec_lo, exec_lo, s6
.LBB92_363:
	s_delay_alu instid0(SALU_CYCLE_1) | instskip(SKIP_3) | instid1(VALU_DEP_1)
	s_or_b32 exec_lo, exec_lo, s1
	v_and_b32_e32 v63, 7, v125
	s_mov_b32 s2, 0
	s_mov_b32 s1, exec_lo
	v_cmpx_ne_u32_e32 0, v63
	s_cbranch_execz .LBB92_367
; %bb.364:
	v_lshl_add_u32 v64, v124, 2, 0x80
	v_mov_b32_e32 v125, 0
.LBB92_365:                             ; =>This Inner Loop Header: Depth=1
	v_cmp_eq_u32_e32 vcc_lo, 1, v124
	ds_load_b32 v126, v64
	v_dual_add_nc_u32 v64, 4, v64 :: v_dual_add_nc_u32 v63, -1, v63
	v_cndmask_b32_e32 v65, v34, v35, vcc_lo
	v_cmp_eq_u32_e32 vcc_lo, 2, v124
	s_delay_alu instid0(VALU_DEP_2) | instskip(SKIP_1) | instid1(VALU_DEP_2)
	v_cndmask_b32_e32 v65, v65, v36, vcc_lo
	v_cmp_eq_u32_e32 vcc_lo, 3, v124
	v_cndmask_b32_e32 v65, v65, v37, vcc_lo
	v_cmp_eq_u32_e32 vcc_lo, 4, v124
	s_delay_alu instid0(VALU_DEP_2) | instskip(SKIP_1) | instid1(VALU_DEP_2)
	v_cndmask_b32_e32 v65, v65, v38, vcc_lo
	v_cmp_eq_u32_e32 vcc_lo, 5, v124
	;; [unrolled: 5-line block ×13, first 2 shown]
	v_cndmask_b32_e32 v65, v65, v61, vcc_lo
	v_cmp_eq_u32_e32 vcc_lo, 28, v124
	v_add_nc_u64_e32 v[124:125], 1, v[124:125]
	s_delay_alu instid0(VALU_DEP_3) | instskip(SKIP_2) | instid1(VALU_DEP_2)
	v_cndmask_b32_e32 v65, v65, v62, vcc_lo
	v_cmp_eq_u32_e32 vcc_lo, 0, v63
	s_wait_dscnt 0x0
	v_fmac_f32_e32 v128, v65, v126
	s_or_b32 s2, vcc_lo, s2
	s_delay_alu instid0(SALU_CYCLE_1)
	s_and_not1_b32 exec_lo, exec_lo, s2
	s_cbranch_execnz .LBB92_365
; %bb.366:
	s_or_b32 exec_lo, exec_lo, s2
.LBB92_367:
	s_delay_alu instid0(SALU_CYCLE_1)
	s_or_b32 exec_lo, exec_lo, s1
.LBB92_368:
	s_delay_alu instid0(SALU_CYCLE_1)
	s_or_b32 exec_lo, exec_lo, s5
	v_mov_b32_e32 v38, 0
	ds_load_b32 v38, v38 offset:16
	s_wait_dscnt 0x0
	v_mul_f32_e32 v38, v128, v38
.LBB92_369:
	s_or_b32 exec_lo, exec_lo, s4
	v_cmp_lt_u32_e64 s1, 3, v0
	ds_store_b32 v127, v37
	s_wait_dscnt 0x0
	s_barrier_signal -1
	s_barrier_wait -1
	s_and_saveexec_b32 s4, s1
	s_cbranch_execz .LBB92_385
; %bb.370:
	s_and_not1_b32 vcc_lo, exec_lo, s29
	s_cbranch_vccnz .LBB92_372
; %bb.371:
	v_cmp_eq_u32_e32 vcc_lo, 1, v0
	ds_load_b32 v125, v127
	v_cndmask_b32_e32 v124, v34, v35, vcc_lo
	v_cmp_eq_u32_e32 vcc_lo, 2, v0
	s_delay_alu instid0(VALU_DEP_2) | instskip(SKIP_1) | instid1(VALU_DEP_2)
	v_cndmask_b32_e32 v124, v124, v36, vcc_lo
	v_cmp_eq_u32_e32 vcc_lo, 3, v0
	v_cndmask_b32_e32 v124, v124, v37, vcc_lo
	v_cmp_eq_u32_e32 vcc_lo, 4, v0
	s_delay_alu instid0(VALU_DEP_2) | instskip(SKIP_1) | instid1(VALU_DEP_2)
	v_cndmask_b32_e32 v124, v124, v38, vcc_lo
	v_cmp_eq_u32_e32 vcc_lo, 5, v0
	;; [unrolled: 5-line block ×13, first 2 shown]
	v_cndmask_b32_e32 v124, v124, v61, vcc_lo
	v_cmp_eq_u32_e32 vcc_lo, 28, v0
	s_delay_alu instid0(VALU_DEP_2) | instskip(SKIP_1) | instid1(VALU_DEP_1)
	v_cndmask_b32_e32 v124, v124, v62, vcc_lo
	s_wait_dscnt 0x0
	v_mul_f32_e32 v128, v124, v125
	s_cbranch_execz .LBB92_373
	s_branch .LBB92_374
.LBB92_372:
                                        ; implicit-def: $vgpr128
.LBB92_373:
	ds_load_b32 v128, v127
.LBB92_374:
	s_and_saveexec_b32 s5, s0
	s_cbranch_execz .LBB92_384
; %bb.375:
	v_dual_add_nc_u32 v124, -5, v0 :: v_dual_add_nc_u32 v125, -4, v0
	s_delay_alu instid0(VALU_DEP_1)
	v_cmp_lt_u32_e32 vcc_lo, 6, v124
	v_mov_b32_e32 v124, 4
	s_and_saveexec_b32 s0, vcc_lo
	s_cbranch_execz .LBB92_379
; %bb.376:
	v_and_b32_e32 v124, -8, v125
	s_mov_b32 s6, 0
	s_mov_b64 s[2:3], 5
	s_movk_i32 s7, 0x90
	s_delay_alu instid0(VALU_DEP_1)
	v_sub_nc_u32_e32 v126, 0, v124
.LBB92_377:                             ; =>This Inner Loop Header: Depth=1
	s_add_co_i32 m0, s2, -1
	v_movrels_b32_e32 v129, v34
	v_mov_b32_e32 v124, s7
	s_mov_b32 m0, s2
	s_add_co_i32 s7, s7, 32
	v_movrels_b32_e32 v138, v34
	s_add_co_i32 m0, s2, 1
	ds_load_b128 v[130:133], v124
	ds_load_b128 v[134:137], v124 offset:16
	v_movrels_b32_e32 v124, v34
	s_add_co_i32 m0, s2, 2
	s_wait_dscnt 0x1
	v_fmac_f32_e32 v128, v129, v130
	v_movrels_b32_e32 v129, v34
	s_add_co_i32 m0, s2, 3
	s_delay_alu instid0(VALU_DEP_2) | instskip(NEXT) | instid1(VALU_DEP_1)
	v_fmac_f32_e32 v128, v138, v131
	v_fmac_f32_e32 v128, v124, v132
	v_movrels_b32_e32 v124, v34
	s_add_co_i32 m0, s2, 4
	s_delay_alu instid0(VALU_DEP_2) | instskip(SKIP_3) | instid1(VALU_DEP_2)
	v_fmac_f32_e32 v128, v129, v133
	v_movrels_b32_e32 v129, v34
	s_add_co_i32 m0, s2, 5
	s_wait_dscnt 0x0
	v_fmac_f32_e32 v128, v124, v134
	v_movrels_b32_e32 v124, v34
	s_add_co_i32 m0, s2, 6
	s_add_nc_u64 s[2:3], s[2:3], 8
	v_movrels_b32_e32 v130, v34
	v_dual_fmac_f32 v128, v129, v135 :: v_dual_add_nc_u32 v129, s2, v126
	s_add_co_i32 s8, s2, -1
	s_delay_alu instid0(VALU_DEP_1) | instskip(NEXT) | instid1(VALU_DEP_2)
	v_fmac_f32_e32 v128, v124, v136
	v_cmp_eq_u32_e32 vcc_lo, 5, v129
	s_delay_alu instid0(VALU_DEP_2) | instskip(SKIP_1) | instid1(SALU_CYCLE_1)
	v_dual_mov_b32 v124, s8 :: v_dual_fmac_f32 v128, v130, v137
	s_or_b32 s6, vcc_lo, s6
	s_and_not1_b32 exec_lo, exec_lo, s6
	s_cbranch_execnz .LBB92_377
; %bb.378:
	s_or_b32 exec_lo, exec_lo, s6
.LBB92_379:
	s_delay_alu instid0(SALU_CYCLE_1) | instskip(SKIP_3) | instid1(VALU_DEP_1)
	s_or_b32 exec_lo, exec_lo, s0
	v_and_b32_e32 v63, 7, v125
	s_mov_b32 s2, 0
	s_mov_b32 s0, exec_lo
	v_cmpx_ne_u32_e32 0, v63
	s_cbranch_execz .LBB92_383
; %bb.380:
	v_lshl_add_u32 v64, v124, 2, 0x80
	v_mov_b32_e32 v125, 0
.LBB92_381:                             ; =>This Inner Loop Header: Depth=1
	v_cmp_eq_u32_e32 vcc_lo, 1, v124
	ds_load_b32 v126, v64
	v_dual_add_nc_u32 v64, 4, v64 :: v_dual_add_nc_u32 v63, -1, v63
	v_cndmask_b32_e32 v65, v34, v35, vcc_lo
	v_cmp_eq_u32_e32 vcc_lo, 2, v124
	s_delay_alu instid0(VALU_DEP_2) | instskip(SKIP_1) | instid1(VALU_DEP_2)
	v_cndmask_b32_e32 v65, v65, v36, vcc_lo
	v_cmp_eq_u32_e32 vcc_lo, 3, v124
	v_cndmask_b32_e32 v65, v65, v37, vcc_lo
	v_cmp_eq_u32_e32 vcc_lo, 4, v124
	s_delay_alu instid0(VALU_DEP_2) | instskip(SKIP_1) | instid1(VALU_DEP_2)
	v_cndmask_b32_e32 v65, v65, v38, vcc_lo
	v_cmp_eq_u32_e32 vcc_lo, 5, v124
	;; [unrolled: 5-line block ×13, first 2 shown]
	v_cndmask_b32_e32 v65, v65, v61, vcc_lo
	v_cmp_eq_u32_e32 vcc_lo, 28, v124
	v_add_nc_u64_e32 v[124:125], 1, v[124:125]
	s_delay_alu instid0(VALU_DEP_3) | instskip(SKIP_2) | instid1(VALU_DEP_2)
	v_cndmask_b32_e32 v65, v65, v62, vcc_lo
	v_cmp_eq_u32_e32 vcc_lo, 0, v63
	s_wait_dscnt 0x0
	v_fmac_f32_e32 v128, v65, v126
	s_or_b32 s2, vcc_lo, s2
	s_delay_alu instid0(SALU_CYCLE_1)
	s_and_not1_b32 exec_lo, exec_lo, s2
	s_cbranch_execnz .LBB92_381
; %bb.382:
	s_or_b32 exec_lo, exec_lo, s2
.LBB92_383:
	s_delay_alu instid0(SALU_CYCLE_1)
	s_or_b32 exec_lo, exec_lo, s0
.LBB92_384:
	s_delay_alu instid0(SALU_CYCLE_1)
	s_or_b32 exec_lo, exec_lo, s5
	v_mov_b32_e32 v37, 0
	ds_load_b32 v37, v37 offset:12
	s_wait_dscnt 0x0
	v_mul_f32_e32 v37, v128, v37
.LBB92_385:
	s_or_b32 exec_lo, exec_lo, s4
	v_cmp_lt_u32_e64 s0, 2, v0
	ds_store_b32 v127, v36
	s_wait_dscnt 0x0
	s_barrier_signal -1
	s_barrier_wait -1
	s_and_saveexec_b32 s4, s0
	s_cbranch_execz .LBB92_401
; %bb.386:
	s_and_not1_b32 vcc_lo, exec_lo, s29
	s_cbranch_vccnz .LBB92_388
; %bb.387:
	v_cmp_eq_u32_e32 vcc_lo, 1, v0
	ds_load_b32 v125, v127
	v_cndmask_b32_e32 v124, v34, v35, vcc_lo
	v_cmp_eq_u32_e32 vcc_lo, 2, v0
	s_delay_alu instid0(VALU_DEP_2) | instskip(SKIP_1) | instid1(VALU_DEP_2)
	v_cndmask_b32_e32 v124, v124, v36, vcc_lo
	v_cmp_eq_u32_e32 vcc_lo, 3, v0
	v_cndmask_b32_e32 v124, v124, v37, vcc_lo
	v_cmp_eq_u32_e32 vcc_lo, 4, v0
	s_delay_alu instid0(VALU_DEP_2) | instskip(SKIP_1) | instid1(VALU_DEP_2)
	v_cndmask_b32_e32 v124, v124, v38, vcc_lo
	v_cmp_eq_u32_e32 vcc_lo, 5, v0
	v_cndmask_b32_e32 v124, v124, v39, vcc_lo
	v_cmp_eq_u32_e32 vcc_lo, 6, v0
	s_delay_alu instid0(VALU_DEP_2) | instskip(SKIP_1) | instid1(VALU_DEP_2)
	v_cndmask_b32_e32 v124, v124, v40, vcc_lo
	v_cmp_eq_u32_e32 vcc_lo, 7, v0
	v_cndmask_b32_e32 v124, v124, v41, vcc_lo
	v_cmp_eq_u32_e32 vcc_lo, 8, v0
	s_delay_alu instid0(VALU_DEP_2) | instskip(SKIP_1) | instid1(VALU_DEP_2)
	v_cndmask_b32_e32 v124, v124, v42, vcc_lo
	v_cmp_eq_u32_e32 vcc_lo, 9, v0
	v_cndmask_b32_e32 v124, v124, v43, vcc_lo
	v_cmp_eq_u32_e32 vcc_lo, 10, v0
	s_delay_alu instid0(VALU_DEP_2) | instskip(SKIP_1) | instid1(VALU_DEP_2)
	v_cndmask_b32_e32 v124, v124, v44, vcc_lo
	v_cmp_eq_u32_e32 vcc_lo, 11, v0
	v_cndmask_b32_e32 v124, v124, v45, vcc_lo
	v_cmp_eq_u32_e32 vcc_lo, 12, v0
	s_delay_alu instid0(VALU_DEP_2) | instskip(SKIP_1) | instid1(VALU_DEP_2)
	v_cndmask_b32_e32 v124, v124, v46, vcc_lo
	v_cmp_eq_u32_e32 vcc_lo, 13, v0
	v_cndmask_b32_e32 v124, v124, v47, vcc_lo
	v_cmp_eq_u32_e32 vcc_lo, 14, v0
	s_delay_alu instid0(VALU_DEP_2) | instskip(SKIP_1) | instid1(VALU_DEP_2)
	v_cndmask_b32_e32 v124, v124, v48, vcc_lo
	v_cmp_eq_u32_e32 vcc_lo, 15, v0
	v_cndmask_b32_e32 v124, v124, v49, vcc_lo
	v_cmp_eq_u32_e32 vcc_lo, 16, v0
	s_delay_alu instid0(VALU_DEP_2) | instskip(SKIP_1) | instid1(VALU_DEP_2)
	v_cndmask_b32_e32 v124, v124, v50, vcc_lo
	v_cmp_eq_u32_e32 vcc_lo, 17, v0
	v_cndmask_b32_e32 v124, v124, v51, vcc_lo
	v_cmp_eq_u32_e32 vcc_lo, 18, v0
	s_delay_alu instid0(VALU_DEP_2) | instskip(SKIP_1) | instid1(VALU_DEP_2)
	v_cndmask_b32_e32 v124, v124, v52, vcc_lo
	v_cmp_eq_u32_e32 vcc_lo, 19, v0
	v_cndmask_b32_e32 v124, v124, v53, vcc_lo
	v_cmp_eq_u32_e32 vcc_lo, 20, v0
	s_delay_alu instid0(VALU_DEP_2) | instskip(SKIP_1) | instid1(VALU_DEP_2)
	v_cndmask_b32_e32 v124, v124, v54, vcc_lo
	v_cmp_eq_u32_e32 vcc_lo, 21, v0
	v_cndmask_b32_e32 v124, v124, v55, vcc_lo
	v_cmp_eq_u32_e32 vcc_lo, 22, v0
	s_delay_alu instid0(VALU_DEP_2) | instskip(SKIP_1) | instid1(VALU_DEP_2)
	v_cndmask_b32_e32 v124, v124, v56, vcc_lo
	v_cmp_eq_u32_e32 vcc_lo, 23, v0
	v_cndmask_b32_e32 v124, v124, v57, vcc_lo
	v_cmp_eq_u32_e32 vcc_lo, 24, v0
	s_delay_alu instid0(VALU_DEP_2) | instskip(SKIP_1) | instid1(VALU_DEP_2)
	v_cndmask_b32_e32 v124, v124, v58, vcc_lo
	v_cmp_eq_u32_e32 vcc_lo, 25, v0
	v_cndmask_b32_e32 v124, v124, v59, vcc_lo
	v_cmp_eq_u32_e32 vcc_lo, 26, v0
	s_delay_alu instid0(VALU_DEP_2) | instskip(SKIP_1) | instid1(VALU_DEP_2)
	v_cndmask_b32_e32 v124, v124, v60, vcc_lo
	v_cmp_eq_u32_e32 vcc_lo, 27, v0
	v_cndmask_b32_e32 v124, v124, v61, vcc_lo
	v_cmp_eq_u32_e32 vcc_lo, 28, v0
	s_delay_alu instid0(VALU_DEP_2) | instskip(SKIP_1) | instid1(VALU_DEP_1)
	v_cndmask_b32_e32 v124, v124, v62, vcc_lo
	s_wait_dscnt 0x0
	v_mul_f32_e32 v128, v124, v125
	s_cbranch_execz .LBB92_389
	s_branch .LBB92_390
.LBB92_388:
                                        ; implicit-def: $vgpr128
.LBB92_389:
	ds_load_b32 v128, v127
.LBB92_390:
	s_and_saveexec_b32 s5, s1
	s_cbranch_execz .LBB92_400
; %bb.391:
	v_dual_add_nc_u32 v124, -4, v0 :: v_dual_add_nc_u32 v125, -3, v0
	s_delay_alu instid0(VALU_DEP_1)
	v_cmp_lt_u32_e32 vcc_lo, 6, v124
	v_mov_b32_e32 v124, 3
	s_and_saveexec_b32 s1, vcc_lo
	s_cbranch_execz .LBB92_395
; %bb.392:
	v_and_b32_e32 v124, -8, v125
	s_mov_b32 s6, 0
	s_mov_b64 s[2:3], 10
	s_movk_i32 s7, 0x8c
	s_delay_alu instid0(VALU_DEP_1)
	v_sub_nc_u32_e32 v126, 0, v124
.LBB92_393:                             ; =>This Inner Loop Header: Depth=1
	s_add_co_i32 m0, s2, -7
	v_movrels_b32_e32 v129, v34
	v_mov_b32_e32 v124, s7
	s_add_co_i32 m0, s2, -6
	s_add_co_i32 s7, s7, 32
	v_movrels_b32_e32 v138, v34
	ds_load_2addr_b32 v[130:131], v124 offset1:1
	ds_load_2addr_b32 v[132:133], v124 offset0:2 offset1:3
	s_add_co_i32 m0, s2, -5
	s_wait_dscnt 0x1
	v_fmac_f32_e32 v128, v129, v130
	ds_load_2addr_b32 v[134:135], v124 offset0:4 offset1:5
	ds_load_2addr_b32 v[136:137], v124 offset0:6 offset1:7
	v_movrels_b32_e32 v124, v34
	s_add_co_i32 m0, s2, -4
	v_fmac_f32_e32 v128, v138, v131
	v_movrels_b32_e32 v129, v34
	s_add_co_i32 m0, s2, -3
	s_wait_dscnt 0x2
	s_delay_alu instid0(VALU_DEP_2) | instskip(SKIP_2) | instid1(VALU_DEP_2)
	v_fmac_f32_e32 v128, v124, v132
	v_movrels_b32_e32 v124, v34
	s_add_co_i32 m0, s2, -2
	v_fmac_f32_e32 v128, v129, v133
	v_movrels_b32_e32 v129, v34
	s_add_co_i32 m0, s2, -1
	s_wait_dscnt 0x1
	s_delay_alu instid0(VALU_DEP_2)
	v_fmac_f32_e32 v128, v124, v134
	v_movrels_b32_e32 v124, v34
	s_mov_b32 m0, s2
	s_add_nc_u64 s[2:3], s[2:3], 8
	v_movrels_b32_e32 v130, v34
	v_dual_fmac_f32 v128, v129, v135 :: v_dual_add_nc_u32 v129, s2, v126
	s_add_co_i32 s8, s2, -7
	s_wait_dscnt 0x0
	s_delay_alu instid0(VALU_DEP_1) | instskip(NEXT) | instid1(VALU_DEP_2)
	v_fmac_f32_e32 v128, v124, v136
	v_cmp_eq_u32_e32 vcc_lo, 10, v129
	s_delay_alu instid0(VALU_DEP_2) | instskip(SKIP_1) | instid1(SALU_CYCLE_1)
	v_dual_mov_b32 v124, s8 :: v_dual_fmac_f32 v128, v130, v137
	s_or_b32 s6, vcc_lo, s6
	s_and_not1_b32 exec_lo, exec_lo, s6
	s_cbranch_execnz .LBB92_393
; %bb.394:
	s_or_b32 exec_lo, exec_lo, s6
.LBB92_395:
	s_delay_alu instid0(SALU_CYCLE_1) | instskip(SKIP_3) | instid1(VALU_DEP_1)
	s_or_b32 exec_lo, exec_lo, s1
	v_and_b32_e32 v63, 7, v125
	s_mov_b32 s2, 0
	s_mov_b32 s1, exec_lo
	v_cmpx_ne_u32_e32 0, v63
	s_cbranch_execz .LBB92_399
; %bb.396:
	v_lshl_add_u32 v64, v124, 2, 0x80
	v_mov_b32_e32 v125, 0
.LBB92_397:                             ; =>This Inner Loop Header: Depth=1
	v_cmp_eq_u32_e32 vcc_lo, 1, v124
	ds_load_b32 v126, v64
	v_dual_add_nc_u32 v64, 4, v64 :: v_dual_add_nc_u32 v63, -1, v63
	v_cndmask_b32_e32 v65, v34, v35, vcc_lo
	v_cmp_eq_u32_e32 vcc_lo, 2, v124
	s_delay_alu instid0(VALU_DEP_2) | instskip(SKIP_1) | instid1(VALU_DEP_2)
	v_cndmask_b32_e32 v65, v65, v36, vcc_lo
	v_cmp_eq_u32_e32 vcc_lo, 3, v124
	v_cndmask_b32_e32 v65, v65, v37, vcc_lo
	v_cmp_eq_u32_e32 vcc_lo, 4, v124
	s_delay_alu instid0(VALU_DEP_2) | instskip(SKIP_1) | instid1(VALU_DEP_2)
	v_cndmask_b32_e32 v65, v65, v38, vcc_lo
	v_cmp_eq_u32_e32 vcc_lo, 5, v124
	;; [unrolled: 5-line block ×13, first 2 shown]
	v_cndmask_b32_e32 v65, v65, v61, vcc_lo
	v_cmp_eq_u32_e32 vcc_lo, 28, v124
	v_add_nc_u64_e32 v[124:125], 1, v[124:125]
	s_delay_alu instid0(VALU_DEP_3) | instskip(SKIP_2) | instid1(VALU_DEP_2)
	v_cndmask_b32_e32 v65, v65, v62, vcc_lo
	v_cmp_eq_u32_e32 vcc_lo, 0, v63
	s_wait_dscnt 0x0
	v_fmac_f32_e32 v128, v65, v126
	s_or_b32 s2, vcc_lo, s2
	s_delay_alu instid0(SALU_CYCLE_1)
	s_and_not1_b32 exec_lo, exec_lo, s2
	s_cbranch_execnz .LBB92_397
; %bb.398:
	s_or_b32 exec_lo, exec_lo, s2
.LBB92_399:
	s_delay_alu instid0(SALU_CYCLE_1)
	s_or_b32 exec_lo, exec_lo, s1
.LBB92_400:
	s_delay_alu instid0(SALU_CYCLE_1)
	s_or_b32 exec_lo, exec_lo, s5
	v_mov_b32_e32 v36, 0
	ds_load_b32 v36, v36 offset:8
	s_wait_dscnt 0x0
	v_mul_f32_e32 v36, v128, v36
.LBB92_401:
	s_or_b32 exec_lo, exec_lo, s4
	v_cmp_lt_u32_e64 s1, 1, v0
	ds_store_b32 v127, v35
	s_wait_dscnt 0x0
	s_barrier_signal -1
	s_barrier_wait -1
	s_and_saveexec_b32 s4, s1
	s_cbranch_execz .LBB92_417
; %bb.402:
	s_and_not1_b32 vcc_lo, exec_lo, s29
	s_cbranch_vccnz .LBB92_404
; %bb.403:
	v_cmp_eq_u32_e32 vcc_lo, 1, v0
	ds_load_b32 v125, v127
	v_cndmask_b32_e32 v124, v34, v35, vcc_lo
	v_cmp_eq_u32_e32 vcc_lo, 2, v0
	s_delay_alu instid0(VALU_DEP_2) | instskip(SKIP_1) | instid1(VALU_DEP_2)
	v_cndmask_b32_e32 v124, v124, v36, vcc_lo
	v_cmp_eq_u32_e32 vcc_lo, 3, v0
	v_cndmask_b32_e32 v124, v124, v37, vcc_lo
	v_cmp_eq_u32_e32 vcc_lo, 4, v0
	s_delay_alu instid0(VALU_DEP_2) | instskip(SKIP_1) | instid1(VALU_DEP_2)
	v_cndmask_b32_e32 v124, v124, v38, vcc_lo
	v_cmp_eq_u32_e32 vcc_lo, 5, v0
	;; [unrolled: 5-line block ×13, first 2 shown]
	v_cndmask_b32_e32 v124, v124, v61, vcc_lo
	v_cmp_eq_u32_e32 vcc_lo, 28, v0
	s_delay_alu instid0(VALU_DEP_2) | instskip(SKIP_1) | instid1(VALU_DEP_1)
	v_cndmask_b32_e32 v124, v124, v62, vcc_lo
	s_wait_dscnt 0x0
	v_mul_f32_e32 v128, v124, v125
	s_cbranch_execz .LBB92_405
	s_branch .LBB92_406
.LBB92_404:
                                        ; implicit-def: $vgpr128
.LBB92_405:
	ds_load_b32 v128, v127
.LBB92_406:
	s_and_saveexec_b32 s5, s0
	s_cbranch_execz .LBB92_416
; %bb.407:
	v_dual_add_nc_u32 v124, -3, v0 :: v_dual_add_nc_u32 v125, -2, v0
	s_delay_alu instid0(VALU_DEP_1)
	v_cmp_lt_u32_e32 vcc_lo, 6, v124
	v_mov_b32_e32 v124, 2
	s_and_saveexec_b32 s0, vcc_lo
	s_cbranch_execz .LBB92_411
; %bb.408:
	v_and_b32_e32 v124, -8, v125
	s_mov_b32 s6, 0
	s_mov_b64 s[2:3], 9
	s_movk_i32 s7, 0x88
	s_delay_alu instid0(VALU_DEP_1)
	v_sub_nc_u32_e32 v126, 0, v124
.LBB92_409:                             ; =>This Inner Loop Header: Depth=1
	s_add_co_i32 m0, s2, -7
	v_movrels_b32_e32 v129, v34
	v_mov_b32_e32 v124, s7
	s_add_co_i32 m0, s2, -6
	s_add_co_i32 s7, s7, 32
	v_movrels_b32_e32 v138, v34
	s_add_co_i32 m0, s2, -5
	ds_load_2addr_b64 v[130:133], v124 offset1:1
	ds_load_2addr_b64 v[134:137], v124 offset0:2 offset1:3
	v_movrels_b32_e32 v124, v34
	s_add_co_i32 m0, s2, -4
	s_wait_dscnt 0x1
	v_fmac_f32_e32 v128, v129, v130
	v_movrels_b32_e32 v129, v34
	s_add_co_i32 m0, s2, -3
	s_delay_alu instid0(VALU_DEP_2) | instskip(NEXT) | instid1(VALU_DEP_1)
	v_fmac_f32_e32 v128, v138, v131
	v_fmac_f32_e32 v128, v124, v132
	v_movrels_b32_e32 v124, v34
	s_add_co_i32 m0, s2, -2
	s_delay_alu instid0(VALU_DEP_2) | instskip(SKIP_3) | instid1(VALU_DEP_2)
	v_fmac_f32_e32 v128, v129, v133
	v_movrels_b32_e32 v129, v34
	s_add_co_i32 m0, s2, -1
	s_wait_dscnt 0x0
	v_fmac_f32_e32 v128, v124, v134
	v_movrels_b32_e32 v124, v34
	s_mov_b32 m0, s2
	s_add_nc_u64 s[2:3], s[2:3], 8
	v_movrels_b32_e32 v130, v34
	v_dual_fmac_f32 v128, v129, v135 :: v_dual_add_nc_u32 v129, s2, v126
	s_add_co_i32 s8, s2, -7
	s_delay_alu instid0(VALU_DEP_1) | instskip(NEXT) | instid1(VALU_DEP_2)
	v_fmac_f32_e32 v128, v124, v136
	v_cmp_eq_u32_e32 vcc_lo, 9, v129
	s_delay_alu instid0(VALU_DEP_2) | instskip(SKIP_1) | instid1(SALU_CYCLE_1)
	v_dual_mov_b32 v124, s8 :: v_dual_fmac_f32 v128, v130, v137
	s_or_b32 s6, vcc_lo, s6
	s_and_not1_b32 exec_lo, exec_lo, s6
	s_cbranch_execnz .LBB92_409
; %bb.410:
	s_or_b32 exec_lo, exec_lo, s6
.LBB92_411:
	s_delay_alu instid0(SALU_CYCLE_1) | instskip(SKIP_3) | instid1(VALU_DEP_1)
	s_or_b32 exec_lo, exec_lo, s0
	v_and_b32_e32 v63, 7, v125
	s_mov_b32 s2, 0
	s_mov_b32 s0, exec_lo
	v_cmpx_ne_u32_e32 0, v63
	s_cbranch_execz .LBB92_415
; %bb.412:
	v_lshl_add_u32 v64, v124, 2, 0x80
	v_mov_b32_e32 v125, 0
.LBB92_413:                             ; =>This Inner Loop Header: Depth=1
	v_cmp_eq_u32_e32 vcc_lo, 1, v124
	ds_load_b32 v126, v64
	v_dual_add_nc_u32 v64, 4, v64 :: v_dual_add_nc_u32 v63, -1, v63
	v_cndmask_b32_e32 v65, v34, v35, vcc_lo
	v_cmp_eq_u32_e32 vcc_lo, 2, v124
	s_delay_alu instid0(VALU_DEP_2) | instskip(SKIP_1) | instid1(VALU_DEP_2)
	v_cndmask_b32_e32 v65, v65, v36, vcc_lo
	v_cmp_eq_u32_e32 vcc_lo, 3, v124
	v_cndmask_b32_e32 v65, v65, v37, vcc_lo
	v_cmp_eq_u32_e32 vcc_lo, 4, v124
	s_delay_alu instid0(VALU_DEP_2) | instskip(SKIP_1) | instid1(VALU_DEP_2)
	v_cndmask_b32_e32 v65, v65, v38, vcc_lo
	v_cmp_eq_u32_e32 vcc_lo, 5, v124
	;; [unrolled: 5-line block ×13, first 2 shown]
	v_cndmask_b32_e32 v65, v65, v61, vcc_lo
	v_cmp_eq_u32_e32 vcc_lo, 28, v124
	v_add_nc_u64_e32 v[124:125], 1, v[124:125]
	s_delay_alu instid0(VALU_DEP_3) | instskip(SKIP_2) | instid1(VALU_DEP_2)
	v_cndmask_b32_e32 v65, v65, v62, vcc_lo
	v_cmp_eq_u32_e32 vcc_lo, 0, v63
	s_wait_dscnt 0x0
	v_fmac_f32_e32 v128, v65, v126
	s_or_b32 s2, vcc_lo, s2
	s_delay_alu instid0(SALU_CYCLE_1)
	s_and_not1_b32 exec_lo, exec_lo, s2
	s_cbranch_execnz .LBB92_413
; %bb.414:
	s_or_b32 exec_lo, exec_lo, s2
.LBB92_415:
	s_delay_alu instid0(SALU_CYCLE_1)
	s_or_b32 exec_lo, exec_lo, s0
.LBB92_416:
	s_delay_alu instid0(SALU_CYCLE_1)
	s_or_b32 exec_lo, exec_lo, s5
	v_mov_b32_e32 v35, 0
	ds_load_b32 v35, v35 offset:4
	s_wait_dscnt 0x0
	v_mul_f32_e32 v35, v128, v35
.LBB92_417:
	s_or_b32 exec_lo, exec_lo, s4
	s_mov_b32 s2, 0
	s_mov_b32 s3, exec_lo
	ds_store_b32 v127, v34
	s_wait_dscnt 0x0
	s_barrier_signal -1
	s_barrier_wait -1
	v_cmpx_ne_u32_e32 0, v0
	s_cbranch_execz .LBB92_433
; %bb.418:
	s_and_not1_b32 vcc_lo, exec_lo, s29
	s_cbranch_vccnz .LBB92_420
; %bb.419:
	v_cmp_eq_u32_e32 vcc_lo, 1, v0
	ds_load_b32 v125, v127
	v_cndmask_b32_e32 v124, v34, v35, vcc_lo
	v_cmp_eq_u32_e32 vcc_lo, 2, v0
	s_delay_alu instid0(VALU_DEP_2) | instskip(SKIP_1) | instid1(VALU_DEP_2)
	v_cndmask_b32_e32 v124, v124, v36, vcc_lo
	v_cmp_eq_u32_e32 vcc_lo, 3, v0
	v_cndmask_b32_e32 v124, v124, v37, vcc_lo
	v_cmp_eq_u32_e32 vcc_lo, 4, v0
	s_delay_alu instid0(VALU_DEP_2) | instskip(SKIP_1) | instid1(VALU_DEP_2)
	v_cndmask_b32_e32 v124, v124, v38, vcc_lo
	v_cmp_eq_u32_e32 vcc_lo, 5, v0
	v_cndmask_b32_e32 v124, v124, v39, vcc_lo
	v_cmp_eq_u32_e32 vcc_lo, 6, v0
	s_delay_alu instid0(VALU_DEP_2) | instskip(SKIP_1) | instid1(VALU_DEP_2)
	v_cndmask_b32_e32 v124, v124, v40, vcc_lo
	v_cmp_eq_u32_e32 vcc_lo, 7, v0
	v_cndmask_b32_e32 v124, v124, v41, vcc_lo
	v_cmp_eq_u32_e32 vcc_lo, 8, v0
	s_delay_alu instid0(VALU_DEP_2) | instskip(SKIP_1) | instid1(VALU_DEP_2)
	v_cndmask_b32_e32 v124, v124, v42, vcc_lo
	v_cmp_eq_u32_e32 vcc_lo, 9, v0
	v_cndmask_b32_e32 v124, v124, v43, vcc_lo
	v_cmp_eq_u32_e32 vcc_lo, 10, v0
	s_delay_alu instid0(VALU_DEP_2) | instskip(SKIP_1) | instid1(VALU_DEP_2)
	v_cndmask_b32_e32 v124, v124, v44, vcc_lo
	v_cmp_eq_u32_e32 vcc_lo, 11, v0
	v_cndmask_b32_e32 v124, v124, v45, vcc_lo
	v_cmp_eq_u32_e32 vcc_lo, 12, v0
	s_delay_alu instid0(VALU_DEP_2) | instskip(SKIP_1) | instid1(VALU_DEP_2)
	v_cndmask_b32_e32 v124, v124, v46, vcc_lo
	v_cmp_eq_u32_e32 vcc_lo, 13, v0
	v_cndmask_b32_e32 v124, v124, v47, vcc_lo
	v_cmp_eq_u32_e32 vcc_lo, 14, v0
	s_delay_alu instid0(VALU_DEP_2) | instskip(SKIP_1) | instid1(VALU_DEP_2)
	v_cndmask_b32_e32 v124, v124, v48, vcc_lo
	v_cmp_eq_u32_e32 vcc_lo, 15, v0
	v_cndmask_b32_e32 v124, v124, v49, vcc_lo
	v_cmp_eq_u32_e32 vcc_lo, 16, v0
	s_delay_alu instid0(VALU_DEP_2) | instskip(SKIP_1) | instid1(VALU_DEP_2)
	v_cndmask_b32_e32 v124, v124, v50, vcc_lo
	v_cmp_eq_u32_e32 vcc_lo, 17, v0
	v_cndmask_b32_e32 v124, v124, v51, vcc_lo
	v_cmp_eq_u32_e32 vcc_lo, 18, v0
	s_delay_alu instid0(VALU_DEP_2) | instskip(SKIP_1) | instid1(VALU_DEP_2)
	v_cndmask_b32_e32 v124, v124, v52, vcc_lo
	v_cmp_eq_u32_e32 vcc_lo, 19, v0
	v_cndmask_b32_e32 v124, v124, v53, vcc_lo
	v_cmp_eq_u32_e32 vcc_lo, 20, v0
	s_delay_alu instid0(VALU_DEP_2) | instskip(SKIP_1) | instid1(VALU_DEP_2)
	v_cndmask_b32_e32 v124, v124, v54, vcc_lo
	v_cmp_eq_u32_e32 vcc_lo, 21, v0
	v_cndmask_b32_e32 v124, v124, v55, vcc_lo
	v_cmp_eq_u32_e32 vcc_lo, 22, v0
	s_delay_alu instid0(VALU_DEP_2) | instskip(SKIP_1) | instid1(VALU_DEP_2)
	v_cndmask_b32_e32 v124, v124, v56, vcc_lo
	v_cmp_eq_u32_e32 vcc_lo, 23, v0
	v_cndmask_b32_e32 v124, v124, v57, vcc_lo
	v_cmp_eq_u32_e32 vcc_lo, 24, v0
	s_delay_alu instid0(VALU_DEP_2) | instskip(SKIP_1) | instid1(VALU_DEP_2)
	v_cndmask_b32_e32 v124, v124, v58, vcc_lo
	v_cmp_eq_u32_e32 vcc_lo, 25, v0
	v_cndmask_b32_e32 v124, v124, v59, vcc_lo
	v_cmp_eq_u32_e32 vcc_lo, 26, v0
	s_delay_alu instid0(VALU_DEP_2) | instskip(SKIP_1) | instid1(VALU_DEP_2)
	v_cndmask_b32_e32 v124, v124, v60, vcc_lo
	v_cmp_eq_u32_e32 vcc_lo, 27, v0
	v_cndmask_b32_e32 v124, v124, v61, vcc_lo
	v_cmp_eq_u32_e32 vcc_lo, 28, v0
	s_delay_alu instid0(VALU_DEP_2) | instskip(SKIP_1) | instid1(VALU_DEP_1)
	v_cndmask_b32_e32 v124, v124, v62, vcc_lo
	s_wait_dscnt 0x0
	v_mul_f32_e32 v128, v124, v125
	s_cbranch_execz .LBB92_421
	s_branch .LBB92_422
.LBB92_420:
                                        ; implicit-def: $vgpr128
.LBB92_421:
	ds_load_b32 v128, v127
.LBB92_422:
	s_and_saveexec_b32 s4, s1
	s_cbranch_execz .LBB92_432
; %bb.423:
	v_dual_add_nc_u32 v124, -2, v0 :: v_dual_add_nc_u32 v125, -1, v0
	s_delay_alu instid0(VALU_DEP_1)
	v_cmp_lt_u32_e32 vcc_lo, 6, v124
	v_mov_b32_e32 v124, 1
	s_and_saveexec_b32 s5, vcc_lo
	s_cbranch_execz .LBB92_427
; %bb.424:
	v_and_b32_e32 v124, -8, v125
	s_mov_b32 s6, 0
	s_mov_b64 s[0:1], 8
	s_movk_i32 s7, 0x84
	s_delay_alu instid0(VALU_DEP_1)
	v_sub_nc_u32_e32 v126, 0, v124
.LBB92_425:                             ; =>This Inner Loop Header: Depth=1
	s_add_co_i32 m0, s0, -7
	v_movrels_b32_e32 v129, v34
	v_mov_b32_e32 v124, s7
	s_add_co_i32 m0, s0, -6
	s_add_co_i32 s7, s7, 32
	v_movrels_b32_e32 v138, v34
	ds_load_2addr_b32 v[130:131], v124 offset1:1
	ds_load_2addr_b32 v[132:133], v124 offset0:2 offset1:3
	s_add_co_i32 m0, s0, -5
	s_wait_dscnt 0x1
	v_fmac_f32_e32 v128, v129, v130
	ds_load_2addr_b32 v[134:135], v124 offset0:4 offset1:5
	ds_load_2addr_b32 v[136:137], v124 offset0:6 offset1:7
	v_movrels_b32_e32 v124, v34
	s_add_co_i32 m0, s0, -4
	v_fmac_f32_e32 v128, v138, v131
	v_movrels_b32_e32 v129, v34
	s_add_co_i32 m0, s0, -3
	s_wait_dscnt 0x2
	s_delay_alu instid0(VALU_DEP_2) | instskip(SKIP_2) | instid1(VALU_DEP_2)
	v_fmac_f32_e32 v128, v124, v132
	v_movrels_b32_e32 v124, v34
	s_add_co_i32 m0, s0, -2
	v_fmac_f32_e32 v128, v129, v133
	v_movrels_b32_e32 v129, v34
	s_add_co_i32 m0, s0, -1
	s_wait_dscnt 0x1
	s_delay_alu instid0(VALU_DEP_2)
	v_fmac_f32_e32 v128, v124, v134
	v_movrels_b32_e32 v124, v34
	s_mov_b32 m0, s0
	s_add_nc_u64 s[0:1], s[0:1], 8
	v_movrels_b32_e32 v130, v34
	v_dual_fmac_f32 v128, v129, v135 :: v_dual_add_nc_u32 v129, s0, v126
	s_add_co_i32 s8, s0, -7
	s_wait_dscnt 0x0
	s_delay_alu instid0(VALU_DEP_1) | instskip(NEXT) | instid1(VALU_DEP_2)
	v_fmac_f32_e32 v128, v124, v136
	v_cmp_eq_u32_e32 vcc_lo, 8, v129
	s_delay_alu instid0(VALU_DEP_2) | instskip(SKIP_1) | instid1(SALU_CYCLE_1)
	v_dual_mov_b32 v124, s8 :: v_dual_fmac_f32 v128, v130, v137
	s_or_b32 s6, vcc_lo, s6
	s_and_not1_b32 exec_lo, exec_lo, s6
	s_cbranch_execnz .LBB92_425
; %bb.426:
	s_or_b32 exec_lo, exec_lo, s6
.LBB92_427:
	s_delay_alu instid0(SALU_CYCLE_1) | instskip(SKIP_3) | instid1(VALU_DEP_1)
	s_or_b32 exec_lo, exec_lo, s5
	v_and_b32_e32 v63, 7, v125
	s_mov_b32 s1, 0
	s_mov_b32 s0, exec_lo
	v_cmpx_ne_u32_e32 0, v63
	s_cbranch_execz .LBB92_431
; %bb.428:
	v_lshl_add_u32 v64, v124, 2, 0x80
	v_mov_b32_e32 v125, 0
.LBB92_429:                             ; =>This Inner Loop Header: Depth=1
	v_cmp_eq_u32_e32 vcc_lo, 1, v124
	ds_load_b32 v126, v64
	v_dual_add_nc_u32 v64, 4, v64 :: v_dual_add_nc_u32 v63, -1, v63
	v_cndmask_b32_e32 v65, v34, v35, vcc_lo
	v_cmp_eq_u32_e32 vcc_lo, 2, v124
	s_delay_alu instid0(VALU_DEP_2) | instskip(SKIP_1) | instid1(VALU_DEP_2)
	v_cndmask_b32_e32 v65, v65, v36, vcc_lo
	v_cmp_eq_u32_e32 vcc_lo, 3, v124
	v_cndmask_b32_e32 v65, v65, v37, vcc_lo
	v_cmp_eq_u32_e32 vcc_lo, 4, v124
	s_delay_alu instid0(VALU_DEP_2) | instskip(SKIP_1) | instid1(VALU_DEP_2)
	v_cndmask_b32_e32 v65, v65, v38, vcc_lo
	v_cmp_eq_u32_e32 vcc_lo, 5, v124
	;; [unrolled: 5-line block ×13, first 2 shown]
	v_cndmask_b32_e32 v65, v65, v61, vcc_lo
	v_cmp_eq_u32_e32 vcc_lo, 28, v124
	v_add_nc_u64_e32 v[124:125], 1, v[124:125]
	s_delay_alu instid0(VALU_DEP_3) | instskip(SKIP_2) | instid1(VALU_DEP_2)
	v_cndmask_b32_e32 v65, v65, v62, vcc_lo
	v_cmp_eq_u32_e32 vcc_lo, 0, v63
	s_wait_dscnt 0x0
	v_fmac_f32_e32 v128, v65, v126
	s_or_b32 s1, vcc_lo, s1
	s_delay_alu instid0(SALU_CYCLE_1)
	s_and_not1_b32 exec_lo, exec_lo, s1
	s_cbranch_execnz .LBB92_429
; %bb.430:
	s_or_b32 exec_lo, exec_lo, s1
.LBB92_431:
	s_delay_alu instid0(SALU_CYCLE_1)
	s_or_b32 exec_lo, exec_lo, s0
.LBB92_432:
	s_delay_alu instid0(SALU_CYCLE_1)
	s_or_b32 exec_lo, exec_lo, s4
	v_mov_b32_e32 v34, 0
	ds_load_b32 v34, v34
	s_wait_dscnt 0x0
	v_mul_f32_e32 v34, v128, v34
.LBB92_433:
	s_or_b32 exec_lo, exec_lo, s3
	s_delay_alu instid0(SALU_CYCLE_1)
	s_and_b32 vcc_lo, exec_lo, s2
	s_cbranch_vccz .LBB92_717
.LBB92_434:
	v_cmp_eq_u32_e64 s0, 0, v0
	s_wait_loadcnt_dscnt 0x1c1d
	ds_store_b32 v127, v3
	s_wait_loadcnt_dscnt 0x0
	s_barrier_signal -1
	s_barrier_wait -1
	s_and_saveexec_b32 s1, s0
	s_cbranch_execz .LBB92_440
; %bb.435:
	s_and_b32 vcc_lo, exec_lo, s29
	s_cbranch_vccz .LBB92_437
; %bb.436:
	v_cmp_eq_u32_e32 vcc_lo, 1, v0
	ds_load_b32 v31, v127
	v_cndmask_b32_e32 v3, v2, v3, vcc_lo
	v_cmp_eq_u32_e32 vcc_lo, 2, v0
	s_delay_alu instid0(VALU_DEP_2) | instskip(SKIP_1) | instid1(VALU_DEP_2)
	v_cndmask_b32_e32 v3, v3, v4, vcc_lo
	v_cmp_eq_u32_e32 vcc_lo, 3, v0
	v_cndmask_b32_e32 v3, v3, v5, vcc_lo
	v_cmp_eq_u32_e32 vcc_lo, 4, v0
	s_delay_alu instid0(VALU_DEP_2) | instskip(SKIP_1) | instid1(VALU_DEP_2)
	v_cndmask_b32_e32 v3, v3, v6, vcc_lo
	v_cmp_eq_u32_e32 vcc_lo, 5, v0
	;; [unrolled: 5-line block ×13, first 2 shown]
	v_cndmask_b32_e32 v3, v3, v29, vcc_lo
	v_cmp_eq_u32_e32 vcc_lo, 28, v0
	s_delay_alu instid0(VALU_DEP_2) | instskip(SKIP_1) | instid1(VALU_DEP_1)
	v_cndmask_b32_e32 v3, v3, v30, vcc_lo
	s_wait_dscnt 0x0
	v_mul_f32_e32 v3, v3, v31
	s_cbranch_execz .LBB92_438
	s_branch .LBB92_439
.LBB92_437:
                                        ; implicit-def: $vgpr3
.LBB92_438:
	ds_load_b32 v3, v127
.LBB92_439:
	v_mov_b32_e32 v31, 0
	ds_load_b32 v31, v31 offset:4
	s_wait_dscnt 0x0
	v_mul_f32_e32 v3, v3, v31
.LBB92_440:
	s_or_b32 exec_lo, exec_lo, s1
	v_cndmask_b32_e64 v34, 0, 1, s29
	s_mov_b32 s1, exec_lo
	ds_store_b32 v127, v4
	s_wait_dscnt 0x0
	s_barrier_signal -1
	s_barrier_wait -1
	v_cmpx_gt_u32_e32 2, v0
	s_cbranch_execz .LBB92_446
; %bb.441:
	s_and_not1_b32 vcc_lo, exec_lo, s29
	s_cbranch_vccnz .LBB92_443
; %bb.442:
	v_cmp_eq_u32_e32 vcc_lo, 1, v0
	v_cndmask_b32_e32 v31, v2, v3, vcc_lo
	v_cmp_eq_u32_e32 vcc_lo, 2, v0
	s_delay_alu instid0(VALU_DEP_2) | instskip(SKIP_4) | instid1(VALU_DEP_2)
	v_cndmask_b32_e32 v4, v31, v4, vcc_lo
	v_cmp_eq_u32_e32 vcc_lo, 3, v0
	ds_load_b32 v31, v127
	v_cndmask_b32_e32 v4, v4, v5, vcc_lo
	v_cmp_eq_u32_e32 vcc_lo, 4, v0
	v_cndmask_b32_e32 v4, v4, v6, vcc_lo
	v_cmp_eq_u32_e32 vcc_lo, 5, v0
	s_delay_alu instid0(VALU_DEP_2) | instskip(SKIP_1) | instid1(VALU_DEP_2)
	v_cndmask_b32_e32 v4, v4, v7, vcc_lo
	v_cmp_eq_u32_e32 vcc_lo, 6, v0
	v_cndmask_b32_e32 v4, v4, v8, vcc_lo
	v_cmp_eq_u32_e32 vcc_lo, 7, v0
	s_delay_alu instid0(VALU_DEP_2) | instskip(SKIP_1) | instid1(VALU_DEP_2)
	;; [unrolled: 5-line block ×12, first 2 shown]
	v_cndmask_b32_e32 v4, v4, v29, vcc_lo
	v_cmp_eq_u32_e32 vcc_lo, 28, v0
	v_cndmask_b32_e32 v4, v4, v30, vcc_lo
	s_wait_dscnt 0x0
	s_delay_alu instid0(VALU_DEP_1)
	v_mul_f32_e32 v4, v4, v31
	s_cbranch_execz .LBB92_444
	s_branch .LBB92_445
.LBB92_443:
                                        ; implicit-def: $vgpr4
.LBB92_444:
	ds_load_b32 v4, v127
.LBB92_445:
	v_mov_b32_e32 v31, 0
	ds_load_2addr_b32 v[32:33], v31 offset0:2 offset1:33
	s_wait_dscnt 0x0
	v_fma_f32 v31, v3, v33, v4
	s_delay_alu instid0(VALU_DEP_1) | instskip(NEXT) | instid1(VALU_DEP_1)
	v_cndmask_b32_e64 v4, v4, v31, s0
	v_mul_f32_e32 v4, v4, v32
.LBB92_446:
	s_or_b32 exec_lo, exec_lo, s1
	v_add_nc_u32_e32 v35, 1, v0
	v_cmp_gt_u32_e64 s1, 3, v0
	ds_store_b32 v127, v5
	s_wait_dscnt 0x0
	s_barrier_signal -1
	s_barrier_wait -1
	s_and_saveexec_b32 s2, s1
	s_cbranch_execz .LBB92_454
; %bb.447:
	v_cmp_ne_u32_e32 vcc_lo, 1, v34
	s_cbranch_vccnz .LBB92_449
; %bb.448:
	v_cmp_eq_u32_e32 vcc_lo, 1, v0
	ds_load_b32 v32, v127
	v_cndmask_b32_e32 v31, v2, v3, vcc_lo
	v_cmp_eq_u32_e32 vcc_lo, 2, v0
	s_delay_alu instid0(VALU_DEP_2) | instskip(SKIP_1) | instid1(VALU_DEP_2)
	v_cndmask_b32_e32 v31, v31, v4, vcc_lo
	v_cmp_eq_u32_e32 vcc_lo, 3, v0
	v_cndmask_b32_e32 v31, v31, v5, vcc_lo
	v_cmp_eq_u32_e32 vcc_lo, 4, v0
	s_delay_alu instid0(VALU_DEP_2) | instskip(SKIP_1) | instid1(VALU_DEP_2)
	v_cndmask_b32_e32 v31, v31, v6, vcc_lo
	v_cmp_eq_u32_e32 vcc_lo, 5, v0
	;; [unrolled: 5-line block ×13, first 2 shown]
	v_cndmask_b32_e32 v31, v31, v29, vcc_lo
	v_cmp_eq_u32_e32 vcc_lo, 28, v0
	s_delay_alu instid0(VALU_DEP_2) | instskip(SKIP_1) | instid1(VALU_DEP_1)
	v_cndmask_b32_e32 v31, v31, v30, vcc_lo
	s_wait_dscnt 0x0
	v_mul_f32_e32 v31, v31, v32
	s_cbranch_execz .LBB92_450
	s_branch .LBB92_451
.LBB92_449:
                                        ; implicit-def: $vgpr31
.LBB92_450:
	ds_load_b32 v31, v127
.LBB92_451:
	s_mov_b32 s3, exec_lo
	v_cmpx_ne_u32_e32 2, v0
	s_cbranch_execz .LBB92_453
; %bb.452:
	v_cmp_eq_u32_e32 vcc_lo, 1, v35
	v_dual_mov_b32 v33, 0 :: v_dual_cndmask_b32 v32, v2, v3
	v_cmp_eq_u32_e32 vcc_lo, 2, v35
	ds_load_b32 v33, v33 offset:136
	v_cndmask_b32_e32 v32, v32, v4, vcc_lo
	v_cmp_eq_u32_e32 vcc_lo, 3, v35
	s_delay_alu instid0(VALU_DEP_2) | instskip(SKIP_4) | instid1(VALU_DEP_2)
	v_cndmask_b32_e32 v5, v32, v5, vcc_lo
	v_cmp_eq_u32_e32 vcc_lo, 4, v35
	ds_load_b32 v32, v127 offset:4
	v_cndmask_b32_e32 v5, v5, v6, vcc_lo
	v_cmp_eq_u32_e32 vcc_lo, 5, v35
	v_cndmask_b32_e32 v5, v5, v7, vcc_lo
	v_cmp_eq_u32_e32 vcc_lo, 6, v35
	s_delay_alu instid0(VALU_DEP_2) | instskip(SKIP_1) | instid1(VALU_DEP_2)
	v_cndmask_b32_e32 v5, v5, v8, vcc_lo
	v_cmp_eq_u32_e32 vcc_lo, 7, v35
	v_cndmask_b32_e32 v5, v5, v9, vcc_lo
	v_cmp_eq_u32_e32 vcc_lo, 8, v35
	s_delay_alu instid0(VALU_DEP_2) | instskip(SKIP_1) | instid1(VALU_DEP_2)
	v_cndmask_b32_e32 v5, v5, v10, vcc_lo
	v_cmp_eq_u32_e32 vcc_lo, 9, v35
	v_cndmask_b32_e32 v5, v5, v11, vcc_lo
	v_cmp_eq_u32_e32 vcc_lo, 10, v35
	s_delay_alu instid0(VALU_DEP_2) | instskip(SKIP_1) | instid1(VALU_DEP_2)
	v_cndmask_b32_e32 v5, v5, v12, vcc_lo
	v_cmp_eq_u32_e32 vcc_lo, 11, v35
	v_cndmask_b32_e32 v5, v5, v13, vcc_lo
	v_cmp_eq_u32_e32 vcc_lo, 12, v35
	s_delay_alu instid0(VALU_DEP_2) | instskip(SKIP_1) | instid1(VALU_DEP_2)
	v_cndmask_b32_e32 v5, v5, v14, vcc_lo
	v_cmp_eq_u32_e32 vcc_lo, 13, v35
	v_cndmask_b32_e32 v5, v5, v15, vcc_lo
	v_cmp_eq_u32_e32 vcc_lo, 14, v35
	s_delay_alu instid0(VALU_DEP_2) | instskip(SKIP_1) | instid1(VALU_DEP_2)
	v_cndmask_b32_e32 v5, v5, v16, vcc_lo
	v_cmp_eq_u32_e32 vcc_lo, 15, v35
	v_cndmask_b32_e32 v5, v5, v17, vcc_lo
	v_cmp_eq_u32_e32 vcc_lo, 16, v35
	s_delay_alu instid0(VALU_DEP_2) | instskip(SKIP_1) | instid1(VALU_DEP_2)
	v_cndmask_b32_e32 v5, v5, v18, vcc_lo
	v_cmp_eq_u32_e32 vcc_lo, 17, v35
	v_cndmask_b32_e32 v5, v5, v19, vcc_lo
	v_cmp_eq_u32_e32 vcc_lo, 18, v35
	s_delay_alu instid0(VALU_DEP_2) | instskip(SKIP_1) | instid1(VALU_DEP_2)
	v_cndmask_b32_e32 v5, v5, v20, vcc_lo
	v_cmp_eq_u32_e32 vcc_lo, 19, v35
	v_cndmask_b32_e32 v5, v5, v21, vcc_lo
	v_cmp_eq_u32_e32 vcc_lo, 20, v35
	s_delay_alu instid0(VALU_DEP_2) | instskip(SKIP_1) | instid1(VALU_DEP_2)
	v_cndmask_b32_e32 v5, v5, v22, vcc_lo
	v_cmp_eq_u32_e32 vcc_lo, 21, v35
	v_cndmask_b32_e32 v5, v5, v23, vcc_lo
	v_cmp_eq_u32_e32 vcc_lo, 22, v35
	s_delay_alu instid0(VALU_DEP_2) | instskip(SKIP_1) | instid1(VALU_DEP_2)
	v_cndmask_b32_e32 v5, v5, v24, vcc_lo
	v_cmp_eq_u32_e32 vcc_lo, 23, v35
	v_cndmask_b32_e32 v5, v5, v25, vcc_lo
	v_cmp_eq_u32_e32 vcc_lo, 24, v35
	s_delay_alu instid0(VALU_DEP_2) | instskip(SKIP_1) | instid1(VALU_DEP_2)
	v_cndmask_b32_e32 v5, v5, v26, vcc_lo
	v_cmp_eq_u32_e32 vcc_lo, 25, v35
	v_cndmask_b32_e32 v5, v5, v27, vcc_lo
	v_cmp_eq_u32_e32 vcc_lo, 26, v35
	s_delay_alu instid0(VALU_DEP_2) | instskip(SKIP_1) | instid1(VALU_DEP_2)
	v_cndmask_b32_e32 v5, v5, v28, vcc_lo
	v_cmp_eq_u32_e32 vcc_lo, 27, v35
	v_cndmask_b32_e32 v5, v5, v29, vcc_lo
	v_cmp_eq_u32_e32 vcc_lo, 28, v35
	s_delay_alu instid0(VALU_DEP_2) | instskip(SKIP_1) | instid1(VALU_DEP_1)
	v_cndmask_b32_e32 v5, v5, v30, vcc_lo
	s_wait_dscnt 0x0
	v_fmac_f32_e32 v31, v5, v32
	s_delay_alu instid0(VALU_DEP_1) | instskip(NEXT) | instid1(VALU_DEP_1)
	v_fma_f32 v5, v4, v33, v31
	v_cndmask_b32_e64 v31, v31, v5, s0
.LBB92_453:
	s_or_b32 exec_lo, exec_lo, s3
	v_mov_b32_e32 v5, 0
	ds_load_b32 v5, v5 offset:12
	s_wait_dscnt 0x0
	v_mul_f32_e32 v5, v31, v5
.LBB92_454:
	s_or_b32 exec_lo, exec_lo, s2
	s_delay_alu instid0(SALU_CYCLE_1)
	s_mov_b32 s2, exec_lo
	ds_store_b32 v127, v6
	s_wait_dscnt 0x0
	s_barrier_signal -1
	s_barrier_wait -1
	v_cmpx_gt_u32_e32 4, v0
	s_cbranch_execz .LBB92_464
; %bb.455:
	v_cmp_ne_u32_e32 vcc_lo, 1, v34
	s_cbranch_vccnz .LBB92_457
; %bb.456:
	v_cmp_eq_u32_e32 vcc_lo, 1, v0
	ds_load_b32 v32, v127
	v_cndmask_b32_e32 v31, v2, v3, vcc_lo
	v_cmp_eq_u32_e32 vcc_lo, 2, v0
	s_delay_alu instid0(VALU_DEP_2) | instskip(SKIP_1) | instid1(VALU_DEP_2)
	v_cndmask_b32_e32 v31, v31, v4, vcc_lo
	v_cmp_eq_u32_e32 vcc_lo, 3, v0
	v_cndmask_b32_e32 v31, v31, v5, vcc_lo
	v_cmp_eq_u32_e32 vcc_lo, 4, v0
	s_delay_alu instid0(VALU_DEP_2) | instskip(SKIP_1) | instid1(VALU_DEP_2)
	v_cndmask_b32_e32 v31, v31, v6, vcc_lo
	v_cmp_eq_u32_e32 vcc_lo, 5, v0
	;; [unrolled: 5-line block ×13, first 2 shown]
	v_cndmask_b32_e32 v31, v31, v29, vcc_lo
	v_cmp_eq_u32_e32 vcc_lo, 28, v0
	s_delay_alu instid0(VALU_DEP_2) | instskip(SKIP_1) | instid1(VALU_DEP_1)
	v_cndmask_b32_e32 v31, v31, v30, vcc_lo
	s_wait_dscnt 0x0
	v_mul_f32_e32 v31, v31, v32
	s_cbranch_execz .LBB92_458
	s_branch .LBB92_459
.LBB92_457:
                                        ; implicit-def: $vgpr31
.LBB92_458:
	ds_load_b32 v31, v127
.LBB92_459:
	s_mov_b32 s3, exec_lo
	v_cmpx_ne_u32_e32 3, v0
	s_cbranch_execz .LBB92_463
; %bb.460:
	v_mov_b64_e32 v[32:33], v[0:1]
	v_lshl_add_u32 v36, v0, 2, 0x84
	s_mov_b32 s4, 0
.LBB92_461:                             ; =>This Inner Loop Header: Depth=1
	s_delay_alu instid0(VALU_DEP_2)
	v_add_nc_u64_e32 v[32:33], 1, v[32:33]
	ds_load_b32 v38, v36
	v_add_nc_u32_e32 v36, 4, v36
	v_cmp_eq_u32_e32 vcc_lo, 1, v32
	v_cndmask_b32_e32 v37, v2, v3, vcc_lo
	v_cmp_eq_u32_e32 vcc_lo, 2, v32
	s_delay_alu instid0(VALU_DEP_2) | instskip(SKIP_1) | instid1(VALU_DEP_2)
	v_cndmask_b32_e32 v37, v37, v4, vcc_lo
	v_cmp_eq_u32_e32 vcc_lo, 3, v32
	v_cndmask_b32_e32 v37, v37, v5, vcc_lo
	v_cmp_eq_u32_e32 vcc_lo, 4, v32
	s_delay_alu instid0(VALU_DEP_2) | instskip(SKIP_1) | instid1(VALU_DEP_2)
	v_cndmask_b32_e32 v37, v37, v6, vcc_lo
	;; [unrolled: 5-line block ×13, first 2 shown]
	v_cmp_eq_u32_e32 vcc_lo, 27, v32
	v_cndmask_b32_e32 v37, v37, v29, vcc_lo
	v_cmp_eq_u32_e32 vcc_lo, 28, v32
	s_delay_alu instid0(VALU_DEP_2) | instskip(SKIP_2) | instid1(VALU_DEP_2)
	v_cndmask_b32_e32 v37, v37, v30, vcc_lo
	v_cmp_lt_u32_e32 vcc_lo, 2, v32
	s_wait_dscnt 0x0
	v_fmac_f32_e32 v31, v37, v38
	s_or_b32 s4, vcc_lo, s4
	s_delay_alu instid0(SALU_CYCLE_1)
	s_and_not1_b32 exec_lo, exec_lo, s4
	s_cbranch_execnz .LBB92_461
; %bb.462:
	s_or_b32 exec_lo, exec_lo, s4
.LBB92_463:
	s_delay_alu instid0(SALU_CYCLE_1)
	s_or_b32 exec_lo, exec_lo, s3
	v_mov_b32_e32 v6, 0
	ds_load_b32 v6, v6 offset:16
	s_wait_dscnt 0x0
	v_mul_f32_e32 v6, v31, v6
.LBB92_464:
	s_or_b32 exec_lo, exec_lo, s2
	v_cmp_gt_u32_e64 s2, 5, v0
	ds_store_b32 v127, v7
	s_wait_dscnt 0x0
	s_barrier_signal -1
	s_barrier_wait -1
	s_and_saveexec_b32 s3, s2
	s_cbranch_execz .LBB92_474
; %bb.465:
	v_cmp_ne_u32_e32 vcc_lo, 1, v34
	s_cbranch_vccnz .LBB92_467
; %bb.466:
	v_cmp_eq_u32_e32 vcc_lo, 1, v0
	ds_load_b32 v32, v127
	v_cndmask_b32_e32 v31, v2, v3, vcc_lo
	v_cmp_eq_u32_e32 vcc_lo, 2, v0
	s_delay_alu instid0(VALU_DEP_2) | instskip(SKIP_1) | instid1(VALU_DEP_2)
	v_cndmask_b32_e32 v31, v31, v4, vcc_lo
	v_cmp_eq_u32_e32 vcc_lo, 3, v0
	v_cndmask_b32_e32 v31, v31, v5, vcc_lo
	v_cmp_eq_u32_e32 vcc_lo, 4, v0
	s_delay_alu instid0(VALU_DEP_2) | instskip(SKIP_1) | instid1(VALU_DEP_2)
	v_cndmask_b32_e32 v31, v31, v6, vcc_lo
	v_cmp_eq_u32_e32 vcc_lo, 5, v0
	;; [unrolled: 5-line block ×13, first 2 shown]
	v_cndmask_b32_e32 v31, v31, v29, vcc_lo
	v_cmp_eq_u32_e32 vcc_lo, 28, v0
	s_delay_alu instid0(VALU_DEP_2) | instskip(SKIP_1) | instid1(VALU_DEP_1)
	v_cndmask_b32_e32 v31, v31, v30, vcc_lo
	s_wait_dscnt 0x0
	v_mul_f32_e32 v31, v31, v32
	s_cbranch_execz .LBB92_468
	s_branch .LBB92_469
.LBB92_467:
                                        ; implicit-def: $vgpr31
.LBB92_468:
	ds_load_b32 v31, v127
.LBB92_469:
	s_mov_b32 s4, exec_lo
	v_cmpx_ne_u32_e32 4, v0
	s_cbranch_execz .LBB92_473
; %bb.470:
	v_mov_b64_e32 v[32:33], v[0:1]
	v_lshl_add_u32 v36, v0, 2, 0x84
	s_mov_b32 s5, 0
.LBB92_471:                             ; =>This Inner Loop Header: Depth=1
	s_delay_alu instid0(VALU_DEP_2)
	v_add_nc_u64_e32 v[32:33], 1, v[32:33]
	ds_load_b32 v38, v36
	v_add_nc_u32_e32 v36, 4, v36
	v_cmp_eq_u32_e32 vcc_lo, 1, v32
	v_cndmask_b32_e32 v37, v2, v3, vcc_lo
	v_cmp_eq_u32_e32 vcc_lo, 2, v32
	s_delay_alu instid0(VALU_DEP_2) | instskip(SKIP_1) | instid1(VALU_DEP_2)
	v_cndmask_b32_e32 v37, v37, v4, vcc_lo
	v_cmp_eq_u32_e32 vcc_lo, 3, v32
	v_cndmask_b32_e32 v37, v37, v5, vcc_lo
	v_cmp_eq_u32_e32 vcc_lo, 4, v32
	s_delay_alu instid0(VALU_DEP_2) | instskip(SKIP_1) | instid1(VALU_DEP_2)
	v_cndmask_b32_e32 v37, v37, v6, vcc_lo
	;; [unrolled: 5-line block ×13, first 2 shown]
	v_cmp_eq_u32_e32 vcc_lo, 27, v32
	v_cndmask_b32_e32 v37, v37, v29, vcc_lo
	v_cmp_eq_u32_e32 vcc_lo, 28, v32
	s_delay_alu instid0(VALU_DEP_2) | instskip(SKIP_2) | instid1(VALU_DEP_2)
	v_cndmask_b32_e32 v37, v37, v30, vcc_lo
	v_cmp_lt_u32_e32 vcc_lo, 3, v32
	s_wait_dscnt 0x0
	v_fmac_f32_e32 v31, v37, v38
	s_or_b32 s5, vcc_lo, s5
	s_delay_alu instid0(SALU_CYCLE_1)
	s_and_not1_b32 exec_lo, exec_lo, s5
	s_cbranch_execnz .LBB92_471
; %bb.472:
	s_or_b32 exec_lo, exec_lo, s5
.LBB92_473:
	s_delay_alu instid0(SALU_CYCLE_1)
	s_or_b32 exec_lo, exec_lo, s4
	v_mov_b32_e32 v7, 0
	ds_load_b32 v7, v7 offset:20
	s_wait_dscnt 0x0
	v_mul_f32_e32 v7, v31, v7
.LBB92_474:
	s_or_b32 exec_lo, exec_lo, s3
	s_delay_alu instid0(SALU_CYCLE_1)
	s_mov_b32 s3, exec_lo
	ds_store_b32 v127, v8
	s_wait_dscnt 0x0
	s_barrier_signal -1
	s_barrier_wait -1
	v_cmpx_gt_u32_e32 6, v0
	s_cbranch_execz .LBB92_484
; %bb.475:
	v_cmp_ne_u32_e32 vcc_lo, 1, v34
	s_cbranch_vccnz .LBB92_477
; %bb.476:
	v_cmp_eq_u32_e32 vcc_lo, 1, v0
	ds_load_b32 v32, v127
	v_cndmask_b32_e32 v31, v2, v3, vcc_lo
	v_cmp_eq_u32_e32 vcc_lo, 2, v0
	s_delay_alu instid0(VALU_DEP_2) | instskip(SKIP_1) | instid1(VALU_DEP_2)
	v_cndmask_b32_e32 v31, v31, v4, vcc_lo
	v_cmp_eq_u32_e32 vcc_lo, 3, v0
	v_cndmask_b32_e32 v31, v31, v5, vcc_lo
	v_cmp_eq_u32_e32 vcc_lo, 4, v0
	s_delay_alu instid0(VALU_DEP_2) | instskip(SKIP_1) | instid1(VALU_DEP_2)
	v_cndmask_b32_e32 v31, v31, v6, vcc_lo
	v_cmp_eq_u32_e32 vcc_lo, 5, v0
	;; [unrolled: 5-line block ×13, first 2 shown]
	v_cndmask_b32_e32 v31, v31, v29, vcc_lo
	v_cmp_eq_u32_e32 vcc_lo, 28, v0
	s_delay_alu instid0(VALU_DEP_2) | instskip(SKIP_1) | instid1(VALU_DEP_1)
	v_cndmask_b32_e32 v31, v31, v30, vcc_lo
	s_wait_dscnt 0x0
	v_mul_f32_e32 v31, v31, v32
	s_cbranch_execz .LBB92_478
	s_branch .LBB92_479
.LBB92_477:
                                        ; implicit-def: $vgpr31
.LBB92_478:
	ds_load_b32 v31, v127
.LBB92_479:
	s_mov_b32 s4, exec_lo
	v_cmpx_ne_u32_e32 5, v0
	s_cbranch_execz .LBB92_483
; %bb.480:
	v_mov_b64_e32 v[32:33], v[0:1]
	v_lshl_add_u32 v36, v0, 2, 0x84
	s_mov_b32 s5, 0
.LBB92_481:                             ; =>This Inner Loop Header: Depth=1
	s_delay_alu instid0(VALU_DEP_2)
	v_add_nc_u64_e32 v[32:33], 1, v[32:33]
	ds_load_b32 v38, v36
	v_add_nc_u32_e32 v36, 4, v36
	v_cmp_eq_u32_e32 vcc_lo, 1, v32
	v_cndmask_b32_e32 v37, v2, v3, vcc_lo
	v_cmp_eq_u32_e32 vcc_lo, 2, v32
	s_delay_alu instid0(VALU_DEP_2) | instskip(SKIP_1) | instid1(VALU_DEP_2)
	v_cndmask_b32_e32 v37, v37, v4, vcc_lo
	v_cmp_eq_u32_e32 vcc_lo, 3, v32
	v_cndmask_b32_e32 v37, v37, v5, vcc_lo
	v_cmp_eq_u32_e32 vcc_lo, 4, v32
	s_delay_alu instid0(VALU_DEP_2) | instskip(SKIP_1) | instid1(VALU_DEP_2)
	v_cndmask_b32_e32 v37, v37, v6, vcc_lo
	;; [unrolled: 5-line block ×13, first 2 shown]
	v_cmp_eq_u32_e32 vcc_lo, 27, v32
	v_cndmask_b32_e32 v37, v37, v29, vcc_lo
	v_cmp_eq_u32_e32 vcc_lo, 28, v32
	s_delay_alu instid0(VALU_DEP_2) | instskip(SKIP_2) | instid1(VALU_DEP_2)
	v_cndmask_b32_e32 v37, v37, v30, vcc_lo
	v_cmp_lt_u32_e32 vcc_lo, 4, v32
	s_wait_dscnt 0x0
	v_fmac_f32_e32 v31, v37, v38
	s_or_b32 s5, vcc_lo, s5
	s_delay_alu instid0(SALU_CYCLE_1)
	s_and_not1_b32 exec_lo, exec_lo, s5
	s_cbranch_execnz .LBB92_481
; %bb.482:
	s_or_b32 exec_lo, exec_lo, s5
.LBB92_483:
	s_delay_alu instid0(SALU_CYCLE_1)
	s_or_b32 exec_lo, exec_lo, s4
	v_mov_b32_e32 v8, 0
	ds_load_b32 v8, v8 offset:24
	s_wait_dscnt 0x0
	v_mul_f32_e32 v8, v31, v8
.LBB92_484:
	s_or_b32 exec_lo, exec_lo, s3
	v_cmp_gt_u32_e64 s3, 7, v0
	ds_store_b32 v127, v9
	s_wait_dscnt 0x0
	s_barrier_signal -1
	s_barrier_wait -1
	s_and_saveexec_b32 s4, s3
	s_cbranch_execz .LBB92_494
; %bb.485:
	v_cmp_ne_u32_e32 vcc_lo, 1, v34
	s_cbranch_vccnz .LBB92_487
; %bb.486:
	v_cmp_eq_u32_e32 vcc_lo, 1, v0
	ds_load_b32 v32, v127
	v_cndmask_b32_e32 v31, v2, v3, vcc_lo
	v_cmp_eq_u32_e32 vcc_lo, 2, v0
	s_delay_alu instid0(VALU_DEP_2) | instskip(SKIP_1) | instid1(VALU_DEP_2)
	v_cndmask_b32_e32 v31, v31, v4, vcc_lo
	v_cmp_eq_u32_e32 vcc_lo, 3, v0
	v_cndmask_b32_e32 v31, v31, v5, vcc_lo
	v_cmp_eq_u32_e32 vcc_lo, 4, v0
	s_delay_alu instid0(VALU_DEP_2) | instskip(SKIP_1) | instid1(VALU_DEP_2)
	v_cndmask_b32_e32 v31, v31, v6, vcc_lo
	v_cmp_eq_u32_e32 vcc_lo, 5, v0
	;; [unrolled: 5-line block ×13, first 2 shown]
	v_cndmask_b32_e32 v31, v31, v29, vcc_lo
	v_cmp_eq_u32_e32 vcc_lo, 28, v0
	s_delay_alu instid0(VALU_DEP_2) | instskip(SKIP_1) | instid1(VALU_DEP_1)
	v_cndmask_b32_e32 v31, v31, v30, vcc_lo
	s_wait_dscnt 0x0
	v_mul_f32_e32 v31, v31, v32
	s_cbranch_execz .LBB92_488
	s_branch .LBB92_489
.LBB92_487:
                                        ; implicit-def: $vgpr31
.LBB92_488:
	ds_load_b32 v31, v127
.LBB92_489:
	s_mov_b32 s5, exec_lo
	v_cmpx_ne_u32_e32 6, v0
	s_cbranch_execz .LBB92_493
; %bb.490:
	v_mov_b64_e32 v[32:33], v[0:1]
	v_lshl_add_u32 v36, v0, 2, 0x84
	s_mov_b32 s6, 0
.LBB92_491:                             ; =>This Inner Loop Header: Depth=1
	s_delay_alu instid0(VALU_DEP_2)
	v_add_nc_u64_e32 v[32:33], 1, v[32:33]
	ds_load_b32 v38, v36
	v_add_nc_u32_e32 v36, 4, v36
	v_cmp_eq_u32_e32 vcc_lo, 1, v32
	v_cndmask_b32_e32 v37, v2, v3, vcc_lo
	v_cmp_eq_u32_e32 vcc_lo, 2, v32
	s_delay_alu instid0(VALU_DEP_2) | instskip(SKIP_1) | instid1(VALU_DEP_2)
	v_cndmask_b32_e32 v37, v37, v4, vcc_lo
	v_cmp_eq_u32_e32 vcc_lo, 3, v32
	v_cndmask_b32_e32 v37, v37, v5, vcc_lo
	v_cmp_eq_u32_e32 vcc_lo, 4, v32
	s_delay_alu instid0(VALU_DEP_2) | instskip(SKIP_1) | instid1(VALU_DEP_2)
	v_cndmask_b32_e32 v37, v37, v6, vcc_lo
	;; [unrolled: 5-line block ×13, first 2 shown]
	v_cmp_eq_u32_e32 vcc_lo, 27, v32
	v_cndmask_b32_e32 v37, v37, v29, vcc_lo
	v_cmp_eq_u32_e32 vcc_lo, 28, v32
	s_delay_alu instid0(VALU_DEP_2) | instskip(SKIP_2) | instid1(VALU_DEP_2)
	v_cndmask_b32_e32 v37, v37, v30, vcc_lo
	v_cmp_lt_u32_e32 vcc_lo, 5, v32
	s_wait_dscnt 0x0
	v_fmac_f32_e32 v31, v37, v38
	s_or_b32 s6, vcc_lo, s6
	s_delay_alu instid0(SALU_CYCLE_1)
	s_and_not1_b32 exec_lo, exec_lo, s6
	s_cbranch_execnz .LBB92_491
; %bb.492:
	s_or_b32 exec_lo, exec_lo, s6
.LBB92_493:
	s_delay_alu instid0(SALU_CYCLE_1)
	s_or_b32 exec_lo, exec_lo, s5
	v_mov_b32_e32 v9, 0
	ds_load_b32 v9, v9 offset:28
	s_wait_dscnt 0x0
	v_mul_f32_e32 v9, v31, v9
.LBB92_494:
	s_or_b32 exec_lo, exec_lo, s4
	s_delay_alu instid0(SALU_CYCLE_1)
	s_mov_b32 s4, exec_lo
	ds_store_b32 v127, v10
	s_wait_dscnt 0x0
	s_barrier_signal -1
	s_barrier_wait -1
	v_cmpx_gt_u32_e32 8, v0
	s_cbranch_execz .LBB92_504
; %bb.495:
	v_cmp_ne_u32_e32 vcc_lo, 1, v34
	s_cbranch_vccnz .LBB92_497
; %bb.496:
	v_cmp_eq_u32_e32 vcc_lo, 1, v0
	ds_load_b32 v32, v127
	v_cndmask_b32_e32 v31, v2, v3, vcc_lo
	v_cmp_eq_u32_e32 vcc_lo, 2, v0
	s_delay_alu instid0(VALU_DEP_2) | instskip(SKIP_1) | instid1(VALU_DEP_2)
	v_cndmask_b32_e32 v31, v31, v4, vcc_lo
	v_cmp_eq_u32_e32 vcc_lo, 3, v0
	v_cndmask_b32_e32 v31, v31, v5, vcc_lo
	v_cmp_eq_u32_e32 vcc_lo, 4, v0
	s_delay_alu instid0(VALU_DEP_2) | instskip(SKIP_1) | instid1(VALU_DEP_2)
	v_cndmask_b32_e32 v31, v31, v6, vcc_lo
	v_cmp_eq_u32_e32 vcc_lo, 5, v0
	;; [unrolled: 5-line block ×13, first 2 shown]
	v_cndmask_b32_e32 v31, v31, v29, vcc_lo
	v_cmp_eq_u32_e32 vcc_lo, 28, v0
	s_delay_alu instid0(VALU_DEP_2) | instskip(SKIP_1) | instid1(VALU_DEP_1)
	v_cndmask_b32_e32 v31, v31, v30, vcc_lo
	s_wait_dscnt 0x0
	v_mul_f32_e32 v31, v31, v32
	s_cbranch_execz .LBB92_498
	s_branch .LBB92_499
.LBB92_497:
                                        ; implicit-def: $vgpr31
.LBB92_498:
	ds_load_b32 v31, v127
.LBB92_499:
	s_mov_b32 s5, exec_lo
	v_cmpx_ne_u32_e32 7, v0
	s_cbranch_execz .LBB92_503
; %bb.500:
	v_mov_b64_e32 v[32:33], v[0:1]
	v_lshl_add_u32 v36, v0, 2, 0x84
	s_mov_b32 s6, 0
.LBB92_501:                             ; =>This Inner Loop Header: Depth=1
	s_delay_alu instid0(VALU_DEP_2)
	v_add_nc_u64_e32 v[32:33], 1, v[32:33]
	ds_load_b32 v38, v36
	v_add_nc_u32_e32 v36, 4, v36
	v_cmp_eq_u32_e32 vcc_lo, 1, v32
	v_cndmask_b32_e32 v37, v2, v3, vcc_lo
	v_cmp_eq_u32_e32 vcc_lo, 2, v32
	s_delay_alu instid0(VALU_DEP_2) | instskip(SKIP_1) | instid1(VALU_DEP_2)
	v_cndmask_b32_e32 v37, v37, v4, vcc_lo
	v_cmp_eq_u32_e32 vcc_lo, 3, v32
	v_cndmask_b32_e32 v37, v37, v5, vcc_lo
	v_cmp_eq_u32_e32 vcc_lo, 4, v32
	s_delay_alu instid0(VALU_DEP_2) | instskip(SKIP_1) | instid1(VALU_DEP_2)
	v_cndmask_b32_e32 v37, v37, v6, vcc_lo
	;; [unrolled: 5-line block ×13, first 2 shown]
	v_cmp_eq_u32_e32 vcc_lo, 27, v32
	v_cndmask_b32_e32 v37, v37, v29, vcc_lo
	v_cmp_eq_u32_e32 vcc_lo, 28, v32
	s_delay_alu instid0(VALU_DEP_2) | instskip(SKIP_2) | instid1(VALU_DEP_2)
	v_cndmask_b32_e32 v37, v37, v30, vcc_lo
	v_cmp_lt_u32_e32 vcc_lo, 6, v32
	s_wait_dscnt 0x0
	v_fmac_f32_e32 v31, v37, v38
	s_or_b32 s6, vcc_lo, s6
	s_delay_alu instid0(SALU_CYCLE_1)
	s_and_not1_b32 exec_lo, exec_lo, s6
	s_cbranch_execnz .LBB92_501
; %bb.502:
	s_or_b32 exec_lo, exec_lo, s6
.LBB92_503:
	s_delay_alu instid0(SALU_CYCLE_1)
	s_or_b32 exec_lo, exec_lo, s5
	v_mov_b32_e32 v10, 0
	ds_load_b32 v10, v10 offset:32
	s_wait_dscnt 0x0
	v_mul_f32_e32 v10, v31, v10
.LBB92_504:
	s_or_b32 exec_lo, exec_lo, s4
	s_delay_alu instid0(SALU_CYCLE_1)
	s_mov_b32 s4, exec_lo
	ds_store_b32 v127, v11
	s_wait_dscnt 0x0
	s_barrier_signal -1
	s_barrier_wait -1
	v_cmpx_gt_u32_e32 9, v0
	s_cbranch_execz .LBB92_526
; %bb.505:
	v_cmp_ne_u32_e32 vcc_lo, 1, v34
	s_cbranch_vccnz .LBB92_507
; %bb.506:
	v_cmp_eq_u32_e32 vcc_lo, 1, v0
	ds_load_b32 v32, v127
	v_cndmask_b32_e32 v31, v2, v3, vcc_lo
	v_cmp_eq_u32_e32 vcc_lo, 2, v0
	s_delay_alu instid0(VALU_DEP_2) | instskip(SKIP_1) | instid1(VALU_DEP_2)
	v_cndmask_b32_e32 v31, v31, v4, vcc_lo
	v_cmp_eq_u32_e32 vcc_lo, 3, v0
	v_cndmask_b32_e32 v31, v31, v5, vcc_lo
	v_cmp_eq_u32_e32 vcc_lo, 4, v0
	s_delay_alu instid0(VALU_DEP_2) | instskip(SKIP_1) | instid1(VALU_DEP_2)
	v_cndmask_b32_e32 v31, v31, v6, vcc_lo
	v_cmp_eq_u32_e32 vcc_lo, 5, v0
	;; [unrolled: 5-line block ×13, first 2 shown]
	v_cndmask_b32_e32 v31, v31, v29, vcc_lo
	v_cmp_eq_u32_e32 vcc_lo, 28, v0
	s_delay_alu instid0(VALU_DEP_2) | instskip(SKIP_1) | instid1(VALU_DEP_1)
	v_cndmask_b32_e32 v31, v31, v30, vcc_lo
	s_wait_dscnt 0x0
	v_mul_f32_e32 v31, v31, v32
	s_cbranch_execz .LBB92_508
	s_branch .LBB92_509
.LBB92_507:
                                        ; implicit-def: $vgpr31
.LBB92_508:
	ds_load_b32 v31, v127
.LBB92_509:
	s_mov_b32 s5, exec_lo
	v_cmpx_ne_u32_e32 8, v0
	s_cbranch_execz .LBB92_525
; %bb.510:
	v_cmp_eq_u32_e32 vcc_lo, 1, v35
	ds_load_b32 v33, v127 offset:4
	v_cndmask_b32_e32 v32, v2, v3, vcc_lo
	v_cmp_eq_u32_e32 vcc_lo, 2, v35
	s_delay_alu instid0(VALU_DEP_2) | instskip(SKIP_1) | instid1(VALU_DEP_2)
	v_cndmask_b32_e32 v32, v32, v4, vcc_lo
	v_cmp_eq_u32_e32 vcc_lo, 3, v35
	v_cndmask_b32_e32 v32, v32, v5, vcc_lo
	v_cmp_eq_u32_e32 vcc_lo, 4, v35
	s_delay_alu instid0(VALU_DEP_2) | instskip(SKIP_1) | instid1(VALU_DEP_2)
	v_cndmask_b32_e32 v32, v32, v6, vcc_lo
	v_cmp_eq_u32_e32 vcc_lo, 5, v35
	;; [unrolled: 5-line block ×13, first 2 shown]
	v_cndmask_b32_e32 v32, v32, v29, vcc_lo
	v_cmp_eq_u32_e32 vcc_lo, 28, v35
	s_delay_alu instid0(VALU_DEP_2) | instskip(SKIP_1) | instid1(VALU_DEP_1)
	v_cndmask_b32_e32 v32, v32, v30, vcc_lo
	s_wait_dscnt 0x0
	v_fmac_f32_e32 v31, v32, v33
	s_and_saveexec_b32 s6, s3
	s_cbranch_execz .LBB92_524
; %bb.511:
	v_add_nc_u32_e32 v32, 2, v0
	ds_load_b32 v35, v127 offset:8
	s_mov_b32 s3, exec_lo
	v_cmp_eq_u32_e32 vcc_lo, 1, v32
	v_cndmask_b32_e32 v33, v2, v3, vcc_lo
	v_cmp_eq_u32_e32 vcc_lo, 2, v32
	s_delay_alu instid0(VALU_DEP_2) | instskip(SKIP_1) | instid1(VALU_DEP_2)
	v_cndmask_b32_e32 v33, v33, v4, vcc_lo
	v_cmp_eq_u32_e32 vcc_lo, 3, v32
	v_cndmask_b32_e32 v33, v33, v5, vcc_lo
	v_cmp_eq_u32_e32 vcc_lo, 4, v32
	s_delay_alu instid0(VALU_DEP_2) | instskip(SKIP_1) | instid1(VALU_DEP_2)
	v_cndmask_b32_e32 v33, v33, v6, vcc_lo
	;; [unrolled: 5-line block ×13, first 2 shown]
	v_cmp_eq_u32_e32 vcc_lo, 27, v32
	v_cndmask_b32_e32 v33, v33, v29, vcc_lo
	v_cmp_eq_u32_e32 vcc_lo, 28, v32
	s_delay_alu instid0(VALU_DEP_2) | instskip(SKIP_1) | instid1(VALU_DEP_1)
	v_cndmask_b32_e32 v32, v33, v30, vcc_lo
	s_wait_dscnt 0x0
	v_fmac_f32_e32 v31, v32, v35
	v_cmpx_ne_u32_e32 6, v0
	s_cbranch_execz .LBB92_523
; %bb.512:
	v_add_nc_u32_e32 v32, 3, v0
	ds_load_b32 v35, v127 offset:12
	v_cmp_eq_u32_e32 vcc_lo, 1, v32
	v_cndmask_b32_e32 v33, v2, v3, vcc_lo
	v_cmp_eq_u32_e32 vcc_lo, 2, v32
	s_delay_alu instid0(VALU_DEP_2) | instskip(SKIP_1) | instid1(VALU_DEP_2)
	v_cndmask_b32_e32 v33, v33, v4, vcc_lo
	v_cmp_eq_u32_e32 vcc_lo, 3, v32
	v_cndmask_b32_e32 v33, v33, v5, vcc_lo
	v_cmp_eq_u32_e32 vcc_lo, 4, v32
	s_delay_alu instid0(VALU_DEP_2) | instskip(SKIP_1) | instid1(VALU_DEP_2)
	v_cndmask_b32_e32 v33, v33, v6, vcc_lo
	;; [unrolled: 5-line block ×13, first 2 shown]
	v_cmp_eq_u32_e32 vcc_lo, 27, v32
	v_cndmask_b32_e32 v33, v33, v29, vcc_lo
	v_cmp_eq_u32_e32 vcc_lo, 28, v32
	s_delay_alu instid0(VALU_DEP_2) | instskip(SKIP_1) | instid1(VALU_DEP_1)
	v_cndmask_b32_e32 v32, v33, v30, vcc_lo
	s_wait_dscnt 0x0
	v_fmac_f32_e32 v31, v32, v35
	s_and_saveexec_b32 s7, s2
	s_cbranch_execz .LBB92_522
; %bb.513:
	v_add_nc_u32_e32 v32, 4, v0
	ds_load_b32 v35, v127 offset:16
	s_mov_b32 s2, exec_lo
	v_cmp_eq_u32_e32 vcc_lo, 1, v32
	v_cndmask_b32_e32 v33, v2, v3, vcc_lo
	v_cmp_eq_u32_e32 vcc_lo, 2, v32
	s_delay_alu instid0(VALU_DEP_2) | instskip(SKIP_1) | instid1(VALU_DEP_2)
	v_cndmask_b32_e32 v33, v33, v4, vcc_lo
	v_cmp_eq_u32_e32 vcc_lo, 3, v32
	v_cndmask_b32_e32 v33, v33, v5, vcc_lo
	v_cmp_eq_u32_e32 vcc_lo, 4, v32
	s_delay_alu instid0(VALU_DEP_2) | instskip(SKIP_1) | instid1(VALU_DEP_2)
	v_cndmask_b32_e32 v33, v33, v6, vcc_lo
	;; [unrolled: 5-line block ×13, first 2 shown]
	v_cmp_eq_u32_e32 vcc_lo, 27, v32
	v_cndmask_b32_e32 v33, v33, v29, vcc_lo
	v_cmp_eq_u32_e32 vcc_lo, 28, v32
	s_delay_alu instid0(VALU_DEP_2) | instskip(SKIP_1) | instid1(VALU_DEP_1)
	v_cndmask_b32_e32 v32, v33, v30, vcc_lo
	s_wait_dscnt 0x0
	v_fmac_f32_e32 v31, v32, v35
	v_cmpx_ne_u32_e32 4, v0
	s_cbranch_execz .LBB92_521
; %bb.514:
	v_add_nc_u32_e32 v32, 5, v0
	ds_load_b32 v35, v127 offset:20
	v_cmp_eq_u32_e32 vcc_lo, 1, v32
	v_cndmask_b32_e32 v33, v2, v3, vcc_lo
	v_cmp_eq_u32_e32 vcc_lo, 2, v32
	s_delay_alu instid0(VALU_DEP_2) | instskip(SKIP_1) | instid1(VALU_DEP_2)
	v_cndmask_b32_e32 v33, v33, v4, vcc_lo
	v_cmp_eq_u32_e32 vcc_lo, 3, v32
	v_cndmask_b32_e32 v33, v33, v5, vcc_lo
	v_cmp_eq_u32_e32 vcc_lo, 4, v32
	s_delay_alu instid0(VALU_DEP_2) | instskip(SKIP_1) | instid1(VALU_DEP_2)
	v_cndmask_b32_e32 v33, v33, v6, vcc_lo
	v_cmp_eq_u32_e32 vcc_lo, 5, v32
	v_cndmask_b32_e32 v33, v33, v7, vcc_lo
	v_cmp_eq_u32_e32 vcc_lo, 6, v32
	s_delay_alu instid0(VALU_DEP_2) | instskip(SKIP_1) | instid1(VALU_DEP_2)
	v_cndmask_b32_e32 v33, v33, v8, vcc_lo
	v_cmp_eq_u32_e32 vcc_lo, 7, v32
	v_cndmask_b32_e32 v33, v33, v9, vcc_lo
	v_cmp_eq_u32_e32 vcc_lo, 8, v32
	s_delay_alu instid0(VALU_DEP_2) | instskip(SKIP_1) | instid1(VALU_DEP_2)
	v_cndmask_b32_e32 v33, v33, v10, vcc_lo
	v_cmp_eq_u32_e32 vcc_lo, 9, v32
	v_cndmask_b32_e32 v33, v33, v11, vcc_lo
	v_cmp_eq_u32_e32 vcc_lo, 10, v32
	s_delay_alu instid0(VALU_DEP_2) | instskip(SKIP_1) | instid1(VALU_DEP_2)
	v_cndmask_b32_e32 v33, v33, v12, vcc_lo
	v_cmp_eq_u32_e32 vcc_lo, 11, v32
	v_cndmask_b32_e32 v33, v33, v13, vcc_lo
	v_cmp_eq_u32_e32 vcc_lo, 12, v32
	s_delay_alu instid0(VALU_DEP_2) | instskip(SKIP_1) | instid1(VALU_DEP_2)
	v_cndmask_b32_e32 v33, v33, v14, vcc_lo
	v_cmp_eq_u32_e32 vcc_lo, 13, v32
	v_cndmask_b32_e32 v33, v33, v15, vcc_lo
	v_cmp_eq_u32_e32 vcc_lo, 14, v32
	s_delay_alu instid0(VALU_DEP_2) | instskip(SKIP_1) | instid1(VALU_DEP_2)
	v_cndmask_b32_e32 v33, v33, v16, vcc_lo
	v_cmp_eq_u32_e32 vcc_lo, 15, v32
	v_cndmask_b32_e32 v33, v33, v17, vcc_lo
	v_cmp_eq_u32_e32 vcc_lo, 16, v32
	s_delay_alu instid0(VALU_DEP_2) | instskip(SKIP_1) | instid1(VALU_DEP_2)
	v_cndmask_b32_e32 v33, v33, v18, vcc_lo
	v_cmp_eq_u32_e32 vcc_lo, 17, v32
	v_cndmask_b32_e32 v33, v33, v19, vcc_lo
	v_cmp_eq_u32_e32 vcc_lo, 18, v32
	s_delay_alu instid0(VALU_DEP_2) | instskip(SKIP_1) | instid1(VALU_DEP_2)
	v_cndmask_b32_e32 v33, v33, v20, vcc_lo
	v_cmp_eq_u32_e32 vcc_lo, 19, v32
	v_cndmask_b32_e32 v33, v33, v21, vcc_lo
	v_cmp_eq_u32_e32 vcc_lo, 20, v32
	s_delay_alu instid0(VALU_DEP_2) | instskip(SKIP_1) | instid1(VALU_DEP_2)
	v_cndmask_b32_e32 v33, v33, v22, vcc_lo
	v_cmp_eq_u32_e32 vcc_lo, 21, v32
	v_cndmask_b32_e32 v33, v33, v23, vcc_lo
	v_cmp_eq_u32_e32 vcc_lo, 22, v32
	s_delay_alu instid0(VALU_DEP_2) | instskip(SKIP_1) | instid1(VALU_DEP_2)
	v_cndmask_b32_e32 v33, v33, v24, vcc_lo
	v_cmp_eq_u32_e32 vcc_lo, 23, v32
	v_cndmask_b32_e32 v33, v33, v25, vcc_lo
	v_cmp_eq_u32_e32 vcc_lo, 24, v32
	s_delay_alu instid0(VALU_DEP_2) | instskip(SKIP_1) | instid1(VALU_DEP_2)
	v_cndmask_b32_e32 v33, v33, v26, vcc_lo
	v_cmp_eq_u32_e32 vcc_lo, 25, v32
	v_cndmask_b32_e32 v33, v33, v27, vcc_lo
	v_cmp_eq_u32_e32 vcc_lo, 26, v32
	s_delay_alu instid0(VALU_DEP_2) | instskip(SKIP_1) | instid1(VALU_DEP_2)
	v_cndmask_b32_e32 v33, v33, v28, vcc_lo
	v_cmp_eq_u32_e32 vcc_lo, 27, v32
	v_cndmask_b32_e32 v33, v33, v29, vcc_lo
	v_cmp_eq_u32_e32 vcc_lo, 28, v32
	s_delay_alu instid0(VALU_DEP_2) | instskip(SKIP_1) | instid1(VALU_DEP_1)
	v_cndmask_b32_e32 v32, v33, v30, vcc_lo
	s_wait_dscnt 0x0
	v_fmac_f32_e32 v31, v32, v35
	s_and_saveexec_b32 s8, s1
	s_cbranch_execz .LBB92_520
; %bb.515:
	v_add_nc_u32_e32 v32, 6, v0
	ds_load_b32 v35, v127 offset:24
	s_mov_b32 s1, exec_lo
	v_cmp_eq_u32_e32 vcc_lo, 1, v32
	v_cndmask_b32_e32 v33, v2, v3, vcc_lo
	v_cmp_eq_u32_e32 vcc_lo, 2, v32
	s_delay_alu instid0(VALU_DEP_2) | instskip(SKIP_1) | instid1(VALU_DEP_2)
	v_cndmask_b32_e32 v33, v33, v4, vcc_lo
	v_cmp_eq_u32_e32 vcc_lo, 3, v32
	v_cndmask_b32_e32 v33, v33, v5, vcc_lo
	v_cmp_eq_u32_e32 vcc_lo, 4, v32
	s_delay_alu instid0(VALU_DEP_2) | instskip(SKIP_1) | instid1(VALU_DEP_2)
	v_cndmask_b32_e32 v33, v33, v6, vcc_lo
	;; [unrolled: 5-line block ×13, first 2 shown]
	v_cmp_eq_u32_e32 vcc_lo, 27, v32
	v_cndmask_b32_e32 v33, v33, v29, vcc_lo
	v_cmp_eq_u32_e32 vcc_lo, 28, v32
	s_delay_alu instid0(VALU_DEP_2) | instskip(SKIP_1) | instid1(VALU_DEP_1)
	v_cndmask_b32_e32 v32, v33, v30, vcc_lo
	s_wait_dscnt 0x0
	v_fmac_f32_e32 v31, v32, v35
	v_cmpx_ne_u32_e32 2, v0
	s_cbranch_execz .LBB92_519
; %bb.516:
	v_add_nc_u32_e32 v32, 7, v0
	s_delay_alu instid0(VALU_DEP_1) | instskip(SKIP_2) | instid1(VALU_DEP_2)
	v_cmp_eq_u32_e32 vcc_lo, 1, v32
	v_cndmask_b32_e32 v33, v2, v3, vcc_lo
	v_cmp_eq_u32_e32 vcc_lo, 2, v32
	v_cndmask_b32_e32 v33, v33, v4, vcc_lo
	v_cmp_eq_u32_e32 vcc_lo, 3, v32
	s_delay_alu instid0(VALU_DEP_2) | instskip(SKIP_1) | instid1(VALU_DEP_2)
	v_cndmask_b32_e32 v33, v33, v5, vcc_lo
	v_cmp_eq_u32_e32 vcc_lo, 4, v32
	v_cndmask_b32_e32 v33, v33, v6, vcc_lo
	v_cmp_eq_u32_e32 vcc_lo, 5, v32
	s_delay_alu instid0(VALU_DEP_2) | instskip(SKIP_1) | instid1(VALU_DEP_2)
	;; [unrolled: 5-line block ×3, first 2 shown]
	v_cndmask_b32_e32 v33, v33, v9, vcc_lo
	v_cmp_eq_u32_e32 vcc_lo, 8, v32
	v_cndmask_b32_e32 v33, v33, v10, vcc_lo
	v_cmp_eq_u32_e32 vcc_lo, 9, v32
	s_delay_alu instid0(VALU_DEP_2) | instskip(SKIP_4) | instid1(VALU_DEP_2)
	v_cndmask_b32_e32 v11, v33, v11, vcc_lo
	v_cmp_eq_u32_e32 vcc_lo, 10, v32
	ds_load_b32 v33, v127 offset:28
	v_cndmask_b32_e32 v11, v11, v12, vcc_lo
	v_cmp_eq_u32_e32 vcc_lo, 11, v32
	v_cndmask_b32_e32 v11, v11, v13, vcc_lo
	v_cmp_eq_u32_e32 vcc_lo, 12, v32
	s_delay_alu instid0(VALU_DEP_2) | instskip(SKIP_1) | instid1(VALU_DEP_2)
	v_cndmask_b32_e32 v11, v11, v14, vcc_lo
	v_cmp_eq_u32_e32 vcc_lo, 13, v32
	v_cndmask_b32_e32 v11, v11, v15, vcc_lo
	v_cmp_eq_u32_e32 vcc_lo, 14, v32
	s_delay_alu instid0(VALU_DEP_2) | instskip(SKIP_1) | instid1(VALU_DEP_2)
	;; [unrolled: 5-line block ×8, first 2 shown]
	v_cndmask_b32_e32 v11, v11, v28, vcc_lo
	v_cmp_eq_u32_e32 vcc_lo, 27, v32
	v_cndmask_b32_e32 v11, v11, v29, vcc_lo
	v_cmp_eq_u32_e32 vcc_lo, 28, v32
	s_delay_alu instid0(VALU_DEP_2) | instskip(SKIP_1) | instid1(VALU_DEP_1)
	v_cndmask_b32_e32 v11, v11, v30, vcc_lo
	s_wait_dscnt 0x0
	v_fmac_f32_e32 v31, v11, v33
	s_and_saveexec_b32 s9, s0
	s_cbranch_execz .LBB92_518
; %bb.517:
	ds_load_b32 v11, v127 offset:32
	s_wait_dscnt 0x0
	v_fmac_f32_e32 v31, v10, v11
.LBB92_518:
	s_or_b32 exec_lo, exec_lo, s9
.LBB92_519:
	s_delay_alu instid0(SALU_CYCLE_1)
	s_or_b32 exec_lo, exec_lo, s1
.LBB92_520:
	s_delay_alu instid0(SALU_CYCLE_1)
	s_or_b32 exec_lo, exec_lo, s8
.LBB92_521:
	s_delay_alu instid0(SALU_CYCLE_1)
	s_or_b32 exec_lo, exec_lo, s2
.LBB92_522:
	s_delay_alu instid0(SALU_CYCLE_1)
	s_or_b32 exec_lo, exec_lo, s7
.LBB92_523:
	s_delay_alu instid0(SALU_CYCLE_1)
	s_or_b32 exec_lo, exec_lo, s3
.LBB92_524:
	s_delay_alu instid0(SALU_CYCLE_1)
	s_or_b32 exec_lo, exec_lo, s6
.LBB92_525:
	s_delay_alu instid0(SALU_CYCLE_1)
	s_or_b32 exec_lo, exec_lo, s5
	v_mov_b32_e32 v11, 0
	ds_load_b32 v11, v11 offset:36
	s_wait_dscnt 0x0
	v_mul_f32_e32 v11, v31, v11
.LBB92_526:
	s_or_b32 exec_lo, exec_lo, s4
	s_delay_alu instid0(SALU_CYCLE_1)
	s_mov_b32 s0, exec_lo
	ds_store_b32 v127, v12
	s_wait_dscnt 0x0
	s_barrier_signal -1
	s_barrier_wait -1
	v_cmpx_gt_u32_e32 10, v0
	s_cbranch_execz .LBB92_536
; %bb.527:
	v_cmp_ne_u32_e32 vcc_lo, 1, v34
	s_cbranch_vccnz .LBB92_529
; %bb.528:
	v_cmp_eq_u32_e32 vcc_lo, 1, v0
	ds_load_b32 v32, v127
	v_cndmask_b32_e32 v31, v2, v3, vcc_lo
	v_cmp_eq_u32_e32 vcc_lo, 2, v0
	s_delay_alu instid0(VALU_DEP_2) | instskip(SKIP_1) | instid1(VALU_DEP_2)
	v_cndmask_b32_e32 v31, v31, v4, vcc_lo
	v_cmp_eq_u32_e32 vcc_lo, 3, v0
	v_cndmask_b32_e32 v31, v31, v5, vcc_lo
	v_cmp_eq_u32_e32 vcc_lo, 4, v0
	s_delay_alu instid0(VALU_DEP_2) | instskip(SKIP_1) | instid1(VALU_DEP_2)
	v_cndmask_b32_e32 v31, v31, v6, vcc_lo
	v_cmp_eq_u32_e32 vcc_lo, 5, v0
	;; [unrolled: 5-line block ×13, first 2 shown]
	v_cndmask_b32_e32 v31, v31, v29, vcc_lo
	v_cmp_eq_u32_e32 vcc_lo, 28, v0
	s_delay_alu instid0(VALU_DEP_2) | instskip(SKIP_1) | instid1(VALU_DEP_1)
	v_cndmask_b32_e32 v31, v31, v30, vcc_lo
	s_wait_dscnt 0x0
	v_mul_f32_e32 v31, v31, v32
	s_cbranch_execz .LBB92_530
	s_branch .LBB92_531
.LBB92_529:
                                        ; implicit-def: $vgpr31
.LBB92_530:
	ds_load_b32 v31, v127
.LBB92_531:
	s_mov_b32 s1, exec_lo
	v_cmpx_ne_u32_e32 9, v0
	s_cbranch_execz .LBB92_535
; %bb.532:
	v_mov_b64_e32 v[32:33], v[0:1]
	v_lshl_add_u32 v35, v0, 2, 0x84
	s_mov_b32 s2, 0
.LBB92_533:                             ; =>This Inner Loop Header: Depth=1
	s_delay_alu instid0(VALU_DEP_2)
	v_add_nc_u64_e32 v[32:33], 1, v[32:33]
	ds_load_b32 v37, v35
	v_add_nc_u32_e32 v35, 4, v35
	v_cmp_eq_u32_e32 vcc_lo, 1, v32
	v_cndmask_b32_e32 v36, v2, v3, vcc_lo
	v_cmp_eq_u32_e32 vcc_lo, 2, v32
	s_delay_alu instid0(VALU_DEP_2) | instskip(SKIP_1) | instid1(VALU_DEP_2)
	v_cndmask_b32_e32 v36, v36, v4, vcc_lo
	v_cmp_eq_u32_e32 vcc_lo, 3, v32
	v_cndmask_b32_e32 v36, v36, v5, vcc_lo
	v_cmp_eq_u32_e32 vcc_lo, 4, v32
	s_delay_alu instid0(VALU_DEP_2) | instskip(SKIP_1) | instid1(VALU_DEP_2)
	v_cndmask_b32_e32 v36, v36, v6, vcc_lo
	;; [unrolled: 5-line block ×13, first 2 shown]
	v_cmp_eq_u32_e32 vcc_lo, 27, v32
	v_cndmask_b32_e32 v36, v36, v29, vcc_lo
	v_cmp_eq_u32_e32 vcc_lo, 28, v32
	s_delay_alu instid0(VALU_DEP_2) | instskip(SKIP_2) | instid1(VALU_DEP_2)
	v_cndmask_b32_e32 v36, v36, v30, vcc_lo
	v_cmp_lt_u32_e32 vcc_lo, 8, v32
	s_wait_dscnt 0x0
	v_fmac_f32_e32 v31, v36, v37
	s_or_b32 s2, vcc_lo, s2
	s_delay_alu instid0(SALU_CYCLE_1)
	s_and_not1_b32 exec_lo, exec_lo, s2
	s_cbranch_execnz .LBB92_533
; %bb.534:
	s_or_b32 exec_lo, exec_lo, s2
.LBB92_535:
	s_delay_alu instid0(SALU_CYCLE_1)
	s_or_b32 exec_lo, exec_lo, s1
	v_mov_b32_e32 v12, 0
	ds_load_b32 v12, v12 offset:40
	s_wait_dscnt 0x0
	v_mul_f32_e32 v12, v31, v12
.LBB92_536:
	s_or_b32 exec_lo, exec_lo, s0
	s_delay_alu instid0(SALU_CYCLE_1)
	s_mov_b32 s0, exec_lo
	ds_store_b32 v127, v13
	s_wait_dscnt 0x0
	s_barrier_signal -1
	s_barrier_wait -1
	v_cmpx_gt_u32_e32 11, v0
	s_cbranch_execz .LBB92_546
; %bb.537:
	v_cmp_ne_u32_e32 vcc_lo, 1, v34
	s_cbranch_vccnz .LBB92_539
; %bb.538:
	v_cmp_eq_u32_e32 vcc_lo, 1, v0
	ds_load_b32 v32, v127
	v_cndmask_b32_e32 v31, v2, v3, vcc_lo
	v_cmp_eq_u32_e32 vcc_lo, 2, v0
	s_delay_alu instid0(VALU_DEP_2) | instskip(SKIP_1) | instid1(VALU_DEP_2)
	v_cndmask_b32_e32 v31, v31, v4, vcc_lo
	v_cmp_eq_u32_e32 vcc_lo, 3, v0
	v_cndmask_b32_e32 v31, v31, v5, vcc_lo
	v_cmp_eq_u32_e32 vcc_lo, 4, v0
	s_delay_alu instid0(VALU_DEP_2) | instskip(SKIP_1) | instid1(VALU_DEP_2)
	v_cndmask_b32_e32 v31, v31, v6, vcc_lo
	v_cmp_eq_u32_e32 vcc_lo, 5, v0
	;; [unrolled: 5-line block ×13, first 2 shown]
	v_cndmask_b32_e32 v31, v31, v29, vcc_lo
	v_cmp_eq_u32_e32 vcc_lo, 28, v0
	s_delay_alu instid0(VALU_DEP_2) | instskip(SKIP_1) | instid1(VALU_DEP_1)
	v_cndmask_b32_e32 v31, v31, v30, vcc_lo
	s_wait_dscnt 0x0
	v_mul_f32_e32 v31, v31, v32
	s_cbranch_execz .LBB92_540
	s_branch .LBB92_541
.LBB92_539:
                                        ; implicit-def: $vgpr31
.LBB92_540:
	ds_load_b32 v31, v127
.LBB92_541:
	s_mov_b32 s1, exec_lo
	v_cmpx_ne_u32_e32 10, v0
	s_cbranch_execz .LBB92_545
; %bb.542:
	v_mov_b64_e32 v[32:33], v[0:1]
	v_lshl_add_u32 v35, v0, 2, 0x84
	s_mov_b32 s2, 0
.LBB92_543:                             ; =>This Inner Loop Header: Depth=1
	s_delay_alu instid0(VALU_DEP_2)
	v_add_nc_u64_e32 v[32:33], 1, v[32:33]
	ds_load_b32 v37, v35
	v_add_nc_u32_e32 v35, 4, v35
	v_cmp_eq_u32_e32 vcc_lo, 1, v32
	v_cndmask_b32_e32 v36, v2, v3, vcc_lo
	v_cmp_eq_u32_e32 vcc_lo, 2, v32
	s_delay_alu instid0(VALU_DEP_2) | instskip(SKIP_1) | instid1(VALU_DEP_2)
	v_cndmask_b32_e32 v36, v36, v4, vcc_lo
	v_cmp_eq_u32_e32 vcc_lo, 3, v32
	v_cndmask_b32_e32 v36, v36, v5, vcc_lo
	v_cmp_eq_u32_e32 vcc_lo, 4, v32
	s_delay_alu instid0(VALU_DEP_2) | instskip(SKIP_1) | instid1(VALU_DEP_2)
	v_cndmask_b32_e32 v36, v36, v6, vcc_lo
	;; [unrolled: 5-line block ×13, first 2 shown]
	v_cmp_eq_u32_e32 vcc_lo, 27, v32
	v_cndmask_b32_e32 v36, v36, v29, vcc_lo
	v_cmp_eq_u32_e32 vcc_lo, 28, v32
	s_delay_alu instid0(VALU_DEP_2) | instskip(SKIP_2) | instid1(VALU_DEP_2)
	v_cndmask_b32_e32 v36, v36, v30, vcc_lo
	v_cmp_lt_u32_e32 vcc_lo, 9, v32
	s_wait_dscnt 0x0
	v_fmac_f32_e32 v31, v36, v37
	s_or_b32 s2, vcc_lo, s2
	s_delay_alu instid0(SALU_CYCLE_1)
	s_and_not1_b32 exec_lo, exec_lo, s2
	s_cbranch_execnz .LBB92_543
; %bb.544:
	s_or_b32 exec_lo, exec_lo, s2
.LBB92_545:
	s_delay_alu instid0(SALU_CYCLE_1)
	s_or_b32 exec_lo, exec_lo, s1
	v_mov_b32_e32 v13, 0
	ds_load_b32 v13, v13 offset:44
	s_wait_dscnt 0x0
	v_mul_f32_e32 v13, v31, v13
.LBB92_546:
	s_or_b32 exec_lo, exec_lo, s0
	s_delay_alu instid0(SALU_CYCLE_1)
	s_mov_b32 s0, exec_lo
	ds_store_b32 v127, v14
	s_wait_dscnt 0x0
	s_barrier_signal -1
	s_barrier_wait -1
	v_cmpx_gt_u32_e32 12, v0
	s_cbranch_execz .LBB92_556
; %bb.547:
	v_cmp_ne_u32_e32 vcc_lo, 1, v34
	s_cbranch_vccnz .LBB92_549
; %bb.548:
	v_cmp_eq_u32_e32 vcc_lo, 1, v0
	ds_load_b32 v32, v127
	v_cndmask_b32_e32 v31, v2, v3, vcc_lo
	v_cmp_eq_u32_e32 vcc_lo, 2, v0
	s_delay_alu instid0(VALU_DEP_2) | instskip(SKIP_1) | instid1(VALU_DEP_2)
	v_cndmask_b32_e32 v31, v31, v4, vcc_lo
	v_cmp_eq_u32_e32 vcc_lo, 3, v0
	v_cndmask_b32_e32 v31, v31, v5, vcc_lo
	v_cmp_eq_u32_e32 vcc_lo, 4, v0
	s_delay_alu instid0(VALU_DEP_2) | instskip(SKIP_1) | instid1(VALU_DEP_2)
	v_cndmask_b32_e32 v31, v31, v6, vcc_lo
	v_cmp_eq_u32_e32 vcc_lo, 5, v0
	;; [unrolled: 5-line block ×13, first 2 shown]
	v_cndmask_b32_e32 v31, v31, v29, vcc_lo
	v_cmp_eq_u32_e32 vcc_lo, 28, v0
	s_delay_alu instid0(VALU_DEP_2) | instskip(SKIP_1) | instid1(VALU_DEP_1)
	v_cndmask_b32_e32 v31, v31, v30, vcc_lo
	s_wait_dscnt 0x0
	v_mul_f32_e32 v31, v31, v32
	s_cbranch_execz .LBB92_550
	s_branch .LBB92_551
.LBB92_549:
                                        ; implicit-def: $vgpr31
.LBB92_550:
	ds_load_b32 v31, v127
.LBB92_551:
	s_mov_b32 s1, exec_lo
	v_cmpx_ne_u32_e32 11, v0
	s_cbranch_execz .LBB92_555
; %bb.552:
	v_mov_b64_e32 v[32:33], v[0:1]
	v_lshl_add_u32 v35, v0, 2, 0x84
	s_mov_b32 s2, 0
.LBB92_553:                             ; =>This Inner Loop Header: Depth=1
	s_delay_alu instid0(VALU_DEP_2)
	v_add_nc_u64_e32 v[32:33], 1, v[32:33]
	ds_load_b32 v37, v35
	v_add_nc_u32_e32 v35, 4, v35
	v_cmp_eq_u32_e32 vcc_lo, 1, v32
	v_cndmask_b32_e32 v36, v2, v3, vcc_lo
	v_cmp_eq_u32_e32 vcc_lo, 2, v32
	s_delay_alu instid0(VALU_DEP_2) | instskip(SKIP_1) | instid1(VALU_DEP_2)
	v_cndmask_b32_e32 v36, v36, v4, vcc_lo
	v_cmp_eq_u32_e32 vcc_lo, 3, v32
	v_cndmask_b32_e32 v36, v36, v5, vcc_lo
	v_cmp_eq_u32_e32 vcc_lo, 4, v32
	s_delay_alu instid0(VALU_DEP_2) | instskip(SKIP_1) | instid1(VALU_DEP_2)
	v_cndmask_b32_e32 v36, v36, v6, vcc_lo
	v_cmp_eq_u32_e32 vcc_lo, 5, v32
	v_cndmask_b32_e32 v36, v36, v7, vcc_lo
	v_cmp_eq_u32_e32 vcc_lo, 6, v32
	s_delay_alu instid0(VALU_DEP_2) | instskip(SKIP_1) | instid1(VALU_DEP_2)
	v_cndmask_b32_e32 v36, v36, v8, vcc_lo
	v_cmp_eq_u32_e32 vcc_lo, 7, v32
	v_cndmask_b32_e32 v36, v36, v9, vcc_lo
	v_cmp_eq_u32_e32 vcc_lo, 8, v32
	s_delay_alu instid0(VALU_DEP_2) | instskip(SKIP_1) | instid1(VALU_DEP_2)
	v_cndmask_b32_e32 v36, v36, v10, vcc_lo
	v_cmp_eq_u32_e32 vcc_lo, 9, v32
	v_cndmask_b32_e32 v36, v36, v11, vcc_lo
	v_cmp_eq_u32_e32 vcc_lo, 10, v32
	s_delay_alu instid0(VALU_DEP_2) | instskip(SKIP_1) | instid1(VALU_DEP_2)
	v_cndmask_b32_e32 v36, v36, v12, vcc_lo
	v_cmp_eq_u32_e32 vcc_lo, 11, v32
	v_cndmask_b32_e32 v36, v36, v13, vcc_lo
	v_cmp_eq_u32_e32 vcc_lo, 12, v32
	s_delay_alu instid0(VALU_DEP_2) | instskip(SKIP_1) | instid1(VALU_DEP_2)
	v_cndmask_b32_e32 v36, v36, v14, vcc_lo
	v_cmp_eq_u32_e32 vcc_lo, 13, v32
	v_cndmask_b32_e32 v36, v36, v15, vcc_lo
	v_cmp_eq_u32_e32 vcc_lo, 14, v32
	s_delay_alu instid0(VALU_DEP_2) | instskip(SKIP_1) | instid1(VALU_DEP_2)
	v_cndmask_b32_e32 v36, v36, v16, vcc_lo
	v_cmp_eq_u32_e32 vcc_lo, 15, v32
	v_cndmask_b32_e32 v36, v36, v17, vcc_lo
	v_cmp_eq_u32_e32 vcc_lo, 16, v32
	s_delay_alu instid0(VALU_DEP_2) | instskip(SKIP_1) | instid1(VALU_DEP_2)
	v_cndmask_b32_e32 v36, v36, v18, vcc_lo
	v_cmp_eq_u32_e32 vcc_lo, 17, v32
	v_cndmask_b32_e32 v36, v36, v19, vcc_lo
	v_cmp_eq_u32_e32 vcc_lo, 18, v32
	s_delay_alu instid0(VALU_DEP_2) | instskip(SKIP_1) | instid1(VALU_DEP_2)
	v_cndmask_b32_e32 v36, v36, v20, vcc_lo
	v_cmp_eq_u32_e32 vcc_lo, 19, v32
	v_cndmask_b32_e32 v36, v36, v21, vcc_lo
	v_cmp_eq_u32_e32 vcc_lo, 20, v32
	s_delay_alu instid0(VALU_DEP_2) | instskip(SKIP_1) | instid1(VALU_DEP_2)
	v_cndmask_b32_e32 v36, v36, v22, vcc_lo
	v_cmp_eq_u32_e32 vcc_lo, 21, v32
	v_cndmask_b32_e32 v36, v36, v23, vcc_lo
	v_cmp_eq_u32_e32 vcc_lo, 22, v32
	s_delay_alu instid0(VALU_DEP_2) | instskip(SKIP_1) | instid1(VALU_DEP_2)
	v_cndmask_b32_e32 v36, v36, v24, vcc_lo
	v_cmp_eq_u32_e32 vcc_lo, 23, v32
	v_cndmask_b32_e32 v36, v36, v25, vcc_lo
	v_cmp_eq_u32_e32 vcc_lo, 24, v32
	s_delay_alu instid0(VALU_DEP_2) | instskip(SKIP_1) | instid1(VALU_DEP_2)
	v_cndmask_b32_e32 v36, v36, v26, vcc_lo
	v_cmp_eq_u32_e32 vcc_lo, 25, v32
	v_cndmask_b32_e32 v36, v36, v27, vcc_lo
	v_cmp_eq_u32_e32 vcc_lo, 26, v32
	s_delay_alu instid0(VALU_DEP_2) | instskip(SKIP_1) | instid1(VALU_DEP_2)
	v_cndmask_b32_e32 v36, v36, v28, vcc_lo
	v_cmp_eq_u32_e32 vcc_lo, 27, v32
	v_cndmask_b32_e32 v36, v36, v29, vcc_lo
	v_cmp_eq_u32_e32 vcc_lo, 28, v32
	s_delay_alu instid0(VALU_DEP_2) | instskip(SKIP_2) | instid1(VALU_DEP_2)
	v_cndmask_b32_e32 v36, v36, v30, vcc_lo
	v_cmp_lt_u32_e32 vcc_lo, 10, v32
	s_wait_dscnt 0x0
	v_fmac_f32_e32 v31, v36, v37
	s_or_b32 s2, vcc_lo, s2
	s_delay_alu instid0(SALU_CYCLE_1)
	s_and_not1_b32 exec_lo, exec_lo, s2
	s_cbranch_execnz .LBB92_553
; %bb.554:
	s_or_b32 exec_lo, exec_lo, s2
.LBB92_555:
	s_delay_alu instid0(SALU_CYCLE_1)
	s_or_b32 exec_lo, exec_lo, s1
	v_mov_b32_e32 v14, 0
	ds_load_b32 v14, v14 offset:48
	s_wait_dscnt 0x0
	v_mul_f32_e32 v14, v31, v14
.LBB92_556:
	s_or_b32 exec_lo, exec_lo, s0
	s_delay_alu instid0(SALU_CYCLE_1)
	s_mov_b32 s0, exec_lo
	ds_store_b32 v127, v15
	s_wait_dscnt 0x0
	s_barrier_signal -1
	s_barrier_wait -1
	v_cmpx_gt_u32_e32 13, v0
	s_cbranch_execz .LBB92_566
; %bb.557:
	v_cmp_ne_u32_e32 vcc_lo, 1, v34
	s_cbranch_vccnz .LBB92_559
; %bb.558:
	v_cmp_eq_u32_e32 vcc_lo, 1, v0
	ds_load_b32 v32, v127
	v_cndmask_b32_e32 v31, v2, v3, vcc_lo
	v_cmp_eq_u32_e32 vcc_lo, 2, v0
	s_delay_alu instid0(VALU_DEP_2) | instskip(SKIP_1) | instid1(VALU_DEP_2)
	v_cndmask_b32_e32 v31, v31, v4, vcc_lo
	v_cmp_eq_u32_e32 vcc_lo, 3, v0
	v_cndmask_b32_e32 v31, v31, v5, vcc_lo
	v_cmp_eq_u32_e32 vcc_lo, 4, v0
	s_delay_alu instid0(VALU_DEP_2) | instskip(SKIP_1) | instid1(VALU_DEP_2)
	v_cndmask_b32_e32 v31, v31, v6, vcc_lo
	v_cmp_eq_u32_e32 vcc_lo, 5, v0
	;; [unrolled: 5-line block ×13, first 2 shown]
	v_cndmask_b32_e32 v31, v31, v29, vcc_lo
	v_cmp_eq_u32_e32 vcc_lo, 28, v0
	s_delay_alu instid0(VALU_DEP_2) | instskip(SKIP_1) | instid1(VALU_DEP_1)
	v_cndmask_b32_e32 v31, v31, v30, vcc_lo
	s_wait_dscnt 0x0
	v_mul_f32_e32 v31, v31, v32
	s_cbranch_execz .LBB92_560
	s_branch .LBB92_561
.LBB92_559:
                                        ; implicit-def: $vgpr31
.LBB92_560:
	ds_load_b32 v31, v127
.LBB92_561:
	s_mov_b32 s1, exec_lo
	v_cmpx_ne_u32_e32 12, v0
	s_cbranch_execz .LBB92_565
; %bb.562:
	v_mov_b64_e32 v[32:33], v[0:1]
	v_lshl_add_u32 v35, v0, 2, 0x84
	s_mov_b32 s2, 0
.LBB92_563:                             ; =>This Inner Loop Header: Depth=1
	s_delay_alu instid0(VALU_DEP_2)
	v_add_nc_u64_e32 v[32:33], 1, v[32:33]
	ds_load_b32 v37, v35
	v_add_nc_u32_e32 v35, 4, v35
	v_cmp_eq_u32_e32 vcc_lo, 1, v32
	v_cndmask_b32_e32 v36, v2, v3, vcc_lo
	v_cmp_eq_u32_e32 vcc_lo, 2, v32
	s_delay_alu instid0(VALU_DEP_2) | instskip(SKIP_1) | instid1(VALU_DEP_2)
	v_cndmask_b32_e32 v36, v36, v4, vcc_lo
	v_cmp_eq_u32_e32 vcc_lo, 3, v32
	v_cndmask_b32_e32 v36, v36, v5, vcc_lo
	v_cmp_eq_u32_e32 vcc_lo, 4, v32
	s_delay_alu instid0(VALU_DEP_2) | instskip(SKIP_1) | instid1(VALU_DEP_2)
	v_cndmask_b32_e32 v36, v36, v6, vcc_lo
	;; [unrolled: 5-line block ×13, first 2 shown]
	v_cmp_eq_u32_e32 vcc_lo, 27, v32
	v_cndmask_b32_e32 v36, v36, v29, vcc_lo
	v_cmp_eq_u32_e32 vcc_lo, 28, v32
	s_delay_alu instid0(VALU_DEP_2) | instskip(SKIP_2) | instid1(VALU_DEP_2)
	v_cndmask_b32_e32 v36, v36, v30, vcc_lo
	v_cmp_lt_u32_e32 vcc_lo, 11, v32
	s_wait_dscnt 0x0
	v_fmac_f32_e32 v31, v36, v37
	s_or_b32 s2, vcc_lo, s2
	s_delay_alu instid0(SALU_CYCLE_1)
	s_and_not1_b32 exec_lo, exec_lo, s2
	s_cbranch_execnz .LBB92_563
; %bb.564:
	s_or_b32 exec_lo, exec_lo, s2
.LBB92_565:
	s_delay_alu instid0(SALU_CYCLE_1)
	s_or_b32 exec_lo, exec_lo, s1
	v_mov_b32_e32 v15, 0
	ds_load_b32 v15, v15 offset:52
	s_wait_dscnt 0x0
	v_mul_f32_e32 v15, v31, v15
.LBB92_566:
	s_or_b32 exec_lo, exec_lo, s0
	s_delay_alu instid0(SALU_CYCLE_1)
	s_mov_b32 s0, exec_lo
	ds_store_b32 v127, v16
	s_wait_dscnt 0x0
	s_barrier_signal -1
	s_barrier_wait -1
	v_cmpx_gt_u32_e32 14, v0
	s_cbranch_execz .LBB92_576
; %bb.567:
	v_cmp_ne_u32_e32 vcc_lo, 1, v34
	s_cbranch_vccnz .LBB92_569
; %bb.568:
	v_cmp_eq_u32_e32 vcc_lo, 1, v0
	ds_load_b32 v32, v127
	v_cndmask_b32_e32 v31, v2, v3, vcc_lo
	v_cmp_eq_u32_e32 vcc_lo, 2, v0
	s_delay_alu instid0(VALU_DEP_2) | instskip(SKIP_1) | instid1(VALU_DEP_2)
	v_cndmask_b32_e32 v31, v31, v4, vcc_lo
	v_cmp_eq_u32_e32 vcc_lo, 3, v0
	v_cndmask_b32_e32 v31, v31, v5, vcc_lo
	v_cmp_eq_u32_e32 vcc_lo, 4, v0
	s_delay_alu instid0(VALU_DEP_2) | instskip(SKIP_1) | instid1(VALU_DEP_2)
	v_cndmask_b32_e32 v31, v31, v6, vcc_lo
	v_cmp_eq_u32_e32 vcc_lo, 5, v0
	;; [unrolled: 5-line block ×13, first 2 shown]
	v_cndmask_b32_e32 v31, v31, v29, vcc_lo
	v_cmp_eq_u32_e32 vcc_lo, 28, v0
	s_delay_alu instid0(VALU_DEP_2) | instskip(SKIP_1) | instid1(VALU_DEP_1)
	v_cndmask_b32_e32 v31, v31, v30, vcc_lo
	s_wait_dscnt 0x0
	v_mul_f32_e32 v31, v31, v32
	s_cbranch_execz .LBB92_570
	s_branch .LBB92_571
.LBB92_569:
                                        ; implicit-def: $vgpr31
.LBB92_570:
	ds_load_b32 v31, v127
.LBB92_571:
	s_mov_b32 s1, exec_lo
	v_cmpx_ne_u32_e32 13, v0
	s_cbranch_execz .LBB92_575
; %bb.572:
	v_mov_b64_e32 v[32:33], v[0:1]
	v_lshl_add_u32 v35, v0, 2, 0x84
	s_mov_b32 s2, 0
.LBB92_573:                             ; =>This Inner Loop Header: Depth=1
	s_delay_alu instid0(VALU_DEP_2)
	v_add_nc_u64_e32 v[32:33], 1, v[32:33]
	ds_load_b32 v37, v35
	v_add_nc_u32_e32 v35, 4, v35
	v_cmp_eq_u32_e32 vcc_lo, 1, v32
	v_cndmask_b32_e32 v36, v2, v3, vcc_lo
	v_cmp_eq_u32_e32 vcc_lo, 2, v32
	s_delay_alu instid0(VALU_DEP_2) | instskip(SKIP_1) | instid1(VALU_DEP_2)
	v_cndmask_b32_e32 v36, v36, v4, vcc_lo
	v_cmp_eq_u32_e32 vcc_lo, 3, v32
	v_cndmask_b32_e32 v36, v36, v5, vcc_lo
	v_cmp_eq_u32_e32 vcc_lo, 4, v32
	s_delay_alu instid0(VALU_DEP_2) | instskip(SKIP_1) | instid1(VALU_DEP_2)
	v_cndmask_b32_e32 v36, v36, v6, vcc_lo
	;; [unrolled: 5-line block ×13, first 2 shown]
	v_cmp_eq_u32_e32 vcc_lo, 27, v32
	v_cndmask_b32_e32 v36, v36, v29, vcc_lo
	v_cmp_eq_u32_e32 vcc_lo, 28, v32
	s_delay_alu instid0(VALU_DEP_2) | instskip(SKIP_2) | instid1(VALU_DEP_2)
	v_cndmask_b32_e32 v36, v36, v30, vcc_lo
	v_cmp_lt_u32_e32 vcc_lo, 12, v32
	s_wait_dscnt 0x0
	v_fmac_f32_e32 v31, v36, v37
	s_or_b32 s2, vcc_lo, s2
	s_delay_alu instid0(SALU_CYCLE_1)
	s_and_not1_b32 exec_lo, exec_lo, s2
	s_cbranch_execnz .LBB92_573
; %bb.574:
	s_or_b32 exec_lo, exec_lo, s2
.LBB92_575:
	s_delay_alu instid0(SALU_CYCLE_1)
	s_or_b32 exec_lo, exec_lo, s1
	v_mov_b32_e32 v16, 0
	ds_load_b32 v16, v16 offset:56
	s_wait_dscnt 0x0
	v_mul_f32_e32 v16, v31, v16
.LBB92_576:
	s_or_b32 exec_lo, exec_lo, s0
	s_delay_alu instid0(SALU_CYCLE_1)
	s_mov_b32 s0, exec_lo
	ds_store_b32 v127, v17
	s_wait_dscnt 0x0
	s_barrier_signal -1
	s_barrier_wait -1
	v_cmpx_gt_u32_e32 15, v0
	s_cbranch_execz .LBB92_586
; %bb.577:
	v_cmp_ne_u32_e32 vcc_lo, 1, v34
	s_cbranch_vccnz .LBB92_579
; %bb.578:
	v_cmp_eq_u32_e32 vcc_lo, 1, v0
	ds_load_b32 v32, v127
	v_cndmask_b32_e32 v31, v2, v3, vcc_lo
	v_cmp_eq_u32_e32 vcc_lo, 2, v0
	s_delay_alu instid0(VALU_DEP_2) | instskip(SKIP_1) | instid1(VALU_DEP_2)
	v_cndmask_b32_e32 v31, v31, v4, vcc_lo
	v_cmp_eq_u32_e32 vcc_lo, 3, v0
	v_cndmask_b32_e32 v31, v31, v5, vcc_lo
	v_cmp_eq_u32_e32 vcc_lo, 4, v0
	s_delay_alu instid0(VALU_DEP_2) | instskip(SKIP_1) | instid1(VALU_DEP_2)
	v_cndmask_b32_e32 v31, v31, v6, vcc_lo
	v_cmp_eq_u32_e32 vcc_lo, 5, v0
	;; [unrolled: 5-line block ×13, first 2 shown]
	v_cndmask_b32_e32 v31, v31, v29, vcc_lo
	v_cmp_eq_u32_e32 vcc_lo, 28, v0
	s_delay_alu instid0(VALU_DEP_2) | instskip(SKIP_1) | instid1(VALU_DEP_1)
	v_cndmask_b32_e32 v31, v31, v30, vcc_lo
	s_wait_dscnt 0x0
	v_mul_f32_e32 v31, v31, v32
	s_cbranch_execz .LBB92_580
	s_branch .LBB92_581
.LBB92_579:
                                        ; implicit-def: $vgpr31
.LBB92_580:
	ds_load_b32 v31, v127
.LBB92_581:
	s_mov_b32 s1, exec_lo
	v_cmpx_ne_u32_e32 14, v0
	s_cbranch_execz .LBB92_585
; %bb.582:
	v_mov_b64_e32 v[32:33], v[0:1]
	v_lshl_add_u32 v35, v0, 2, 0x84
	s_mov_b32 s2, 0
.LBB92_583:                             ; =>This Inner Loop Header: Depth=1
	s_delay_alu instid0(VALU_DEP_2)
	v_add_nc_u64_e32 v[32:33], 1, v[32:33]
	ds_load_b32 v37, v35
	v_add_nc_u32_e32 v35, 4, v35
	v_cmp_eq_u32_e32 vcc_lo, 1, v32
	v_cndmask_b32_e32 v36, v2, v3, vcc_lo
	v_cmp_eq_u32_e32 vcc_lo, 2, v32
	s_delay_alu instid0(VALU_DEP_2) | instskip(SKIP_1) | instid1(VALU_DEP_2)
	v_cndmask_b32_e32 v36, v36, v4, vcc_lo
	v_cmp_eq_u32_e32 vcc_lo, 3, v32
	v_cndmask_b32_e32 v36, v36, v5, vcc_lo
	v_cmp_eq_u32_e32 vcc_lo, 4, v32
	s_delay_alu instid0(VALU_DEP_2) | instskip(SKIP_1) | instid1(VALU_DEP_2)
	v_cndmask_b32_e32 v36, v36, v6, vcc_lo
	;; [unrolled: 5-line block ×13, first 2 shown]
	v_cmp_eq_u32_e32 vcc_lo, 27, v32
	v_cndmask_b32_e32 v36, v36, v29, vcc_lo
	v_cmp_eq_u32_e32 vcc_lo, 28, v32
	s_delay_alu instid0(VALU_DEP_2) | instskip(SKIP_2) | instid1(VALU_DEP_2)
	v_cndmask_b32_e32 v36, v36, v30, vcc_lo
	v_cmp_lt_u32_e32 vcc_lo, 13, v32
	s_wait_dscnt 0x0
	v_fmac_f32_e32 v31, v36, v37
	s_or_b32 s2, vcc_lo, s2
	s_delay_alu instid0(SALU_CYCLE_1)
	s_and_not1_b32 exec_lo, exec_lo, s2
	s_cbranch_execnz .LBB92_583
; %bb.584:
	s_or_b32 exec_lo, exec_lo, s2
.LBB92_585:
	s_delay_alu instid0(SALU_CYCLE_1)
	s_or_b32 exec_lo, exec_lo, s1
	v_mov_b32_e32 v17, 0
	ds_load_b32 v17, v17 offset:60
	s_wait_dscnt 0x0
	v_mul_f32_e32 v17, v31, v17
.LBB92_586:
	s_or_b32 exec_lo, exec_lo, s0
	s_delay_alu instid0(SALU_CYCLE_1)
	s_mov_b32 s0, exec_lo
	ds_store_b32 v127, v18
	s_wait_dscnt 0x0
	s_barrier_signal -1
	s_barrier_wait -1
	v_cmpx_gt_u32_e32 16, v0
	s_cbranch_execz .LBB92_596
; %bb.587:
	v_cmp_ne_u32_e32 vcc_lo, 1, v34
	s_cbranch_vccnz .LBB92_589
; %bb.588:
	v_cmp_eq_u32_e32 vcc_lo, 1, v0
	ds_load_b32 v32, v127
	v_cndmask_b32_e32 v31, v2, v3, vcc_lo
	v_cmp_eq_u32_e32 vcc_lo, 2, v0
	s_delay_alu instid0(VALU_DEP_2) | instskip(SKIP_1) | instid1(VALU_DEP_2)
	v_cndmask_b32_e32 v31, v31, v4, vcc_lo
	v_cmp_eq_u32_e32 vcc_lo, 3, v0
	v_cndmask_b32_e32 v31, v31, v5, vcc_lo
	v_cmp_eq_u32_e32 vcc_lo, 4, v0
	s_delay_alu instid0(VALU_DEP_2) | instskip(SKIP_1) | instid1(VALU_DEP_2)
	v_cndmask_b32_e32 v31, v31, v6, vcc_lo
	v_cmp_eq_u32_e32 vcc_lo, 5, v0
	;; [unrolled: 5-line block ×13, first 2 shown]
	v_cndmask_b32_e32 v31, v31, v29, vcc_lo
	v_cmp_eq_u32_e32 vcc_lo, 28, v0
	s_delay_alu instid0(VALU_DEP_2) | instskip(SKIP_1) | instid1(VALU_DEP_1)
	v_cndmask_b32_e32 v31, v31, v30, vcc_lo
	s_wait_dscnt 0x0
	v_mul_f32_e32 v31, v31, v32
	s_cbranch_execz .LBB92_590
	s_branch .LBB92_591
.LBB92_589:
                                        ; implicit-def: $vgpr31
.LBB92_590:
	ds_load_b32 v31, v127
.LBB92_591:
	s_mov_b32 s1, exec_lo
	v_cmpx_ne_u32_e32 15, v0
	s_cbranch_execz .LBB92_595
; %bb.592:
	v_mov_b64_e32 v[32:33], v[0:1]
	v_lshl_add_u32 v35, v0, 2, 0x84
	s_mov_b32 s2, 0
.LBB92_593:                             ; =>This Inner Loop Header: Depth=1
	s_delay_alu instid0(VALU_DEP_2)
	v_add_nc_u64_e32 v[32:33], 1, v[32:33]
	ds_load_b32 v37, v35
	v_add_nc_u32_e32 v35, 4, v35
	v_cmp_eq_u32_e32 vcc_lo, 1, v32
	v_cndmask_b32_e32 v36, v2, v3, vcc_lo
	v_cmp_eq_u32_e32 vcc_lo, 2, v32
	s_delay_alu instid0(VALU_DEP_2) | instskip(SKIP_1) | instid1(VALU_DEP_2)
	v_cndmask_b32_e32 v36, v36, v4, vcc_lo
	v_cmp_eq_u32_e32 vcc_lo, 3, v32
	v_cndmask_b32_e32 v36, v36, v5, vcc_lo
	v_cmp_eq_u32_e32 vcc_lo, 4, v32
	s_delay_alu instid0(VALU_DEP_2) | instskip(SKIP_1) | instid1(VALU_DEP_2)
	v_cndmask_b32_e32 v36, v36, v6, vcc_lo
	;; [unrolled: 5-line block ×13, first 2 shown]
	v_cmp_eq_u32_e32 vcc_lo, 27, v32
	v_cndmask_b32_e32 v36, v36, v29, vcc_lo
	v_cmp_eq_u32_e32 vcc_lo, 28, v32
	s_delay_alu instid0(VALU_DEP_2) | instskip(SKIP_2) | instid1(VALU_DEP_2)
	v_cndmask_b32_e32 v36, v36, v30, vcc_lo
	v_cmp_lt_u32_e32 vcc_lo, 14, v32
	s_wait_dscnt 0x0
	v_fmac_f32_e32 v31, v36, v37
	s_or_b32 s2, vcc_lo, s2
	s_delay_alu instid0(SALU_CYCLE_1)
	s_and_not1_b32 exec_lo, exec_lo, s2
	s_cbranch_execnz .LBB92_593
; %bb.594:
	s_or_b32 exec_lo, exec_lo, s2
.LBB92_595:
	s_delay_alu instid0(SALU_CYCLE_1)
	s_or_b32 exec_lo, exec_lo, s1
	v_mov_b32_e32 v18, 0
	ds_load_b32 v18, v18 offset:64
	s_wait_dscnt 0x0
	v_mul_f32_e32 v18, v31, v18
.LBB92_596:
	s_or_b32 exec_lo, exec_lo, s0
	s_delay_alu instid0(SALU_CYCLE_1)
	s_mov_b32 s0, exec_lo
	ds_store_b32 v127, v19
	s_wait_dscnt 0x0
	s_barrier_signal -1
	s_barrier_wait -1
	v_cmpx_gt_u32_e32 17, v0
	s_cbranch_execz .LBB92_606
; %bb.597:
	v_cmp_ne_u32_e32 vcc_lo, 1, v34
	s_cbranch_vccnz .LBB92_599
; %bb.598:
	v_cmp_eq_u32_e32 vcc_lo, 1, v0
	ds_load_b32 v32, v127
	v_cndmask_b32_e32 v31, v2, v3, vcc_lo
	v_cmp_eq_u32_e32 vcc_lo, 2, v0
	s_delay_alu instid0(VALU_DEP_2) | instskip(SKIP_1) | instid1(VALU_DEP_2)
	v_cndmask_b32_e32 v31, v31, v4, vcc_lo
	v_cmp_eq_u32_e32 vcc_lo, 3, v0
	v_cndmask_b32_e32 v31, v31, v5, vcc_lo
	v_cmp_eq_u32_e32 vcc_lo, 4, v0
	s_delay_alu instid0(VALU_DEP_2) | instskip(SKIP_1) | instid1(VALU_DEP_2)
	v_cndmask_b32_e32 v31, v31, v6, vcc_lo
	v_cmp_eq_u32_e32 vcc_lo, 5, v0
	;; [unrolled: 5-line block ×13, first 2 shown]
	v_cndmask_b32_e32 v31, v31, v29, vcc_lo
	v_cmp_eq_u32_e32 vcc_lo, 28, v0
	s_delay_alu instid0(VALU_DEP_2) | instskip(SKIP_1) | instid1(VALU_DEP_1)
	v_cndmask_b32_e32 v31, v31, v30, vcc_lo
	s_wait_dscnt 0x0
	v_mul_f32_e32 v31, v31, v32
	s_cbranch_execz .LBB92_600
	s_branch .LBB92_601
.LBB92_599:
                                        ; implicit-def: $vgpr31
.LBB92_600:
	ds_load_b32 v31, v127
.LBB92_601:
	s_mov_b32 s1, exec_lo
	v_cmpx_ne_u32_e32 16, v0
	s_cbranch_execz .LBB92_605
; %bb.602:
	v_mov_b64_e32 v[32:33], v[0:1]
	v_lshl_add_u32 v35, v0, 2, 0x84
	s_mov_b32 s2, 0
.LBB92_603:                             ; =>This Inner Loop Header: Depth=1
	s_delay_alu instid0(VALU_DEP_2)
	v_add_nc_u64_e32 v[32:33], 1, v[32:33]
	ds_load_b32 v37, v35
	v_add_nc_u32_e32 v35, 4, v35
	v_cmp_eq_u32_e32 vcc_lo, 1, v32
	v_cndmask_b32_e32 v36, v2, v3, vcc_lo
	v_cmp_eq_u32_e32 vcc_lo, 2, v32
	s_delay_alu instid0(VALU_DEP_2) | instskip(SKIP_1) | instid1(VALU_DEP_2)
	v_cndmask_b32_e32 v36, v36, v4, vcc_lo
	v_cmp_eq_u32_e32 vcc_lo, 3, v32
	v_cndmask_b32_e32 v36, v36, v5, vcc_lo
	v_cmp_eq_u32_e32 vcc_lo, 4, v32
	s_delay_alu instid0(VALU_DEP_2) | instskip(SKIP_1) | instid1(VALU_DEP_2)
	v_cndmask_b32_e32 v36, v36, v6, vcc_lo
	;; [unrolled: 5-line block ×13, first 2 shown]
	v_cmp_eq_u32_e32 vcc_lo, 27, v32
	v_cndmask_b32_e32 v36, v36, v29, vcc_lo
	v_cmp_eq_u32_e32 vcc_lo, 28, v32
	s_delay_alu instid0(VALU_DEP_2) | instskip(SKIP_2) | instid1(VALU_DEP_2)
	v_cndmask_b32_e32 v36, v36, v30, vcc_lo
	v_cmp_lt_u32_e32 vcc_lo, 15, v32
	s_wait_dscnt 0x0
	v_fmac_f32_e32 v31, v36, v37
	s_or_b32 s2, vcc_lo, s2
	s_delay_alu instid0(SALU_CYCLE_1)
	s_and_not1_b32 exec_lo, exec_lo, s2
	s_cbranch_execnz .LBB92_603
; %bb.604:
	s_or_b32 exec_lo, exec_lo, s2
.LBB92_605:
	s_delay_alu instid0(SALU_CYCLE_1)
	s_or_b32 exec_lo, exec_lo, s1
	v_mov_b32_e32 v19, 0
	ds_load_b32 v19, v19 offset:68
	s_wait_dscnt 0x0
	v_mul_f32_e32 v19, v31, v19
.LBB92_606:
	s_or_b32 exec_lo, exec_lo, s0
	s_delay_alu instid0(SALU_CYCLE_1)
	s_mov_b32 s0, exec_lo
	ds_store_b32 v127, v20
	s_wait_dscnt 0x0
	s_barrier_signal -1
	s_barrier_wait -1
	v_cmpx_gt_u32_e32 18, v0
	s_cbranch_execz .LBB92_616
; %bb.607:
	v_cmp_ne_u32_e32 vcc_lo, 1, v34
	s_cbranch_vccnz .LBB92_609
; %bb.608:
	v_cmp_eq_u32_e32 vcc_lo, 1, v0
	ds_load_b32 v32, v127
	v_cndmask_b32_e32 v31, v2, v3, vcc_lo
	v_cmp_eq_u32_e32 vcc_lo, 2, v0
	s_delay_alu instid0(VALU_DEP_2) | instskip(SKIP_1) | instid1(VALU_DEP_2)
	v_cndmask_b32_e32 v31, v31, v4, vcc_lo
	v_cmp_eq_u32_e32 vcc_lo, 3, v0
	v_cndmask_b32_e32 v31, v31, v5, vcc_lo
	v_cmp_eq_u32_e32 vcc_lo, 4, v0
	s_delay_alu instid0(VALU_DEP_2) | instskip(SKIP_1) | instid1(VALU_DEP_2)
	v_cndmask_b32_e32 v31, v31, v6, vcc_lo
	v_cmp_eq_u32_e32 vcc_lo, 5, v0
	;; [unrolled: 5-line block ×13, first 2 shown]
	v_cndmask_b32_e32 v31, v31, v29, vcc_lo
	v_cmp_eq_u32_e32 vcc_lo, 28, v0
	s_delay_alu instid0(VALU_DEP_2) | instskip(SKIP_1) | instid1(VALU_DEP_1)
	v_cndmask_b32_e32 v31, v31, v30, vcc_lo
	s_wait_dscnt 0x0
	v_mul_f32_e32 v31, v31, v32
	s_cbranch_execz .LBB92_610
	s_branch .LBB92_611
.LBB92_609:
                                        ; implicit-def: $vgpr31
.LBB92_610:
	ds_load_b32 v31, v127
.LBB92_611:
	s_mov_b32 s1, exec_lo
	v_cmpx_ne_u32_e32 17, v0
	s_cbranch_execz .LBB92_615
; %bb.612:
	v_mov_b64_e32 v[32:33], v[0:1]
	v_lshl_add_u32 v35, v0, 2, 0x84
	s_mov_b32 s2, 0
.LBB92_613:                             ; =>This Inner Loop Header: Depth=1
	s_delay_alu instid0(VALU_DEP_2)
	v_add_nc_u64_e32 v[32:33], 1, v[32:33]
	ds_load_b32 v37, v35
	v_add_nc_u32_e32 v35, 4, v35
	v_cmp_eq_u32_e32 vcc_lo, 1, v32
	v_cndmask_b32_e32 v36, v2, v3, vcc_lo
	v_cmp_eq_u32_e32 vcc_lo, 2, v32
	s_delay_alu instid0(VALU_DEP_2) | instskip(SKIP_1) | instid1(VALU_DEP_2)
	v_cndmask_b32_e32 v36, v36, v4, vcc_lo
	v_cmp_eq_u32_e32 vcc_lo, 3, v32
	v_cndmask_b32_e32 v36, v36, v5, vcc_lo
	v_cmp_eq_u32_e32 vcc_lo, 4, v32
	s_delay_alu instid0(VALU_DEP_2) | instskip(SKIP_1) | instid1(VALU_DEP_2)
	v_cndmask_b32_e32 v36, v36, v6, vcc_lo
	;; [unrolled: 5-line block ×13, first 2 shown]
	v_cmp_eq_u32_e32 vcc_lo, 27, v32
	v_cndmask_b32_e32 v36, v36, v29, vcc_lo
	v_cmp_eq_u32_e32 vcc_lo, 28, v32
	s_delay_alu instid0(VALU_DEP_2) | instskip(SKIP_2) | instid1(VALU_DEP_2)
	v_cndmask_b32_e32 v36, v36, v30, vcc_lo
	v_cmp_lt_u32_e32 vcc_lo, 16, v32
	s_wait_dscnt 0x0
	v_fmac_f32_e32 v31, v36, v37
	s_or_b32 s2, vcc_lo, s2
	s_delay_alu instid0(SALU_CYCLE_1)
	s_and_not1_b32 exec_lo, exec_lo, s2
	s_cbranch_execnz .LBB92_613
; %bb.614:
	s_or_b32 exec_lo, exec_lo, s2
.LBB92_615:
	s_delay_alu instid0(SALU_CYCLE_1)
	s_or_b32 exec_lo, exec_lo, s1
	v_mov_b32_e32 v20, 0
	ds_load_b32 v20, v20 offset:72
	s_wait_dscnt 0x0
	v_mul_f32_e32 v20, v31, v20
.LBB92_616:
	s_or_b32 exec_lo, exec_lo, s0
	s_delay_alu instid0(SALU_CYCLE_1)
	s_mov_b32 s0, exec_lo
	ds_store_b32 v127, v21
	s_wait_dscnt 0x0
	s_barrier_signal -1
	s_barrier_wait -1
	v_cmpx_gt_u32_e32 19, v0
	s_cbranch_execz .LBB92_626
; %bb.617:
	v_cmp_ne_u32_e32 vcc_lo, 1, v34
	s_cbranch_vccnz .LBB92_619
; %bb.618:
	v_cmp_eq_u32_e32 vcc_lo, 1, v0
	ds_load_b32 v32, v127
	v_cndmask_b32_e32 v31, v2, v3, vcc_lo
	v_cmp_eq_u32_e32 vcc_lo, 2, v0
	s_delay_alu instid0(VALU_DEP_2) | instskip(SKIP_1) | instid1(VALU_DEP_2)
	v_cndmask_b32_e32 v31, v31, v4, vcc_lo
	v_cmp_eq_u32_e32 vcc_lo, 3, v0
	v_cndmask_b32_e32 v31, v31, v5, vcc_lo
	v_cmp_eq_u32_e32 vcc_lo, 4, v0
	s_delay_alu instid0(VALU_DEP_2) | instskip(SKIP_1) | instid1(VALU_DEP_2)
	v_cndmask_b32_e32 v31, v31, v6, vcc_lo
	v_cmp_eq_u32_e32 vcc_lo, 5, v0
	;; [unrolled: 5-line block ×13, first 2 shown]
	v_cndmask_b32_e32 v31, v31, v29, vcc_lo
	v_cmp_eq_u32_e32 vcc_lo, 28, v0
	s_delay_alu instid0(VALU_DEP_2) | instskip(SKIP_1) | instid1(VALU_DEP_1)
	v_cndmask_b32_e32 v31, v31, v30, vcc_lo
	s_wait_dscnt 0x0
	v_mul_f32_e32 v31, v31, v32
	s_cbranch_execz .LBB92_620
	s_branch .LBB92_621
.LBB92_619:
                                        ; implicit-def: $vgpr31
.LBB92_620:
	ds_load_b32 v31, v127
.LBB92_621:
	s_mov_b32 s1, exec_lo
	v_cmpx_ne_u32_e32 18, v0
	s_cbranch_execz .LBB92_625
; %bb.622:
	v_mov_b64_e32 v[32:33], v[0:1]
	v_lshl_add_u32 v35, v0, 2, 0x84
	s_mov_b32 s2, 0
.LBB92_623:                             ; =>This Inner Loop Header: Depth=1
	s_delay_alu instid0(VALU_DEP_2)
	v_add_nc_u64_e32 v[32:33], 1, v[32:33]
	ds_load_b32 v37, v35
	v_add_nc_u32_e32 v35, 4, v35
	v_cmp_eq_u32_e32 vcc_lo, 1, v32
	v_cndmask_b32_e32 v36, v2, v3, vcc_lo
	v_cmp_eq_u32_e32 vcc_lo, 2, v32
	s_delay_alu instid0(VALU_DEP_2) | instskip(SKIP_1) | instid1(VALU_DEP_2)
	v_cndmask_b32_e32 v36, v36, v4, vcc_lo
	v_cmp_eq_u32_e32 vcc_lo, 3, v32
	v_cndmask_b32_e32 v36, v36, v5, vcc_lo
	v_cmp_eq_u32_e32 vcc_lo, 4, v32
	s_delay_alu instid0(VALU_DEP_2) | instskip(SKIP_1) | instid1(VALU_DEP_2)
	v_cndmask_b32_e32 v36, v36, v6, vcc_lo
	;; [unrolled: 5-line block ×13, first 2 shown]
	v_cmp_eq_u32_e32 vcc_lo, 27, v32
	v_cndmask_b32_e32 v36, v36, v29, vcc_lo
	v_cmp_eq_u32_e32 vcc_lo, 28, v32
	s_delay_alu instid0(VALU_DEP_2) | instskip(SKIP_2) | instid1(VALU_DEP_2)
	v_cndmask_b32_e32 v36, v36, v30, vcc_lo
	v_cmp_lt_u32_e32 vcc_lo, 17, v32
	s_wait_dscnt 0x0
	v_fmac_f32_e32 v31, v36, v37
	s_or_b32 s2, vcc_lo, s2
	s_delay_alu instid0(SALU_CYCLE_1)
	s_and_not1_b32 exec_lo, exec_lo, s2
	s_cbranch_execnz .LBB92_623
; %bb.624:
	s_or_b32 exec_lo, exec_lo, s2
.LBB92_625:
	s_delay_alu instid0(SALU_CYCLE_1)
	s_or_b32 exec_lo, exec_lo, s1
	v_mov_b32_e32 v21, 0
	ds_load_b32 v21, v21 offset:76
	s_wait_dscnt 0x0
	v_mul_f32_e32 v21, v31, v21
.LBB92_626:
	s_or_b32 exec_lo, exec_lo, s0
	s_delay_alu instid0(SALU_CYCLE_1)
	s_mov_b32 s0, exec_lo
	ds_store_b32 v127, v22
	s_wait_dscnt 0x0
	s_barrier_signal -1
	s_barrier_wait -1
	v_cmpx_gt_u32_e32 20, v0
	s_cbranch_execz .LBB92_636
; %bb.627:
	v_cmp_ne_u32_e32 vcc_lo, 1, v34
	s_cbranch_vccnz .LBB92_629
; %bb.628:
	v_cmp_eq_u32_e32 vcc_lo, 1, v0
	ds_load_b32 v32, v127
	v_cndmask_b32_e32 v31, v2, v3, vcc_lo
	v_cmp_eq_u32_e32 vcc_lo, 2, v0
	s_delay_alu instid0(VALU_DEP_2) | instskip(SKIP_1) | instid1(VALU_DEP_2)
	v_cndmask_b32_e32 v31, v31, v4, vcc_lo
	v_cmp_eq_u32_e32 vcc_lo, 3, v0
	v_cndmask_b32_e32 v31, v31, v5, vcc_lo
	v_cmp_eq_u32_e32 vcc_lo, 4, v0
	s_delay_alu instid0(VALU_DEP_2) | instskip(SKIP_1) | instid1(VALU_DEP_2)
	v_cndmask_b32_e32 v31, v31, v6, vcc_lo
	v_cmp_eq_u32_e32 vcc_lo, 5, v0
	;; [unrolled: 5-line block ×13, first 2 shown]
	v_cndmask_b32_e32 v31, v31, v29, vcc_lo
	v_cmp_eq_u32_e32 vcc_lo, 28, v0
	s_delay_alu instid0(VALU_DEP_2) | instskip(SKIP_1) | instid1(VALU_DEP_1)
	v_cndmask_b32_e32 v31, v31, v30, vcc_lo
	s_wait_dscnt 0x0
	v_mul_f32_e32 v31, v31, v32
	s_cbranch_execz .LBB92_630
	s_branch .LBB92_631
.LBB92_629:
                                        ; implicit-def: $vgpr31
.LBB92_630:
	ds_load_b32 v31, v127
.LBB92_631:
	s_mov_b32 s1, exec_lo
	v_cmpx_ne_u32_e32 19, v0
	s_cbranch_execz .LBB92_635
; %bb.632:
	v_mov_b64_e32 v[32:33], v[0:1]
	v_lshl_add_u32 v35, v0, 2, 0x84
	s_mov_b32 s2, 0
.LBB92_633:                             ; =>This Inner Loop Header: Depth=1
	s_delay_alu instid0(VALU_DEP_2)
	v_add_nc_u64_e32 v[32:33], 1, v[32:33]
	ds_load_b32 v37, v35
	v_add_nc_u32_e32 v35, 4, v35
	v_cmp_eq_u32_e32 vcc_lo, 1, v32
	v_cndmask_b32_e32 v36, v2, v3, vcc_lo
	v_cmp_eq_u32_e32 vcc_lo, 2, v32
	s_delay_alu instid0(VALU_DEP_2) | instskip(SKIP_1) | instid1(VALU_DEP_2)
	v_cndmask_b32_e32 v36, v36, v4, vcc_lo
	v_cmp_eq_u32_e32 vcc_lo, 3, v32
	v_cndmask_b32_e32 v36, v36, v5, vcc_lo
	v_cmp_eq_u32_e32 vcc_lo, 4, v32
	s_delay_alu instid0(VALU_DEP_2) | instskip(SKIP_1) | instid1(VALU_DEP_2)
	v_cndmask_b32_e32 v36, v36, v6, vcc_lo
	;; [unrolled: 5-line block ×13, first 2 shown]
	v_cmp_eq_u32_e32 vcc_lo, 27, v32
	v_cndmask_b32_e32 v36, v36, v29, vcc_lo
	v_cmp_eq_u32_e32 vcc_lo, 28, v32
	s_delay_alu instid0(VALU_DEP_2) | instskip(SKIP_2) | instid1(VALU_DEP_2)
	v_cndmask_b32_e32 v36, v36, v30, vcc_lo
	v_cmp_lt_u32_e32 vcc_lo, 18, v32
	s_wait_dscnt 0x0
	v_fmac_f32_e32 v31, v36, v37
	s_or_b32 s2, vcc_lo, s2
	s_delay_alu instid0(SALU_CYCLE_1)
	s_and_not1_b32 exec_lo, exec_lo, s2
	s_cbranch_execnz .LBB92_633
; %bb.634:
	s_or_b32 exec_lo, exec_lo, s2
.LBB92_635:
	s_delay_alu instid0(SALU_CYCLE_1)
	s_or_b32 exec_lo, exec_lo, s1
	v_mov_b32_e32 v22, 0
	ds_load_b32 v22, v22 offset:80
	s_wait_dscnt 0x0
	v_mul_f32_e32 v22, v31, v22
.LBB92_636:
	s_or_b32 exec_lo, exec_lo, s0
	s_delay_alu instid0(SALU_CYCLE_1)
	s_mov_b32 s0, exec_lo
	ds_store_b32 v127, v23
	s_wait_dscnt 0x0
	s_barrier_signal -1
	s_barrier_wait -1
	v_cmpx_gt_u32_e32 21, v0
	s_cbranch_execz .LBB92_646
; %bb.637:
	v_cmp_ne_u32_e32 vcc_lo, 1, v34
	s_cbranch_vccnz .LBB92_639
; %bb.638:
	v_cmp_eq_u32_e32 vcc_lo, 1, v0
	ds_load_b32 v32, v127
	v_cndmask_b32_e32 v31, v2, v3, vcc_lo
	v_cmp_eq_u32_e32 vcc_lo, 2, v0
	s_delay_alu instid0(VALU_DEP_2) | instskip(SKIP_1) | instid1(VALU_DEP_2)
	v_cndmask_b32_e32 v31, v31, v4, vcc_lo
	v_cmp_eq_u32_e32 vcc_lo, 3, v0
	v_cndmask_b32_e32 v31, v31, v5, vcc_lo
	v_cmp_eq_u32_e32 vcc_lo, 4, v0
	s_delay_alu instid0(VALU_DEP_2) | instskip(SKIP_1) | instid1(VALU_DEP_2)
	v_cndmask_b32_e32 v31, v31, v6, vcc_lo
	v_cmp_eq_u32_e32 vcc_lo, 5, v0
	;; [unrolled: 5-line block ×13, first 2 shown]
	v_cndmask_b32_e32 v31, v31, v29, vcc_lo
	v_cmp_eq_u32_e32 vcc_lo, 28, v0
	s_delay_alu instid0(VALU_DEP_2) | instskip(SKIP_1) | instid1(VALU_DEP_1)
	v_cndmask_b32_e32 v31, v31, v30, vcc_lo
	s_wait_dscnt 0x0
	v_mul_f32_e32 v31, v31, v32
	s_cbranch_execz .LBB92_640
	s_branch .LBB92_641
.LBB92_639:
                                        ; implicit-def: $vgpr31
.LBB92_640:
	ds_load_b32 v31, v127
.LBB92_641:
	s_mov_b32 s1, exec_lo
	v_cmpx_ne_u32_e32 20, v0
	s_cbranch_execz .LBB92_645
; %bb.642:
	v_mov_b64_e32 v[32:33], v[0:1]
	v_lshl_add_u32 v35, v0, 2, 0x84
	s_mov_b32 s2, 0
.LBB92_643:                             ; =>This Inner Loop Header: Depth=1
	s_delay_alu instid0(VALU_DEP_2)
	v_add_nc_u64_e32 v[32:33], 1, v[32:33]
	ds_load_b32 v37, v35
	v_add_nc_u32_e32 v35, 4, v35
	v_cmp_eq_u32_e32 vcc_lo, 1, v32
	v_cndmask_b32_e32 v36, v2, v3, vcc_lo
	v_cmp_eq_u32_e32 vcc_lo, 2, v32
	s_delay_alu instid0(VALU_DEP_2) | instskip(SKIP_1) | instid1(VALU_DEP_2)
	v_cndmask_b32_e32 v36, v36, v4, vcc_lo
	v_cmp_eq_u32_e32 vcc_lo, 3, v32
	v_cndmask_b32_e32 v36, v36, v5, vcc_lo
	v_cmp_eq_u32_e32 vcc_lo, 4, v32
	s_delay_alu instid0(VALU_DEP_2) | instskip(SKIP_1) | instid1(VALU_DEP_2)
	v_cndmask_b32_e32 v36, v36, v6, vcc_lo
	;; [unrolled: 5-line block ×13, first 2 shown]
	v_cmp_eq_u32_e32 vcc_lo, 27, v32
	v_cndmask_b32_e32 v36, v36, v29, vcc_lo
	v_cmp_eq_u32_e32 vcc_lo, 28, v32
	s_delay_alu instid0(VALU_DEP_2) | instskip(SKIP_2) | instid1(VALU_DEP_2)
	v_cndmask_b32_e32 v36, v36, v30, vcc_lo
	v_cmp_lt_u32_e32 vcc_lo, 19, v32
	s_wait_dscnt 0x0
	v_fmac_f32_e32 v31, v36, v37
	s_or_b32 s2, vcc_lo, s2
	s_delay_alu instid0(SALU_CYCLE_1)
	s_and_not1_b32 exec_lo, exec_lo, s2
	s_cbranch_execnz .LBB92_643
; %bb.644:
	s_or_b32 exec_lo, exec_lo, s2
.LBB92_645:
	s_delay_alu instid0(SALU_CYCLE_1)
	s_or_b32 exec_lo, exec_lo, s1
	v_mov_b32_e32 v23, 0
	ds_load_b32 v23, v23 offset:84
	s_wait_dscnt 0x0
	v_mul_f32_e32 v23, v31, v23
.LBB92_646:
	s_or_b32 exec_lo, exec_lo, s0
	s_delay_alu instid0(SALU_CYCLE_1)
	s_mov_b32 s0, exec_lo
	ds_store_b32 v127, v24
	s_wait_dscnt 0x0
	s_barrier_signal -1
	s_barrier_wait -1
	v_cmpx_gt_u32_e32 22, v0
	s_cbranch_execz .LBB92_656
; %bb.647:
	v_cmp_ne_u32_e32 vcc_lo, 1, v34
	s_cbranch_vccnz .LBB92_649
; %bb.648:
	v_cmp_eq_u32_e32 vcc_lo, 1, v0
	ds_load_b32 v32, v127
	v_cndmask_b32_e32 v31, v2, v3, vcc_lo
	v_cmp_eq_u32_e32 vcc_lo, 2, v0
	s_delay_alu instid0(VALU_DEP_2) | instskip(SKIP_1) | instid1(VALU_DEP_2)
	v_cndmask_b32_e32 v31, v31, v4, vcc_lo
	v_cmp_eq_u32_e32 vcc_lo, 3, v0
	v_cndmask_b32_e32 v31, v31, v5, vcc_lo
	v_cmp_eq_u32_e32 vcc_lo, 4, v0
	s_delay_alu instid0(VALU_DEP_2) | instskip(SKIP_1) | instid1(VALU_DEP_2)
	v_cndmask_b32_e32 v31, v31, v6, vcc_lo
	v_cmp_eq_u32_e32 vcc_lo, 5, v0
	;; [unrolled: 5-line block ×13, first 2 shown]
	v_cndmask_b32_e32 v31, v31, v29, vcc_lo
	v_cmp_eq_u32_e32 vcc_lo, 28, v0
	s_delay_alu instid0(VALU_DEP_2) | instskip(SKIP_1) | instid1(VALU_DEP_1)
	v_cndmask_b32_e32 v31, v31, v30, vcc_lo
	s_wait_dscnt 0x0
	v_mul_f32_e32 v31, v31, v32
	s_cbranch_execz .LBB92_650
	s_branch .LBB92_651
.LBB92_649:
                                        ; implicit-def: $vgpr31
.LBB92_650:
	ds_load_b32 v31, v127
.LBB92_651:
	s_mov_b32 s1, exec_lo
	v_cmpx_ne_u32_e32 21, v0
	s_cbranch_execz .LBB92_655
; %bb.652:
	v_mov_b64_e32 v[32:33], v[0:1]
	v_lshl_add_u32 v35, v0, 2, 0x84
	s_mov_b32 s2, 0
.LBB92_653:                             ; =>This Inner Loop Header: Depth=1
	s_delay_alu instid0(VALU_DEP_2)
	v_add_nc_u64_e32 v[32:33], 1, v[32:33]
	ds_load_b32 v37, v35
	v_add_nc_u32_e32 v35, 4, v35
	v_cmp_eq_u32_e32 vcc_lo, 1, v32
	v_cndmask_b32_e32 v36, v2, v3, vcc_lo
	v_cmp_eq_u32_e32 vcc_lo, 2, v32
	s_delay_alu instid0(VALU_DEP_2) | instskip(SKIP_1) | instid1(VALU_DEP_2)
	v_cndmask_b32_e32 v36, v36, v4, vcc_lo
	v_cmp_eq_u32_e32 vcc_lo, 3, v32
	v_cndmask_b32_e32 v36, v36, v5, vcc_lo
	v_cmp_eq_u32_e32 vcc_lo, 4, v32
	s_delay_alu instid0(VALU_DEP_2) | instskip(SKIP_1) | instid1(VALU_DEP_2)
	v_cndmask_b32_e32 v36, v36, v6, vcc_lo
	;; [unrolled: 5-line block ×13, first 2 shown]
	v_cmp_eq_u32_e32 vcc_lo, 27, v32
	v_cndmask_b32_e32 v36, v36, v29, vcc_lo
	v_cmp_eq_u32_e32 vcc_lo, 28, v32
	s_delay_alu instid0(VALU_DEP_2) | instskip(SKIP_2) | instid1(VALU_DEP_2)
	v_cndmask_b32_e32 v36, v36, v30, vcc_lo
	v_cmp_lt_u32_e32 vcc_lo, 20, v32
	s_wait_dscnt 0x0
	v_fmac_f32_e32 v31, v36, v37
	s_or_b32 s2, vcc_lo, s2
	s_delay_alu instid0(SALU_CYCLE_1)
	s_and_not1_b32 exec_lo, exec_lo, s2
	s_cbranch_execnz .LBB92_653
; %bb.654:
	s_or_b32 exec_lo, exec_lo, s2
.LBB92_655:
	s_delay_alu instid0(SALU_CYCLE_1)
	s_or_b32 exec_lo, exec_lo, s1
	v_mov_b32_e32 v24, 0
	ds_load_b32 v24, v24 offset:88
	s_wait_dscnt 0x0
	v_mul_f32_e32 v24, v31, v24
.LBB92_656:
	s_or_b32 exec_lo, exec_lo, s0
	s_delay_alu instid0(SALU_CYCLE_1)
	s_mov_b32 s0, exec_lo
	ds_store_b32 v127, v25
	s_wait_dscnt 0x0
	s_barrier_signal -1
	s_barrier_wait -1
	v_cmpx_gt_u32_e32 23, v0
	s_cbranch_execz .LBB92_666
; %bb.657:
	v_cmp_ne_u32_e32 vcc_lo, 1, v34
	s_cbranch_vccnz .LBB92_659
; %bb.658:
	v_cmp_eq_u32_e32 vcc_lo, 1, v0
	ds_load_b32 v32, v127
	v_cndmask_b32_e32 v31, v2, v3, vcc_lo
	v_cmp_eq_u32_e32 vcc_lo, 2, v0
	s_delay_alu instid0(VALU_DEP_2) | instskip(SKIP_1) | instid1(VALU_DEP_2)
	v_cndmask_b32_e32 v31, v31, v4, vcc_lo
	v_cmp_eq_u32_e32 vcc_lo, 3, v0
	v_cndmask_b32_e32 v31, v31, v5, vcc_lo
	v_cmp_eq_u32_e32 vcc_lo, 4, v0
	s_delay_alu instid0(VALU_DEP_2) | instskip(SKIP_1) | instid1(VALU_DEP_2)
	v_cndmask_b32_e32 v31, v31, v6, vcc_lo
	v_cmp_eq_u32_e32 vcc_lo, 5, v0
	;; [unrolled: 5-line block ×13, first 2 shown]
	v_cndmask_b32_e32 v31, v31, v29, vcc_lo
	v_cmp_eq_u32_e32 vcc_lo, 28, v0
	s_delay_alu instid0(VALU_DEP_2) | instskip(SKIP_1) | instid1(VALU_DEP_1)
	v_cndmask_b32_e32 v31, v31, v30, vcc_lo
	s_wait_dscnt 0x0
	v_mul_f32_e32 v31, v31, v32
	s_cbranch_execz .LBB92_660
	s_branch .LBB92_661
.LBB92_659:
                                        ; implicit-def: $vgpr31
.LBB92_660:
	ds_load_b32 v31, v127
.LBB92_661:
	s_mov_b32 s1, exec_lo
	v_cmpx_ne_u32_e32 22, v0
	s_cbranch_execz .LBB92_665
; %bb.662:
	v_mov_b64_e32 v[32:33], v[0:1]
	v_lshl_add_u32 v35, v0, 2, 0x84
	s_mov_b32 s2, 0
.LBB92_663:                             ; =>This Inner Loop Header: Depth=1
	s_delay_alu instid0(VALU_DEP_2)
	v_add_nc_u64_e32 v[32:33], 1, v[32:33]
	ds_load_b32 v37, v35
	v_add_nc_u32_e32 v35, 4, v35
	v_cmp_eq_u32_e32 vcc_lo, 1, v32
	v_cndmask_b32_e32 v36, v2, v3, vcc_lo
	v_cmp_eq_u32_e32 vcc_lo, 2, v32
	s_delay_alu instid0(VALU_DEP_2) | instskip(SKIP_1) | instid1(VALU_DEP_2)
	v_cndmask_b32_e32 v36, v36, v4, vcc_lo
	v_cmp_eq_u32_e32 vcc_lo, 3, v32
	v_cndmask_b32_e32 v36, v36, v5, vcc_lo
	v_cmp_eq_u32_e32 vcc_lo, 4, v32
	s_delay_alu instid0(VALU_DEP_2) | instskip(SKIP_1) | instid1(VALU_DEP_2)
	v_cndmask_b32_e32 v36, v36, v6, vcc_lo
	;; [unrolled: 5-line block ×13, first 2 shown]
	v_cmp_eq_u32_e32 vcc_lo, 27, v32
	v_cndmask_b32_e32 v36, v36, v29, vcc_lo
	v_cmp_eq_u32_e32 vcc_lo, 28, v32
	s_delay_alu instid0(VALU_DEP_2) | instskip(SKIP_2) | instid1(VALU_DEP_2)
	v_cndmask_b32_e32 v36, v36, v30, vcc_lo
	v_cmp_lt_u32_e32 vcc_lo, 21, v32
	s_wait_dscnt 0x0
	v_fmac_f32_e32 v31, v36, v37
	s_or_b32 s2, vcc_lo, s2
	s_delay_alu instid0(SALU_CYCLE_1)
	s_and_not1_b32 exec_lo, exec_lo, s2
	s_cbranch_execnz .LBB92_663
; %bb.664:
	s_or_b32 exec_lo, exec_lo, s2
.LBB92_665:
	s_delay_alu instid0(SALU_CYCLE_1)
	s_or_b32 exec_lo, exec_lo, s1
	v_mov_b32_e32 v25, 0
	ds_load_b32 v25, v25 offset:92
	s_wait_dscnt 0x0
	v_mul_f32_e32 v25, v31, v25
.LBB92_666:
	s_or_b32 exec_lo, exec_lo, s0
	s_delay_alu instid0(SALU_CYCLE_1)
	s_mov_b32 s0, exec_lo
	ds_store_b32 v127, v26
	s_wait_dscnt 0x0
	s_barrier_signal -1
	s_barrier_wait -1
	v_cmpx_gt_u32_e32 24, v0
	s_cbranch_execz .LBB92_676
; %bb.667:
	v_cmp_ne_u32_e32 vcc_lo, 1, v34
	s_cbranch_vccnz .LBB92_669
; %bb.668:
	v_cmp_eq_u32_e32 vcc_lo, 1, v0
	ds_load_b32 v32, v127
	v_cndmask_b32_e32 v31, v2, v3, vcc_lo
	v_cmp_eq_u32_e32 vcc_lo, 2, v0
	s_delay_alu instid0(VALU_DEP_2) | instskip(SKIP_1) | instid1(VALU_DEP_2)
	v_cndmask_b32_e32 v31, v31, v4, vcc_lo
	v_cmp_eq_u32_e32 vcc_lo, 3, v0
	v_cndmask_b32_e32 v31, v31, v5, vcc_lo
	v_cmp_eq_u32_e32 vcc_lo, 4, v0
	s_delay_alu instid0(VALU_DEP_2) | instskip(SKIP_1) | instid1(VALU_DEP_2)
	v_cndmask_b32_e32 v31, v31, v6, vcc_lo
	v_cmp_eq_u32_e32 vcc_lo, 5, v0
	;; [unrolled: 5-line block ×13, first 2 shown]
	v_cndmask_b32_e32 v31, v31, v29, vcc_lo
	v_cmp_eq_u32_e32 vcc_lo, 28, v0
	s_delay_alu instid0(VALU_DEP_2) | instskip(SKIP_1) | instid1(VALU_DEP_1)
	v_cndmask_b32_e32 v31, v31, v30, vcc_lo
	s_wait_dscnt 0x0
	v_mul_f32_e32 v31, v31, v32
	s_cbranch_execz .LBB92_670
	s_branch .LBB92_671
.LBB92_669:
                                        ; implicit-def: $vgpr31
.LBB92_670:
	ds_load_b32 v31, v127
.LBB92_671:
	s_mov_b32 s1, exec_lo
	v_cmpx_ne_u32_e32 23, v0
	s_cbranch_execz .LBB92_675
; %bb.672:
	v_mov_b64_e32 v[32:33], v[0:1]
	v_lshl_add_u32 v35, v0, 2, 0x84
	s_mov_b32 s2, 0
.LBB92_673:                             ; =>This Inner Loop Header: Depth=1
	s_delay_alu instid0(VALU_DEP_2)
	v_add_nc_u64_e32 v[32:33], 1, v[32:33]
	ds_load_b32 v37, v35
	v_add_nc_u32_e32 v35, 4, v35
	v_cmp_eq_u32_e32 vcc_lo, 1, v32
	v_cndmask_b32_e32 v36, v2, v3, vcc_lo
	v_cmp_eq_u32_e32 vcc_lo, 2, v32
	s_delay_alu instid0(VALU_DEP_2) | instskip(SKIP_1) | instid1(VALU_DEP_2)
	v_cndmask_b32_e32 v36, v36, v4, vcc_lo
	v_cmp_eq_u32_e32 vcc_lo, 3, v32
	v_cndmask_b32_e32 v36, v36, v5, vcc_lo
	v_cmp_eq_u32_e32 vcc_lo, 4, v32
	s_delay_alu instid0(VALU_DEP_2) | instskip(SKIP_1) | instid1(VALU_DEP_2)
	v_cndmask_b32_e32 v36, v36, v6, vcc_lo
	v_cmp_eq_u32_e32 vcc_lo, 5, v32
	v_cndmask_b32_e32 v36, v36, v7, vcc_lo
	v_cmp_eq_u32_e32 vcc_lo, 6, v32
	s_delay_alu instid0(VALU_DEP_2) | instskip(SKIP_1) | instid1(VALU_DEP_2)
	v_cndmask_b32_e32 v36, v36, v8, vcc_lo
	v_cmp_eq_u32_e32 vcc_lo, 7, v32
	v_cndmask_b32_e32 v36, v36, v9, vcc_lo
	v_cmp_eq_u32_e32 vcc_lo, 8, v32
	s_delay_alu instid0(VALU_DEP_2) | instskip(SKIP_1) | instid1(VALU_DEP_2)
	v_cndmask_b32_e32 v36, v36, v10, vcc_lo
	v_cmp_eq_u32_e32 vcc_lo, 9, v32
	v_cndmask_b32_e32 v36, v36, v11, vcc_lo
	v_cmp_eq_u32_e32 vcc_lo, 10, v32
	s_delay_alu instid0(VALU_DEP_2) | instskip(SKIP_1) | instid1(VALU_DEP_2)
	v_cndmask_b32_e32 v36, v36, v12, vcc_lo
	v_cmp_eq_u32_e32 vcc_lo, 11, v32
	v_cndmask_b32_e32 v36, v36, v13, vcc_lo
	v_cmp_eq_u32_e32 vcc_lo, 12, v32
	s_delay_alu instid0(VALU_DEP_2) | instskip(SKIP_1) | instid1(VALU_DEP_2)
	v_cndmask_b32_e32 v36, v36, v14, vcc_lo
	v_cmp_eq_u32_e32 vcc_lo, 13, v32
	v_cndmask_b32_e32 v36, v36, v15, vcc_lo
	v_cmp_eq_u32_e32 vcc_lo, 14, v32
	s_delay_alu instid0(VALU_DEP_2) | instskip(SKIP_1) | instid1(VALU_DEP_2)
	v_cndmask_b32_e32 v36, v36, v16, vcc_lo
	v_cmp_eq_u32_e32 vcc_lo, 15, v32
	v_cndmask_b32_e32 v36, v36, v17, vcc_lo
	v_cmp_eq_u32_e32 vcc_lo, 16, v32
	s_delay_alu instid0(VALU_DEP_2) | instskip(SKIP_1) | instid1(VALU_DEP_2)
	v_cndmask_b32_e32 v36, v36, v18, vcc_lo
	v_cmp_eq_u32_e32 vcc_lo, 17, v32
	v_cndmask_b32_e32 v36, v36, v19, vcc_lo
	v_cmp_eq_u32_e32 vcc_lo, 18, v32
	s_delay_alu instid0(VALU_DEP_2) | instskip(SKIP_1) | instid1(VALU_DEP_2)
	v_cndmask_b32_e32 v36, v36, v20, vcc_lo
	v_cmp_eq_u32_e32 vcc_lo, 19, v32
	v_cndmask_b32_e32 v36, v36, v21, vcc_lo
	v_cmp_eq_u32_e32 vcc_lo, 20, v32
	s_delay_alu instid0(VALU_DEP_2) | instskip(SKIP_1) | instid1(VALU_DEP_2)
	v_cndmask_b32_e32 v36, v36, v22, vcc_lo
	v_cmp_eq_u32_e32 vcc_lo, 21, v32
	v_cndmask_b32_e32 v36, v36, v23, vcc_lo
	v_cmp_eq_u32_e32 vcc_lo, 22, v32
	s_delay_alu instid0(VALU_DEP_2) | instskip(SKIP_1) | instid1(VALU_DEP_2)
	v_cndmask_b32_e32 v36, v36, v24, vcc_lo
	v_cmp_eq_u32_e32 vcc_lo, 23, v32
	v_cndmask_b32_e32 v36, v36, v25, vcc_lo
	v_cmp_eq_u32_e32 vcc_lo, 24, v32
	s_delay_alu instid0(VALU_DEP_2) | instskip(SKIP_1) | instid1(VALU_DEP_2)
	v_cndmask_b32_e32 v36, v36, v26, vcc_lo
	v_cmp_eq_u32_e32 vcc_lo, 25, v32
	v_cndmask_b32_e32 v36, v36, v27, vcc_lo
	v_cmp_eq_u32_e32 vcc_lo, 26, v32
	s_delay_alu instid0(VALU_DEP_2) | instskip(SKIP_1) | instid1(VALU_DEP_2)
	v_cndmask_b32_e32 v36, v36, v28, vcc_lo
	v_cmp_eq_u32_e32 vcc_lo, 27, v32
	v_cndmask_b32_e32 v36, v36, v29, vcc_lo
	v_cmp_eq_u32_e32 vcc_lo, 28, v32
	s_delay_alu instid0(VALU_DEP_2) | instskip(SKIP_2) | instid1(VALU_DEP_2)
	v_cndmask_b32_e32 v36, v36, v30, vcc_lo
	v_cmp_lt_u32_e32 vcc_lo, 22, v32
	s_wait_dscnt 0x0
	v_fmac_f32_e32 v31, v36, v37
	s_or_b32 s2, vcc_lo, s2
	s_delay_alu instid0(SALU_CYCLE_1)
	s_and_not1_b32 exec_lo, exec_lo, s2
	s_cbranch_execnz .LBB92_673
; %bb.674:
	s_or_b32 exec_lo, exec_lo, s2
.LBB92_675:
	s_delay_alu instid0(SALU_CYCLE_1)
	s_or_b32 exec_lo, exec_lo, s1
	v_mov_b32_e32 v26, 0
	ds_load_b32 v26, v26 offset:96
	s_wait_dscnt 0x0
	v_mul_f32_e32 v26, v31, v26
.LBB92_676:
	s_or_b32 exec_lo, exec_lo, s0
	s_delay_alu instid0(SALU_CYCLE_1)
	s_mov_b32 s0, exec_lo
	ds_store_b32 v127, v27
	s_wait_dscnt 0x0
	s_barrier_signal -1
	s_barrier_wait -1
	v_cmpx_gt_u32_e32 25, v0
	s_cbranch_execz .LBB92_686
; %bb.677:
	v_cmp_ne_u32_e32 vcc_lo, 1, v34
	s_cbranch_vccnz .LBB92_679
; %bb.678:
	v_cmp_eq_u32_e32 vcc_lo, 1, v0
	ds_load_b32 v32, v127
	v_cndmask_b32_e32 v31, v2, v3, vcc_lo
	v_cmp_eq_u32_e32 vcc_lo, 2, v0
	s_delay_alu instid0(VALU_DEP_2) | instskip(SKIP_1) | instid1(VALU_DEP_2)
	v_cndmask_b32_e32 v31, v31, v4, vcc_lo
	v_cmp_eq_u32_e32 vcc_lo, 3, v0
	v_cndmask_b32_e32 v31, v31, v5, vcc_lo
	v_cmp_eq_u32_e32 vcc_lo, 4, v0
	s_delay_alu instid0(VALU_DEP_2) | instskip(SKIP_1) | instid1(VALU_DEP_2)
	v_cndmask_b32_e32 v31, v31, v6, vcc_lo
	v_cmp_eq_u32_e32 vcc_lo, 5, v0
	;; [unrolled: 5-line block ×13, first 2 shown]
	v_cndmask_b32_e32 v31, v31, v29, vcc_lo
	v_cmp_eq_u32_e32 vcc_lo, 28, v0
	s_delay_alu instid0(VALU_DEP_2) | instskip(SKIP_1) | instid1(VALU_DEP_1)
	v_cndmask_b32_e32 v31, v31, v30, vcc_lo
	s_wait_dscnt 0x0
	v_mul_f32_e32 v31, v31, v32
	s_cbranch_execz .LBB92_680
	s_branch .LBB92_681
.LBB92_679:
                                        ; implicit-def: $vgpr31
.LBB92_680:
	ds_load_b32 v31, v127
.LBB92_681:
	s_mov_b32 s1, exec_lo
	v_cmpx_ne_u32_e32 24, v0
	s_cbranch_execz .LBB92_685
; %bb.682:
	v_mov_b64_e32 v[32:33], v[0:1]
	v_lshl_add_u32 v35, v0, 2, 0x84
	s_mov_b32 s2, 0
.LBB92_683:                             ; =>This Inner Loop Header: Depth=1
	s_delay_alu instid0(VALU_DEP_2)
	v_add_nc_u64_e32 v[32:33], 1, v[32:33]
	ds_load_b32 v37, v35
	v_add_nc_u32_e32 v35, 4, v35
	v_cmp_eq_u32_e32 vcc_lo, 1, v32
	v_cndmask_b32_e32 v36, v2, v3, vcc_lo
	v_cmp_eq_u32_e32 vcc_lo, 2, v32
	s_delay_alu instid0(VALU_DEP_2) | instskip(SKIP_1) | instid1(VALU_DEP_2)
	v_cndmask_b32_e32 v36, v36, v4, vcc_lo
	v_cmp_eq_u32_e32 vcc_lo, 3, v32
	v_cndmask_b32_e32 v36, v36, v5, vcc_lo
	v_cmp_eq_u32_e32 vcc_lo, 4, v32
	s_delay_alu instid0(VALU_DEP_2) | instskip(SKIP_1) | instid1(VALU_DEP_2)
	v_cndmask_b32_e32 v36, v36, v6, vcc_lo
	;; [unrolled: 5-line block ×13, first 2 shown]
	v_cmp_eq_u32_e32 vcc_lo, 27, v32
	v_cndmask_b32_e32 v36, v36, v29, vcc_lo
	v_cmp_eq_u32_e32 vcc_lo, 28, v32
	s_delay_alu instid0(VALU_DEP_2) | instskip(SKIP_2) | instid1(VALU_DEP_2)
	v_cndmask_b32_e32 v36, v36, v30, vcc_lo
	v_cmp_lt_u32_e32 vcc_lo, 23, v32
	s_wait_dscnt 0x0
	v_fmac_f32_e32 v31, v36, v37
	s_or_b32 s2, vcc_lo, s2
	s_delay_alu instid0(SALU_CYCLE_1)
	s_and_not1_b32 exec_lo, exec_lo, s2
	s_cbranch_execnz .LBB92_683
; %bb.684:
	s_or_b32 exec_lo, exec_lo, s2
.LBB92_685:
	s_delay_alu instid0(SALU_CYCLE_1)
	s_or_b32 exec_lo, exec_lo, s1
	v_mov_b32_e32 v27, 0
	ds_load_b32 v27, v27 offset:100
	s_wait_dscnt 0x0
	v_mul_f32_e32 v27, v31, v27
.LBB92_686:
	s_or_b32 exec_lo, exec_lo, s0
	s_delay_alu instid0(SALU_CYCLE_1)
	s_mov_b32 s0, exec_lo
	ds_store_b32 v127, v28
	s_wait_dscnt 0x0
	s_barrier_signal -1
	s_barrier_wait -1
	v_cmpx_gt_u32_e32 26, v0
	s_cbranch_execz .LBB92_696
; %bb.687:
	v_cmp_ne_u32_e32 vcc_lo, 1, v34
	s_cbranch_vccnz .LBB92_689
; %bb.688:
	v_cmp_eq_u32_e32 vcc_lo, 1, v0
	ds_load_b32 v32, v127
	v_cndmask_b32_e32 v31, v2, v3, vcc_lo
	v_cmp_eq_u32_e32 vcc_lo, 2, v0
	s_delay_alu instid0(VALU_DEP_2) | instskip(SKIP_1) | instid1(VALU_DEP_2)
	v_cndmask_b32_e32 v31, v31, v4, vcc_lo
	v_cmp_eq_u32_e32 vcc_lo, 3, v0
	v_cndmask_b32_e32 v31, v31, v5, vcc_lo
	v_cmp_eq_u32_e32 vcc_lo, 4, v0
	s_delay_alu instid0(VALU_DEP_2) | instskip(SKIP_1) | instid1(VALU_DEP_2)
	v_cndmask_b32_e32 v31, v31, v6, vcc_lo
	v_cmp_eq_u32_e32 vcc_lo, 5, v0
	;; [unrolled: 5-line block ×13, first 2 shown]
	v_cndmask_b32_e32 v31, v31, v29, vcc_lo
	v_cmp_eq_u32_e32 vcc_lo, 28, v0
	s_delay_alu instid0(VALU_DEP_2) | instskip(SKIP_1) | instid1(VALU_DEP_1)
	v_cndmask_b32_e32 v31, v31, v30, vcc_lo
	s_wait_dscnt 0x0
	v_mul_f32_e32 v31, v31, v32
	s_cbranch_execz .LBB92_690
	s_branch .LBB92_691
.LBB92_689:
                                        ; implicit-def: $vgpr31
.LBB92_690:
	ds_load_b32 v31, v127
.LBB92_691:
	s_mov_b32 s1, exec_lo
	v_cmpx_ne_u32_e32 25, v0
	s_cbranch_execz .LBB92_695
; %bb.692:
	v_mov_b64_e32 v[32:33], v[0:1]
	v_lshl_add_u32 v35, v0, 2, 0x84
	s_mov_b32 s2, 0
.LBB92_693:                             ; =>This Inner Loop Header: Depth=1
	s_delay_alu instid0(VALU_DEP_2)
	v_add_nc_u64_e32 v[32:33], 1, v[32:33]
	ds_load_b32 v37, v35
	v_add_nc_u32_e32 v35, 4, v35
	v_cmp_eq_u32_e32 vcc_lo, 1, v32
	v_cndmask_b32_e32 v36, v2, v3, vcc_lo
	v_cmp_eq_u32_e32 vcc_lo, 2, v32
	s_delay_alu instid0(VALU_DEP_2) | instskip(SKIP_1) | instid1(VALU_DEP_2)
	v_cndmask_b32_e32 v36, v36, v4, vcc_lo
	v_cmp_eq_u32_e32 vcc_lo, 3, v32
	v_cndmask_b32_e32 v36, v36, v5, vcc_lo
	v_cmp_eq_u32_e32 vcc_lo, 4, v32
	s_delay_alu instid0(VALU_DEP_2) | instskip(SKIP_1) | instid1(VALU_DEP_2)
	v_cndmask_b32_e32 v36, v36, v6, vcc_lo
	;; [unrolled: 5-line block ×13, first 2 shown]
	v_cmp_eq_u32_e32 vcc_lo, 27, v32
	v_cndmask_b32_e32 v36, v36, v29, vcc_lo
	v_cmp_eq_u32_e32 vcc_lo, 28, v32
	s_delay_alu instid0(VALU_DEP_2) | instskip(SKIP_2) | instid1(VALU_DEP_2)
	v_cndmask_b32_e32 v36, v36, v30, vcc_lo
	v_cmp_lt_u32_e32 vcc_lo, 24, v32
	s_wait_dscnt 0x0
	v_fmac_f32_e32 v31, v36, v37
	s_or_b32 s2, vcc_lo, s2
	s_delay_alu instid0(SALU_CYCLE_1)
	s_and_not1_b32 exec_lo, exec_lo, s2
	s_cbranch_execnz .LBB92_693
; %bb.694:
	s_or_b32 exec_lo, exec_lo, s2
.LBB92_695:
	s_delay_alu instid0(SALU_CYCLE_1)
	s_or_b32 exec_lo, exec_lo, s1
	v_mov_b32_e32 v28, 0
	ds_load_b32 v28, v28 offset:104
	s_wait_dscnt 0x0
	v_mul_f32_e32 v28, v31, v28
.LBB92_696:
	s_or_b32 exec_lo, exec_lo, s0
	v_cmp_gt_u32_e64 s0, 27, v0
	ds_store_b32 v127, v29
	s_wait_dscnt 0x0
	s_barrier_signal -1
	s_barrier_wait -1
	s_and_saveexec_b32 s1, s0
	s_cbranch_execz .LBB92_706
; %bb.697:
	v_cmp_ne_u32_e32 vcc_lo, 1, v34
	s_cbranch_vccnz .LBB92_699
; %bb.698:
	v_cmp_eq_u32_e32 vcc_lo, 1, v0
	ds_load_b32 v32, v127
	v_cndmask_b32_e32 v31, v2, v3, vcc_lo
	v_cmp_eq_u32_e32 vcc_lo, 2, v0
	s_delay_alu instid0(VALU_DEP_2) | instskip(SKIP_1) | instid1(VALU_DEP_2)
	v_cndmask_b32_e32 v31, v31, v4, vcc_lo
	v_cmp_eq_u32_e32 vcc_lo, 3, v0
	v_cndmask_b32_e32 v31, v31, v5, vcc_lo
	v_cmp_eq_u32_e32 vcc_lo, 4, v0
	s_delay_alu instid0(VALU_DEP_2) | instskip(SKIP_1) | instid1(VALU_DEP_2)
	v_cndmask_b32_e32 v31, v31, v6, vcc_lo
	v_cmp_eq_u32_e32 vcc_lo, 5, v0
	;; [unrolled: 5-line block ×13, first 2 shown]
	v_cndmask_b32_e32 v31, v31, v29, vcc_lo
	v_cmp_eq_u32_e32 vcc_lo, 28, v0
	s_delay_alu instid0(VALU_DEP_2) | instskip(SKIP_1) | instid1(VALU_DEP_1)
	v_cndmask_b32_e32 v31, v31, v30, vcc_lo
	s_wait_dscnt 0x0
	v_mul_f32_e32 v31, v31, v32
	s_cbranch_execz .LBB92_700
	s_branch .LBB92_701
.LBB92_699:
                                        ; implicit-def: $vgpr31
.LBB92_700:
	ds_load_b32 v31, v127
.LBB92_701:
	s_mov_b32 s2, exec_lo
	v_cmpx_ne_u32_e32 26, v0
	s_cbranch_execz .LBB92_705
; %bb.702:
	v_mov_b64_e32 v[32:33], v[0:1]
	v_lshl_add_u32 v35, v0, 2, 0x84
	s_mov_b32 s3, 0
.LBB92_703:                             ; =>This Inner Loop Header: Depth=1
	s_delay_alu instid0(VALU_DEP_2)
	v_add_nc_u64_e32 v[32:33], 1, v[32:33]
	ds_load_b32 v37, v35
	v_add_nc_u32_e32 v35, 4, v35
	v_cmp_eq_u32_e32 vcc_lo, 1, v32
	v_cndmask_b32_e32 v36, v2, v3, vcc_lo
	v_cmp_eq_u32_e32 vcc_lo, 2, v32
	s_delay_alu instid0(VALU_DEP_2) | instskip(SKIP_1) | instid1(VALU_DEP_2)
	v_cndmask_b32_e32 v36, v36, v4, vcc_lo
	v_cmp_eq_u32_e32 vcc_lo, 3, v32
	v_cndmask_b32_e32 v36, v36, v5, vcc_lo
	v_cmp_eq_u32_e32 vcc_lo, 4, v32
	s_delay_alu instid0(VALU_DEP_2) | instskip(SKIP_1) | instid1(VALU_DEP_2)
	v_cndmask_b32_e32 v36, v36, v6, vcc_lo
	;; [unrolled: 5-line block ×13, first 2 shown]
	v_cmp_eq_u32_e32 vcc_lo, 27, v32
	v_cndmask_b32_e32 v36, v36, v29, vcc_lo
	v_cmp_eq_u32_e32 vcc_lo, 28, v32
	s_delay_alu instid0(VALU_DEP_2) | instskip(SKIP_2) | instid1(VALU_DEP_2)
	v_cndmask_b32_e32 v36, v36, v30, vcc_lo
	v_cmp_lt_u32_e32 vcc_lo, 25, v32
	s_wait_dscnt 0x0
	v_fmac_f32_e32 v31, v36, v37
	s_or_b32 s3, vcc_lo, s3
	s_delay_alu instid0(SALU_CYCLE_1)
	s_and_not1_b32 exec_lo, exec_lo, s3
	s_cbranch_execnz .LBB92_703
; %bb.704:
	s_or_b32 exec_lo, exec_lo, s3
.LBB92_705:
	s_delay_alu instid0(SALU_CYCLE_1)
	s_or_b32 exec_lo, exec_lo, s2
	v_mov_b32_e32 v29, 0
	ds_load_b32 v29, v29 offset:108
	s_wait_dscnt 0x0
	v_mul_f32_e32 v29, v31, v29
.LBB92_706:
	s_or_b32 exec_lo, exec_lo, s1
	s_delay_alu instid0(SALU_CYCLE_1)
	s_mov_b32 s1, exec_lo
	ds_store_b32 v127, v30
	s_wait_dscnt 0x0
	s_barrier_signal -1
	s_barrier_wait -1
	v_cmpx_ne_u32_e32 28, v0
	s_cbranch_execz .LBB92_716
; %bb.707:
	v_cmp_ne_u32_e32 vcc_lo, 1, v34
	s_cbranch_vccnz .LBB92_709
; %bb.708:
	v_cmp_eq_u32_e32 vcc_lo, 1, v0
	ds_load_b32 v32, v127
	v_cndmask_b32_e32 v31, v2, v3, vcc_lo
	v_cmp_eq_u32_e32 vcc_lo, 2, v0
	s_delay_alu instid0(VALU_DEP_2) | instskip(SKIP_1) | instid1(VALU_DEP_2)
	v_cndmask_b32_e32 v31, v31, v4, vcc_lo
	v_cmp_eq_u32_e32 vcc_lo, 3, v0
	v_cndmask_b32_e32 v31, v31, v5, vcc_lo
	v_cmp_eq_u32_e32 vcc_lo, 4, v0
	s_delay_alu instid0(VALU_DEP_2) | instskip(SKIP_1) | instid1(VALU_DEP_2)
	v_cndmask_b32_e32 v31, v31, v6, vcc_lo
	v_cmp_eq_u32_e32 vcc_lo, 5, v0
	;; [unrolled: 5-line block ×13, first 2 shown]
	v_cndmask_b32_e32 v31, v31, v29, vcc_lo
	v_cmp_eq_u32_e32 vcc_lo, 28, v0
	s_delay_alu instid0(VALU_DEP_2) | instskip(SKIP_1) | instid1(VALU_DEP_1)
	v_cndmask_b32_e32 v31, v31, v30, vcc_lo
	s_wait_dscnt 0x0
	v_mul_f32_e32 v31, v31, v32
	s_cbranch_execz .LBB92_710
	s_branch .LBB92_711
.LBB92_709:
                                        ; implicit-def: $vgpr31
.LBB92_710:
	ds_load_b32 v31, v127
.LBB92_711:
	s_and_saveexec_b32 s2, s0
	s_cbranch_execz .LBB92_715
; %bb.712:
	v_lshl_add_u32 v32, v0, 2, 0x84
	s_mov_b32 s0, 0
.LBB92_713:                             ; =>This Inner Loop Header: Depth=1
	v_add_nc_u64_e32 v[0:1], 1, v[0:1]
	ds_load_b32 v34, v32
	v_add_nc_u32_e32 v32, 4, v32
	v_cmp_eq_u32_e32 vcc_lo, 1, v0
	v_cndmask_b32_e32 v33, v2, v3, vcc_lo
	v_cmp_eq_u32_e32 vcc_lo, 2, v0
	s_delay_alu instid0(VALU_DEP_2) | instskip(SKIP_1) | instid1(VALU_DEP_2)
	v_cndmask_b32_e32 v33, v33, v4, vcc_lo
	v_cmp_eq_u32_e32 vcc_lo, 3, v0
	v_cndmask_b32_e32 v33, v33, v5, vcc_lo
	v_cmp_eq_u32_e32 vcc_lo, 4, v0
	s_delay_alu instid0(VALU_DEP_2) | instskip(SKIP_1) | instid1(VALU_DEP_2)
	v_cndmask_b32_e32 v33, v33, v6, vcc_lo
	;; [unrolled: 5-line block ×13, first 2 shown]
	v_cmp_eq_u32_e32 vcc_lo, 27, v0
	v_cndmask_b32_e32 v33, v33, v29, vcc_lo
	v_cmp_eq_u32_e32 vcc_lo, 28, v0
	s_delay_alu instid0(VALU_DEP_2) | instskip(SKIP_2) | instid1(VALU_DEP_2)
	v_cndmask_b32_e32 v33, v33, v30, vcc_lo
	v_cmp_lt_u32_e32 vcc_lo, 26, v0
	s_wait_dscnt 0x0
	v_fmac_f32_e32 v31, v33, v34
	s_or_b32 s0, vcc_lo, s0
	s_delay_alu instid0(SALU_CYCLE_1)
	s_and_not1_b32 exec_lo, exec_lo, s0
	s_cbranch_execnz .LBB92_713
; %bb.714:
	s_or_b32 exec_lo, exec_lo, s0
.LBB92_715:
	s_delay_alu instid0(SALU_CYCLE_1)
	s_or_b32 exec_lo, exec_lo, s2
	v_mov_b32_e32 v0, 0
	ds_load_b32 v0, v0 offset:112
	s_wait_dscnt 0x0
	v_mul_f32_e32 v30, v31, v0
.LBB92_716:
	s_or_b32 exec_lo, exec_lo, s1
	v_mov_b64_e32 v[64:65], v[32:33]
	s_delay_alu instid0(VALU_DEP_2)
	v_mov_b64_e32 v[62:63], v[30:31]
	v_mov_b64_e32 v[60:61], v[28:29]
	;; [unrolled: 1-line block ×15, first 2 shown]
.LBB92_717:
	s_wait_xcnt 0x4
	v_lshl_add_u64 v[0:1], v[66:67], 2, s[30:31]
	s_wait_loadcnt_dscnt 0x405
	v_lshl_add_u64 v[2:3], v[68:69], 2, s[30:31]
	v_lshl_add_u64 v[4:5], v[70:71], 2, s[30:31]
	;; [unrolled: 1-line block ×12, first 2 shown]
	s_wait_loadcnt_dscnt 0x304
	v_lshl_add_u64 v[26:27], v[92:93], 2, s[30:31]
	s_wait_loadcnt_dscnt 0x102
	v_lshl_add_u64 v[28:29], v[94:95], 2, s[30:31]
	;; [unrolled: 2-line block ×3, first 2 shown]
	v_lshl_add_u64 v[32:33], v[98:99], 2, s[30:31]
	v_lshl_add_u64 v[64:65], v[100:101], 2, s[30:31]
	;; [unrolled: 1-line block ×11, first 2 shown]
	s_clause 0x1c
	flat_store_b32 v[102:103], v34
	flat_store_b32 v[108:109], v35
	;; [unrolled: 1-line block ×29, first 2 shown]
.LBB92_718:
	s_sendmsg sendmsg(MSG_DEALLOC_VGPRS)
	s_endpgm
	.section	.rodata,"a",@progbits
	.p2align	6, 0x0
	.amdhsa_kernel _ZN9rocsolver6v33100L18trti2_kernel_smallILi29EfPKPfEEv13rocblas_fill_17rocblas_diagonal_T1_iil
		.amdhsa_group_segment_fixed_size 244
		.amdhsa_private_segment_fixed_size 0
		.amdhsa_kernarg_size 32
		.amdhsa_user_sgpr_count 2
		.amdhsa_user_sgpr_dispatch_ptr 0
		.amdhsa_user_sgpr_queue_ptr 0
		.amdhsa_user_sgpr_kernarg_segment_ptr 1
		.amdhsa_user_sgpr_dispatch_id 0
		.amdhsa_user_sgpr_kernarg_preload_length 0
		.amdhsa_user_sgpr_kernarg_preload_offset 0
		.amdhsa_user_sgpr_private_segment_size 0
		.amdhsa_wavefront_size32 1
		.amdhsa_uses_dynamic_stack 0
		.amdhsa_enable_private_segment 0
		.amdhsa_system_sgpr_workgroup_id_x 1
		.amdhsa_system_sgpr_workgroup_id_y 0
		.amdhsa_system_sgpr_workgroup_id_z 0
		.amdhsa_system_sgpr_workgroup_info 0
		.amdhsa_system_vgpr_workitem_id 0
		.amdhsa_next_free_vgpr 139
		.amdhsa_next_free_sgpr 40
		.amdhsa_named_barrier_count 0
		.amdhsa_reserve_vcc 1
		.amdhsa_float_round_mode_32 0
		.amdhsa_float_round_mode_16_64 0
		.amdhsa_float_denorm_mode_32 3
		.amdhsa_float_denorm_mode_16_64 3
		.amdhsa_fp16_overflow 0
		.amdhsa_memory_ordered 1
		.amdhsa_forward_progress 1
		.amdhsa_inst_pref_size 255
		.amdhsa_round_robin_scheduling 0
		.amdhsa_exception_fp_ieee_invalid_op 0
		.amdhsa_exception_fp_denorm_src 0
		.amdhsa_exception_fp_ieee_div_zero 0
		.amdhsa_exception_fp_ieee_overflow 0
		.amdhsa_exception_fp_ieee_underflow 0
		.amdhsa_exception_fp_ieee_inexact 0
		.amdhsa_exception_int_div_zero 0
	.end_amdhsa_kernel
	.section	.text._ZN9rocsolver6v33100L18trti2_kernel_smallILi29EfPKPfEEv13rocblas_fill_17rocblas_diagonal_T1_iil,"axG",@progbits,_ZN9rocsolver6v33100L18trti2_kernel_smallILi29EfPKPfEEv13rocblas_fill_17rocblas_diagonal_T1_iil,comdat
.Lfunc_end92:
	.size	_ZN9rocsolver6v33100L18trti2_kernel_smallILi29EfPKPfEEv13rocblas_fill_17rocblas_diagonal_T1_iil, .Lfunc_end92-_ZN9rocsolver6v33100L18trti2_kernel_smallILi29EfPKPfEEv13rocblas_fill_17rocblas_diagonal_T1_iil
                                        ; -- End function
	.set _ZN9rocsolver6v33100L18trti2_kernel_smallILi29EfPKPfEEv13rocblas_fill_17rocblas_diagonal_T1_iil.num_vgpr, 139
	.set _ZN9rocsolver6v33100L18trti2_kernel_smallILi29EfPKPfEEv13rocblas_fill_17rocblas_diagonal_T1_iil.num_agpr, 0
	.set _ZN9rocsolver6v33100L18trti2_kernel_smallILi29EfPKPfEEv13rocblas_fill_17rocblas_diagonal_T1_iil.numbered_sgpr, 40
	.set _ZN9rocsolver6v33100L18trti2_kernel_smallILi29EfPKPfEEv13rocblas_fill_17rocblas_diagonal_T1_iil.num_named_barrier, 0
	.set _ZN9rocsolver6v33100L18trti2_kernel_smallILi29EfPKPfEEv13rocblas_fill_17rocblas_diagonal_T1_iil.private_seg_size, 0
	.set _ZN9rocsolver6v33100L18trti2_kernel_smallILi29EfPKPfEEv13rocblas_fill_17rocblas_diagonal_T1_iil.uses_vcc, 1
	.set _ZN9rocsolver6v33100L18trti2_kernel_smallILi29EfPKPfEEv13rocblas_fill_17rocblas_diagonal_T1_iil.uses_flat_scratch, 1
	.set _ZN9rocsolver6v33100L18trti2_kernel_smallILi29EfPKPfEEv13rocblas_fill_17rocblas_diagonal_T1_iil.has_dyn_sized_stack, 0
	.set _ZN9rocsolver6v33100L18trti2_kernel_smallILi29EfPKPfEEv13rocblas_fill_17rocblas_diagonal_T1_iil.has_recursion, 0
	.set _ZN9rocsolver6v33100L18trti2_kernel_smallILi29EfPKPfEEv13rocblas_fill_17rocblas_diagonal_T1_iil.has_indirect_call, 0
	.section	.AMDGPU.csdata,"",@progbits
; Kernel info:
; codeLenInByte = 52408
; TotalNumSgprs: 42
; NumVgprs: 139
; ScratchSize: 0
; MemoryBound: 0
; FloatMode: 240
; IeeeMode: 1
; LDSByteSize: 244 bytes/workgroup (compile time only)
; SGPRBlocks: 0
; VGPRBlocks: 8
; NumSGPRsForWavesPerEU: 42
; NumVGPRsForWavesPerEU: 139
; NamedBarCnt: 0
; Occupancy: 7
; WaveLimiterHint : 1
; COMPUTE_PGM_RSRC2:SCRATCH_EN: 0
; COMPUTE_PGM_RSRC2:USER_SGPR: 2
; COMPUTE_PGM_RSRC2:TRAP_HANDLER: 0
; COMPUTE_PGM_RSRC2:TGID_X_EN: 1
; COMPUTE_PGM_RSRC2:TGID_Y_EN: 0
; COMPUTE_PGM_RSRC2:TGID_Z_EN: 0
; COMPUTE_PGM_RSRC2:TIDIG_COMP_CNT: 0
	.section	.text._ZN9rocsolver6v33100L18trti2_kernel_smallILi30EfPKPfEEv13rocblas_fill_17rocblas_diagonal_T1_iil,"axG",@progbits,_ZN9rocsolver6v33100L18trti2_kernel_smallILi30EfPKPfEEv13rocblas_fill_17rocblas_diagonal_T1_iil,comdat
	.globl	_ZN9rocsolver6v33100L18trti2_kernel_smallILi30EfPKPfEEv13rocblas_fill_17rocblas_diagonal_T1_iil ; -- Begin function _ZN9rocsolver6v33100L18trti2_kernel_smallILi30EfPKPfEEv13rocblas_fill_17rocblas_diagonal_T1_iil
	.p2align	8
	.type	_ZN9rocsolver6v33100L18trti2_kernel_smallILi30EfPKPfEEv13rocblas_fill_17rocblas_diagonal_T1_iil,@function
_ZN9rocsolver6v33100L18trti2_kernel_smallILi30EfPKPfEEv13rocblas_fill_17rocblas_diagonal_T1_iil: ; @_ZN9rocsolver6v33100L18trti2_kernel_smallILi30EfPKPfEEv13rocblas_fill_17rocblas_diagonal_T1_iil
; %bb.0:
	s_mov_b32 s2, exec_lo
	v_cmpx_gt_u32_e32 30, v0
	s_cbranch_execz .LBB93_744
; %bb.1:
	s_clause 0x1
	s_load_b64 s[2:3], s[0:1], 0x10
	s_load_b128 s[36:39], s[0:1], 0x0
	s_wait_xcnt 0x0
	s_bfe_u32 s0, ttmp6, 0x4000c
	s_and_b32 s1, ttmp6, 15
	s_add_co_i32 s0, s0, 1
	s_getreg_b32 s4, hwreg(HW_REG_IB_STS2, 6, 4)
	s_mul_i32 s0, ttmp9, s0
	v_mov_b32_e32 v1, 0
	s_add_co_i32 s0, s1, s0
	v_lshlrev_b32_e32 v34, 2, v0
	s_wait_kmcnt 0x0
	v_add3_u32 v66, s3, s3, v0
	s_ashr_i32 s1, s2, 31
	s_cmp_eq_u32 s4, 0
	s_cselect_b32 s4, ttmp9, s0
	s_delay_alu instid0(VALU_DEP_1)
	v_add_nc_u32_e32 v68, s3, v66
	s_ashr_i32 s5, s4, 31
	s_mov_b32 s0, s2
	s_lshl_b64 s[4:5], s[4:5], 3
	s_lshl_b64 s[0:1], s[0:1], 2
	v_add_nc_u32_e32 v70, s3, v68
	s_add_nc_u64 s[4:5], s[38:39], s[4:5]
	s_load_b64 s[4:5], s[4:5], 0x0
	s_delay_alu instid0(VALU_DEP_1) | instskip(NEXT) | instid1(VALU_DEP_1)
	v_add_nc_u32_e32 v72, s3, v70
	v_add_nc_u32_e32 v74, s3, v72
	s_delay_alu instid0(VALU_DEP_1) | instskip(NEXT) | instid1(VALU_DEP_1)
	v_add_nc_u32_e32 v76, s3, v74
	v_add_nc_u32_e32 v78, s3, v76
	s_wait_kmcnt 0x0
	s_add_nc_u64 s[30:31], s[4:5], s[0:1]
	s_mov_b32 s0, s3
	s_delay_alu instid0(VALU_DEP_1) | instskip(SKIP_3) | instid1(VALU_DEP_1)
	v_add_nc_u32_e32 v80, s3, v78
	s_ashr_i32 s1, s3, 31
	s_cmp_lg_u32 s37, 0x84
	s_cselect_b32 s33, -1, 0
	v_add_nc_u32_e32 v82, s3, v80
	s_cmp_eq_u32 s37, 0x84
	s_delay_alu instid0(VALU_DEP_1) | instskip(NEXT) | instid1(VALU_DEP_1)
	v_add_nc_u32_e32 v84, s3, v82
	v_add_nc_u32_e32 v86, s3, v84
	s_delay_alu instid0(VALU_DEP_1) | instskip(NEXT) | instid1(VALU_DEP_1)
	v_add_nc_u32_e32 v88, s3, v86
	v_add_nc_u32_e32 v90, s3, v88
	;; [unrolled: 3-line block ×5, first 2 shown]
	s_delay_alu instid0(VALU_DEP_1) | instskip(NEXT) | instid1(VALU_DEP_1)
	v_add_nc_u32_e32 v106, s3, v102
	v_dual_mov_b32 v35, v1 :: v_dual_add_nc_u32 v108, s3, v106
	s_delay_alu instid0(VALU_DEP_1) | instskip(NEXT) | instid1(VALU_DEP_2)
	v_add_nc_u32_e32 v112, s3, v108
	v_add_nc_u64_e32 v[104:105], s[30:31], v[34:35]
	s_delay_alu instid0(VALU_DEP_2) | instskip(NEXT) | instid1(VALU_DEP_2)
	v_dual_mov_b32 v35, -1.0 :: v_dual_add_nc_u32 v114, s3, v112
	v_lshl_add_u64 v[110:111], s[0:1], 2, v[104:105]
	v_cmp_eq_u32_e64 s0, 0, v0
	s_delay_alu instid0(VALU_DEP_3)
	v_add_nc_u32_e32 v116, s3, v114
	s_clause 0xf
	flat_load_b32 v3, v[110:111]
	flat_load_b32 v4, v66, s[30:31] scale_offset
	flat_load_b32 v5, v68, s[30:31] scale_offset
	flat_load_b32 v6, v70, s[30:31] scale_offset
	flat_load_b32 v7, v72, s[30:31] scale_offset
	flat_load_b32 v8, v74, s[30:31] scale_offset
	flat_load_b32 v9, v76, s[30:31] scale_offset
	flat_load_b32 v10, v78, s[30:31] scale_offset
	flat_load_b32 v11, v80, s[30:31] scale_offset
	flat_load_b32 v12, v82, s[30:31] scale_offset
	flat_load_b32 v13, v84, s[30:31] scale_offset
	flat_load_b32 v14, v86, s[30:31] scale_offset
	flat_load_b32 v15, v88, s[30:31] scale_offset
	flat_load_b32 v16, v90, s[30:31] scale_offset
	flat_load_b32 v17, v92, s[30:31] scale_offset
	flat_load_b32 v18, v94, s[30:31] scale_offset
	v_add_nc_u32_e32 v118, s3, v116
	s_delay_alu instid0(VALU_DEP_1)
	v_add_nc_u32_e32 v120, s3, v118
	s_clause 0x7
	flat_load_b32 v19, v96, s[30:31] scale_offset
	flat_load_b32 v20, v98, s[30:31] scale_offset
	;; [unrolled: 1-line block ×8, first 2 shown]
	v_add_nc_u32_e32 v122, s3, v120
	s_delay_alu instid0(VALU_DEP_1)
	v_add_nc_u32_e32 v124, s3, v122
	s_clause 0x5
	flat_load_b32 v2, v0, s[30:31] scale_offset
	flat_load_b32 v27, v116, s[30:31] scale_offset
	;; [unrolled: 1-line block ×6, first 2 shown]
	s_cbranch_scc1 .LBB93_3
; %bb.2:
	v_cmp_eq_u32_e64 s1, 1, v0
	v_cmp_eq_u32_e64 s2, 2, v0
	;; [unrolled: 1-line block ×5, first 2 shown]
	s_wait_loadcnt_dscnt 0x505
	v_cndmask_b32_e64 v32, v2, v3, s1
	v_cmp_eq_u32_e64 s6, 6, v0
	v_cmp_eq_u32_e64 s7, 7, v0
	v_cmp_eq_u32_e64 s8, 8, v0
	v_cmp_eq_u32_e64 s9, 9, v0
	v_cndmask_b32_e64 v32, v32, v4, s2
	v_cmp_eq_u32_e64 s10, 10, v0
	v_cmp_eq_u32_e64 s11, 11, v0
	v_cmp_eq_u32_e64 s12, 12, v0
	v_cmp_eq_u32_e64 s13, 13, v0
	;; [unrolled: 5-line block ×6, first 2 shown]
	v_cndmask_b32_e64 v32, v32, v9, s7
	s_delay_alu instid0(VALU_DEP_1) | instskip(NEXT) | instid1(VALU_DEP_1)
	v_cndmask_b32_e64 v32, v32, v10, s8
	v_cndmask_b32_e64 v32, v32, v11, s9
	s_delay_alu instid0(VALU_DEP_1) | instskip(NEXT) | instid1(VALU_DEP_1)
	v_cndmask_b32_e64 v32, v32, v12, s10
	;; [unrolled: 3-line block ×8, first 2 shown]
	v_cndmask_b32_e64 v32, v32, v25, s23
	s_delay_alu instid0(VALU_DEP_1) | instskip(SKIP_1) | instid1(VALU_DEP_1)
	v_cndmask_b32_e64 v32, v32, v26, s24
	s_wait_loadcnt_dscnt 0x404
	v_cndmask_b32_e64 v32, v32, v27, s25
	s_wait_loadcnt_dscnt 0x303
	s_delay_alu instid0(VALU_DEP_1) | instskip(SKIP_1) | instid1(VALU_DEP_1)
	v_cndmask_b32_e64 v32, v32, v28, s26
	s_wait_loadcnt_dscnt 0x202
	v_cndmask_b32_e64 v32, v32, v29, s27
	s_wait_loadcnt_dscnt 0x101
	s_delay_alu instid0(VALU_DEP_1) | instskip(SKIP_1) | instid1(VALU_DEP_1)
	v_cndmask_b32_e64 v32, v32, v30, s28
	s_wait_loadcnt_dscnt 0x0
	v_cndmask_b32_e64 v32, v32, v31, s29
	s_delay_alu instid0(VALU_DEP_1) | instskip(SKIP_1) | instid1(VALU_DEP_2)
	v_div_scale_f32 v33, null, v32, v32, 1.0
	v_div_scale_f32 v37, vcc_lo, 1.0, v32, 1.0
	v_rcp_f32_e32 v35, v33
	v_nop
	s_delay_alu instid0(TRANS32_DEP_1) | instskip(NEXT) | instid1(VALU_DEP_1)
	v_fma_f32 v36, -v33, v35, 1.0
	v_fmac_f32_e32 v35, v36, v35
	s_delay_alu instid0(VALU_DEP_1) | instskip(NEXT) | instid1(VALU_DEP_1)
	v_mul_f32_e32 v36, v37, v35
	v_fma_f32 v38, -v33, v36, v37
	s_delay_alu instid0(VALU_DEP_1) | instskip(NEXT) | instid1(VALU_DEP_1)
	v_fmac_f32_e32 v36, v38, v35
	v_fma_f32 v33, -v33, v36, v37
	s_delay_alu instid0(VALU_DEP_1) | instskip(NEXT) | instid1(VALU_DEP_1)
	v_div_fmas_f32 v33, v33, v35, v36
	v_div_fixup_f32 v32, v33, v32, 1.0
	s_delay_alu instid0(VALU_DEP_1)
	v_dual_cndmask_b32 v31, v31, v32, s29 :: v_dual_cndmask_b32 v30, v30, v32, s28
	v_dual_cndmask_b32 v29, v29, v32, s27 :: v_dual_cndmask_b32 v28, v28, v32, s26
	;; [unrolled: 1-line block ×15, first 2 shown]
	v_xor_b32_e32 v35, 0x80000000, v32
.LBB93_3:
	v_dual_ashrrev_i32 v67, 31, v66 :: v_dual_ashrrev_i32 v69, 31, v68
	v_dual_ashrrev_i32 v71, 31, v70 :: v_dual_ashrrev_i32 v73, 31, v72
	;; [unrolled: 1-line block ×14, first 2 shown]
	v_add_nc_u32_e32 v129, 0x80, v34
	s_cmp_eq_u32 s36, 0x79
	ds_store_b32 v34, v35
	s_cbranch_scc1 .LBB93_7
; %bb.4:
	s_wait_loadcnt_dscnt 0x1
	v_mov_b64_e32 v[64:65], v[32:33]
	v_mov_b64_e32 v[62:63], v[30:31]
	;; [unrolled: 1-line block ×16, first 2 shown]
	v_cmp_eq_u32_e64 s0, 29, v0
	ds_store_b32 v129, v30
	s_wait_dscnt 0x0
	s_barrier_signal -1
	s_barrier_wait -1
	s_and_saveexec_b32 s1, s0
	s_cbranch_execz .LBB93_11
; %bb.5:
	s_and_b32 vcc_lo, exec_lo, s33
	s_cbranch_vccz .LBB93_8
; %bb.6:
	v_cmp_eq_u32_e32 vcc_lo, 1, v0
	ds_load_b32 v35, v129
	v_cndmask_b32_e32 v34, v2, v3, vcc_lo
	v_cmp_eq_u32_e32 vcc_lo, 2, v0
	s_delay_alu instid0(VALU_DEP_2) | instskip(SKIP_1) | instid1(VALU_DEP_2)
	v_cndmask_b32_e32 v34, v34, v4, vcc_lo
	v_cmp_eq_u32_e32 vcc_lo, 3, v0
	v_cndmask_b32_e32 v34, v34, v5, vcc_lo
	v_cmp_eq_u32_e32 vcc_lo, 4, v0
	s_delay_alu instid0(VALU_DEP_2) | instskip(SKIP_1) | instid1(VALU_DEP_2)
	v_cndmask_b32_e32 v34, v34, v6, vcc_lo
	v_cmp_eq_u32_e32 vcc_lo, 5, v0
	;; [unrolled: 5-line block ×14, first 2 shown]
	v_cndmask_b32_e32 v34, v34, v31, vcc_lo
	s_wait_dscnt 0x0
	s_delay_alu instid0(VALU_DEP_1)
	v_mul_f32_e32 v57, v34, v35
	s_cbranch_execz .LBB93_9
	s_branch .LBB93_10
.LBB93_7:
                                        ; implicit-def: $vgpr34_vgpr35_vgpr36_vgpr37_vgpr38_vgpr39_vgpr40_vgpr41_vgpr42_vgpr43_vgpr44_vgpr45_vgpr46_vgpr47_vgpr48_vgpr49_vgpr50_vgpr51_vgpr52_vgpr53_vgpr54_vgpr55_vgpr56_vgpr57_vgpr58_vgpr59_vgpr60_vgpr61_vgpr62_vgpr63_vgpr64_vgpr65
	s_cbranch_execnz .LBB93_450
	s_branch .LBB93_743
.LBB93_8:
                                        ; implicit-def: $vgpr57
.LBB93_9:
	ds_load_b32 v57, v129
.LBB93_10:
	v_dual_mov_b32 v38, 0 :: v_dual_mov_b32 v34, v2
	v_dual_mov_b32 v35, v3 :: v_dual_mov_b32 v36, v4
	v_mov_b32_e32 v37, v5
	ds_load_b32 v58, v38 offset:112
	v_dual_mov_b32 v38, v6 :: v_dual_mov_b32 v39, v7
	v_dual_mov_b32 v40, v8 :: v_dual_mov_b32 v41, v9
	;; [unrolled: 1-line block ×9, first 2 shown]
	s_wait_dscnt 0x0
	v_dual_mov_b32 v56, v24 :: v_dual_mul_f32 v62, v57, v58
	v_dual_mov_b32 v58, v26 :: v_dual_mov_b32 v57, v25
	v_dual_mov_b32 v59, v27 :: v_dual_mov_b32 v60, v28
	;; [unrolled: 1-line block ×3, first 2 shown]
.LBB93_11:
	s_or_b32 exec_lo, exec_lo, s1
	v_cmp_lt_u32_e64 s1, 27, v0
	ds_store_b32 v129, v61
	s_wait_dscnt 0x0
	s_barrier_signal -1
	s_barrier_wait -1
	s_and_saveexec_b32 s2, s1
	s_cbranch_execz .LBB93_17
; %bb.12:
	s_and_not1_b32 vcc_lo, exec_lo, s33
	s_cbranch_vccnz .LBB93_14
; %bb.13:
	v_cmp_eq_u32_e32 vcc_lo, 1, v0
	ds_load_b32 v65, v129
	v_cndmask_b32_e32 v64, v34, v35, vcc_lo
	v_cmp_eq_u32_e32 vcc_lo, 2, v0
	s_delay_alu instid0(VALU_DEP_2) | instskip(SKIP_1) | instid1(VALU_DEP_2)
	v_cndmask_b32_e32 v64, v64, v36, vcc_lo
	v_cmp_eq_u32_e32 vcc_lo, 3, v0
	v_cndmask_b32_e32 v64, v64, v37, vcc_lo
	v_cmp_eq_u32_e32 vcc_lo, 4, v0
	s_delay_alu instid0(VALU_DEP_2) | instskip(SKIP_1) | instid1(VALU_DEP_2)
	v_cndmask_b32_e32 v64, v64, v38, vcc_lo
	v_cmp_eq_u32_e32 vcc_lo, 5, v0
	;; [unrolled: 5-line block ×14, first 2 shown]
	v_cndmask_b32_e32 v61, v61, v63, vcc_lo
	s_wait_dscnt 0x0
	s_delay_alu instid0(VALU_DEP_1)
	v_mul_f32_e32 v61, v61, v65
	s_cbranch_execz .LBB93_15
	s_branch .LBB93_16
.LBB93_14:
                                        ; implicit-def: $vgpr61
.LBB93_15:
	ds_load_b32 v61, v129
.LBB93_16:
	v_mov_b32_e32 v64, 0
	ds_load_2addr_b32 v[64:65], v64 offset0:27 offset1:60
	s_wait_dscnt 0x0
	v_fma_f32 v65, v62, v65, v61
	s_delay_alu instid0(VALU_DEP_1) | instskip(NEXT) | instid1(VALU_DEP_1)
	v_cndmask_b32_e64 v61, v61, v65, s0
	v_mul_f32_e32 v61, v61, v64
.LBB93_17:
	s_or_b32 exec_lo, exec_lo, s2
	v_cmp_lt_u32_e64 s0, 26, v0
	ds_store_b32 v129, v60
	s_wait_dscnt 0x0
	s_barrier_signal -1
	s_barrier_wait -1
	s_and_saveexec_b32 s4, s0
	s_cbranch_execz .LBB93_33
; %bb.18:
	s_and_not1_b32 vcc_lo, exec_lo, s33
	s_cbranch_vccnz .LBB93_20
; %bb.19:
	v_cmp_eq_u32_e32 vcc_lo, 1, v0
	v_cmp_eq_u32_e64 s2, 2, v0
	ds_load_b32 v127, v129
	v_cndmask_b32_e32 v126, v34, v35, vcc_lo
	v_cmp_eq_u32_e32 vcc_lo, 3, v0
	s_delay_alu instid0(VALU_DEP_2) | instskip(SKIP_1) | instid1(VALU_DEP_2)
	v_cndmask_b32_e64 v126, v126, v36, s2
	v_cmp_eq_u32_e64 s2, 4, v0
	v_cndmask_b32_e32 v126, v126, v37, vcc_lo
	v_cmp_eq_u32_e32 vcc_lo, 5, v0
	s_delay_alu instid0(VALU_DEP_2) | instskip(SKIP_1) | instid1(VALU_DEP_2)
	v_cndmask_b32_e64 v126, v126, v38, s2
	v_cmp_eq_u32_e64 s2, 6, v0
	;; [unrolled: 5-line block ×13, first 2 shown]
	v_cndmask_b32_e32 v126, v126, v61, vcc_lo
	v_cmp_eq_u32_e32 vcc_lo, 29, v0
	s_delay_alu instid0(VALU_DEP_2) | instskip(NEXT) | instid1(VALU_DEP_1)
	v_cndmask_b32_e64 v126, v126, v62, s2
	v_cndmask_b32_e32 v126, v126, v63, vcc_lo
	s_wait_dscnt 0x0
	s_delay_alu instid0(VALU_DEP_1)
	v_mul_f32_e32 v130, v126, v127
	s_cbranch_execz .LBB93_21
	s_branch .LBB93_22
.LBB93_20:
                                        ; implicit-def: $vgpr130
.LBB93_21:
	ds_load_b32 v130, v129
.LBB93_22:
	s_and_saveexec_b32 s5, s1
	s_cbranch_execz .LBB93_32
; %bb.23:
	v_subrev_nc_u32_e32 v128, 28, v0
	v_mov_b32_e32 v126, 27
	v_subrev_nc_u32_e32 v127, 27, v0
	s_mov_b32 s1, exec_lo
	s_delay_alu instid0(VALU_DEP_3)
	v_cmpx_lt_u32_e32 6, v128
	s_cbranch_execz .LBB93_27
; %bb.24:
	s_delay_alu instid0(VALU_DEP_2) | instskip(SKIP_3) | instid1(VALU_DEP_1)
	v_and_b32_e32 v126, -8, v127
	s_mov_b32 s6, 0
	s_mov_b64 s[2:3], 34
	s_movk_i32 s7, 0xec
	v_sub_nc_u32_e32 v128, 0, v126
.LBB93_25:                              ; =>This Inner Loop Header: Depth=1
	s_add_co_i32 m0, s2, -7
	v_movrels_b32_e32 v131, v34
	v_mov_b32_e32 v126, s7
	s_add_co_i32 m0, s2, -6
	s_add_co_i32 s7, s7, 32
	v_movrels_b32_e32 v140, v34
	ds_load_2addr_b32 v[132:133], v126 offset1:1
	ds_load_2addr_b32 v[134:135], v126 offset0:2 offset1:3
	s_add_co_i32 m0, s2, -5
	s_wait_dscnt 0x1
	v_fmac_f32_e32 v130, v131, v132
	ds_load_2addr_b32 v[136:137], v126 offset0:4 offset1:5
	ds_load_2addr_b32 v[138:139], v126 offset0:6 offset1:7
	v_movrels_b32_e32 v126, v34
	s_add_co_i32 m0, s2, -4
	v_fmac_f32_e32 v130, v140, v133
	v_movrels_b32_e32 v131, v34
	s_add_co_i32 m0, s2, -3
	s_wait_dscnt 0x2
	s_delay_alu instid0(VALU_DEP_2) | instskip(SKIP_2) | instid1(VALU_DEP_2)
	v_fmac_f32_e32 v130, v126, v134
	v_movrels_b32_e32 v126, v34
	s_add_co_i32 m0, s2, -2
	v_fmac_f32_e32 v130, v131, v135
	v_movrels_b32_e32 v131, v34
	s_add_co_i32 m0, s2, -1
	s_wait_dscnt 0x1
	s_delay_alu instid0(VALU_DEP_2)
	v_fmac_f32_e32 v130, v126, v136
	v_movrels_b32_e32 v126, v34
	s_mov_b32 m0, s2
	s_add_nc_u64 s[2:3], s[2:3], 8
	v_movrels_b32_e32 v132, v34
	v_dual_fmac_f32 v130, v131, v137 :: v_dual_add_nc_u32 v131, s2, v128
	s_add_co_i32 s8, s2, -7
	s_wait_dscnt 0x0
	s_delay_alu instid0(VALU_DEP_1) | instskip(NEXT) | instid1(VALU_DEP_2)
	v_fmac_f32_e32 v130, v126, v138
	v_cmp_eq_u32_e32 vcc_lo, 34, v131
	s_delay_alu instid0(VALU_DEP_2) | instskip(SKIP_1) | instid1(SALU_CYCLE_1)
	v_dual_mov_b32 v126, s8 :: v_dual_fmac_f32 v130, v132, v139
	s_or_b32 s6, vcc_lo, s6
	s_and_not1_b32 exec_lo, exec_lo, s6
	s_cbranch_execnz .LBB93_25
; %bb.26:
	s_or_b32 exec_lo, exec_lo, s6
.LBB93_27:
	s_delay_alu instid0(SALU_CYCLE_1) | instskip(SKIP_3) | instid1(VALU_DEP_1)
	s_or_b32 exec_lo, exec_lo, s1
	v_and_b32_e32 v64, 7, v127
	s_mov_b32 s2, 0
	s_mov_b32 s1, exec_lo
	v_cmpx_ne_u32_e32 0, v64
	s_cbranch_execz .LBB93_31
; %bb.28:
	v_lshl_add_u32 v65, v126, 2, 0x80
	v_mov_b32_e32 v127, 0
.LBB93_29:                              ; =>This Inner Loop Header: Depth=1
	v_cmp_eq_u32_e32 vcc_lo, 1, v126
	ds_load_b32 v131, v65
	v_dual_add_nc_u32 v64, -1, v64 :: v_dual_add_nc_u32 v65, 4, v65
	v_cndmask_b32_e32 v128, v34, v35, vcc_lo
	v_cmp_eq_u32_e32 vcc_lo, 2, v126
	s_delay_alu instid0(VALU_DEP_2) | instskip(SKIP_1) | instid1(VALU_DEP_2)
	v_cndmask_b32_e32 v128, v128, v36, vcc_lo
	v_cmp_eq_u32_e32 vcc_lo, 3, v126
	v_cndmask_b32_e32 v128, v128, v37, vcc_lo
	v_cmp_eq_u32_e32 vcc_lo, 4, v126
	s_delay_alu instid0(VALU_DEP_2) | instskip(SKIP_1) | instid1(VALU_DEP_2)
	v_cndmask_b32_e32 v128, v128, v38, vcc_lo
	v_cmp_eq_u32_e32 vcc_lo, 5, v126
	;; [unrolled: 5-line block ×13, first 2 shown]
	v_cndmask_b32_e32 v128, v128, v61, vcc_lo
	v_cmp_eq_u32_e32 vcc_lo, 28, v126
	s_delay_alu instid0(VALU_DEP_2) | instskip(SKIP_2) | instid1(VALU_DEP_3)
	v_cndmask_b32_e32 v128, v128, v62, vcc_lo
	v_cmp_eq_u32_e32 vcc_lo, 29, v126
	v_add_nc_u64_e32 v[126:127], 1, v[126:127]
	v_cndmask_b32_e32 v128, v128, v63, vcc_lo
	v_cmp_eq_u32_e32 vcc_lo, 0, v64
	s_wait_dscnt 0x0
	s_delay_alu instid0(VALU_DEP_2) | instskip(SKIP_1) | instid1(SALU_CYCLE_1)
	v_fmac_f32_e32 v130, v128, v131
	s_or_b32 s2, vcc_lo, s2
	s_and_not1_b32 exec_lo, exec_lo, s2
	s_cbranch_execnz .LBB93_29
; %bb.30:
	s_or_b32 exec_lo, exec_lo, s2
.LBB93_31:
	s_delay_alu instid0(SALU_CYCLE_1)
	s_or_b32 exec_lo, exec_lo, s1
.LBB93_32:
	s_delay_alu instid0(SALU_CYCLE_1)
	s_or_b32 exec_lo, exec_lo, s5
	v_mov_b32_e32 v60, 0
	ds_load_b32 v60, v60 offset:104
	s_wait_dscnt 0x0
	v_mul_f32_e32 v60, v130, v60
.LBB93_33:
	s_or_b32 exec_lo, exec_lo, s4
	v_cmp_lt_u32_e64 s1, 25, v0
	ds_store_b32 v129, v59
	s_wait_dscnt 0x0
	s_barrier_signal -1
	s_barrier_wait -1
	s_and_saveexec_b32 s4, s1
	s_cbranch_execz .LBB93_49
; %bb.34:
	s_and_not1_b32 vcc_lo, exec_lo, s33
	s_cbranch_vccnz .LBB93_36
; %bb.35:
	v_cmp_eq_u32_e32 vcc_lo, 1, v0
	ds_load_b32 v127, v129
	v_cndmask_b32_e32 v126, v34, v35, vcc_lo
	v_cmp_eq_u32_e32 vcc_lo, 2, v0
	s_delay_alu instid0(VALU_DEP_2) | instskip(SKIP_1) | instid1(VALU_DEP_2)
	v_cndmask_b32_e32 v126, v126, v36, vcc_lo
	v_cmp_eq_u32_e32 vcc_lo, 3, v0
	v_cndmask_b32_e32 v126, v126, v37, vcc_lo
	v_cmp_eq_u32_e32 vcc_lo, 4, v0
	s_delay_alu instid0(VALU_DEP_2) | instskip(SKIP_1) | instid1(VALU_DEP_2)
	v_cndmask_b32_e32 v126, v126, v38, vcc_lo
	v_cmp_eq_u32_e32 vcc_lo, 5, v0
	;; [unrolled: 5-line block ×14, first 2 shown]
	v_cndmask_b32_e32 v126, v126, v63, vcc_lo
	s_wait_dscnt 0x0
	s_delay_alu instid0(VALU_DEP_1)
	v_mul_f32_e32 v130, v126, v127
	s_cbranch_execz .LBB93_37
	s_branch .LBB93_38
.LBB93_36:
                                        ; implicit-def: $vgpr130
.LBB93_37:
	ds_load_b32 v130, v129
.LBB93_38:
	s_and_saveexec_b32 s5, s0
	s_cbranch_execz .LBB93_48
; %bb.39:
	v_subrev_nc_u32_e32 v128, 27, v0
	v_mov_b32_e32 v126, 26
	v_subrev_nc_u32_e32 v127, 26, v0
	s_mov_b32 s0, exec_lo
	s_delay_alu instid0(VALU_DEP_3)
	v_cmpx_lt_u32_e32 6, v128
	s_cbranch_execz .LBB93_43
; %bb.40:
	s_delay_alu instid0(VALU_DEP_2) | instskip(SKIP_3) | instid1(VALU_DEP_1)
	v_and_b32_e32 v126, -8, v127
	s_mov_b32 s6, 0
	s_mov_b64 s[2:3], 33
	s_movk_i32 s7, 0xe8
	v_sub_nc_u32_e32 v128, 0, v126
.LBB93_41:                              ; =>This Inner Loop Header: Depth=1
	s_add_co_i32 m0, s2, -7
	v_movrels_b32_e32 v131, v34
	v_mov_b32_e32 v126, s7
	s_add_co_i32 m0, s2, -6
	s_add_co_i32 s7, s7, 32
	v_movrels_b32_e32 v140, v34
	s_add_co_i32 m0, s2, -5
	ds_load_2addr_b64 v[132:135], v126 offset1:1
	ds_load_2addr_b64 v[136:139], v126 offset0:2 offset1:3
	v_movrels_b32_e32 v126, v34
	s_add_co_i32 m0, s2, -4
	s_wait_dscnt 0x1
	v_fmac_f32_e32 v130, v131, v132
	v_movrels_b32_e32 v131, v34
	s_add_co_i32 m0, s2, -3
	s_delay_alu instid0(VALU_DEP_2) | instskip(NEXT) | instid1(VALU_DEP_1)
	v_fmac_f32_e32 v130, v140, v133
	v_fmac_f32_e32 v130, v126, v134
	v_movrels_b32_e32 v126, v34
	s_add_co_i32 m0, s2, -2
	s_delay_alu instid0(VALU_DEP_2) | instskip(SKIP_3) | instid1(VALU_DEP_2)
	v_fmac_f32_e32 v130, v131, v135
	v_movrels_b32_e32 v131, v34
	s_add_co_i32 m0, s2, -1
	s_wait_dscnt 0x0
	v_fmac_f32_e32 v130, v126, v136
	v_movrels_b32_e32 v126, v34
	s_mov_b32 m0, s2
	s_add_nc_u64 s[2:3], s[2:3], 8
	v_movrels_b32_e32 v132, v34
	v_dual_fmac_f32 v130, v131, v137 :: v_dual_add_nc_u32 v131, s2, v128
	s_add_co_i32 s8, s2, -7
	s_delay_alu instid0(VALU_DEP_1) | instskip(NEXT) | instid1(VALU_DEP_2)
	v_fmac_f32_e32 v130, v126, v138
	v_cmp_eq_u32_e32 vcc_lo, 33, v131
	s_delay_alu instid0(VALU_DEP_2) | instskip(SKIP_1) | instid1(SALU_CYCLE_1)
	v_dual_mov_b32 v126, s8 :: v_dual_fmac_f32 v130, v132, v139
	s_or_b32 s6, vcc_lo, s6
	s_and_not1_b32 exec_lo, exec_lo, s6
	s_cbranch_execnz .LBB93_41
; %bb.42:
	s_or_b32 exec_lo, exec_lo, s6
.LBB93_43:
	s_delay_alu instid0(SALU_CYCLE_1) | instskip(SKIP_3) | instid1(VALU_DEP_1)
	s_or_b32 exec_lo, exec_lo, s0
	v_and_b32_e32 v64, 7, v127
	s_mov_b32 s2, 0
	s_mov_b32 s0, exec_lo
	v_cmpx_ne_u32_e32 0, v64
	s_cbranch_execz .LBB93_47
; %bb.44:
	v_lshl_add_u32 v65, v126, 2, 0x80
	v_mov_b32_e32 v127, 0
.LBB93_45:                              ; =>This Inner Loop Header: Depth=1
	v_cmp_eq_u32_e32 vcc_lo, 1, v126
	ds_load_b32 v131, v65
	v_dual_add_nc_u32 v64, -1, v64 :: v_dual_add_nc_u32 v65, 4, v65
	v_cndmask_b32_e32 v128, v34, v35, vcc_lo
	v_cmp_eq_u32_e32 vcc_lo, 2, v126
	s_delay_alu instid0(VALU_DEP_2) | instskip(SKIP_1) | instid1(VALU_DEP_2)
	v_cndmask_b32_e32 v128, v128, v36, vcc_lo
	v_cmp_eq_u32_e32 vcc_lo, 3, v126
	v_cndmask_b32_e32 v128, v128, v37, vcc_lo
	v_cmp_eq_u32_e32 vcc_lo, 4, v126
	s_delay_alu instid0(VALU_DEP_2) | instskip(SKIP_1) | instid1(VALU_DEP_2)
	v_cndmask_b32_e32 v128, v128, v38, vcc_lo
	v_cmp_eq_u32_e32 vcc_lo, 5, v126
	;; [unrolled: 5-line block ×13, first 2 shown]
	v_cndmask_b32_e32 v128, v128, v61, vcc_lo
	v_cmp_eq_u32_e32 vcc_lo, 28, v126
	s_delay_alu instid0(VALU_DEP_2) | instskip(SKIP_2) | instid1(VALU_DEP_3)
	v_cndmask_b32_e32 v128, v128, v62, vcc_lo
	v_cmp_eq_u32_e32 vcc_lo, 29, v126
	v_add_nc_u64_e32 v[126:127], 1, v[126:127]
	v_cndmask_b32_e32 v128, v128, v63, vcc_lo
	v_cmp_eq_u32_e32 vcc_lo, 0, v64
	s_wait_dscnt 0x0
	s_delay_alu instid0(VALU_DEP_2) | instskip(SKIP_1) | instid1(SALU_CYCLE_1)
	v_fmac_f32_e32 v130, v128, v131
	s_or_b32 s2, vcc_lo, s2
	s_and_not1_b32 exec_lo, exec_lo, s2
	s_cbranch_execnz .LBB93_45
; %bb.46:
	s_or_b32 exec_lo, exec_lo, s2
.LBB93_47:
	s_delay_alu instid0(SALU_CYCLE_1)
	s_or_b32 exec_lo, exec_lo, s0
.LBB93_48:
	s_delay_alu instid0(SALU_CYCLE_1)
	s_or_b32 exec_lo, exec_lo, s5
	v_mov_b32_e32 v59, 0
	ds_load_b32 v59, v59 offset:100
	s_wait_dscnt 0x0
	v_mul_f32_e32 v59, v130, v59
.LBB93_49:
	s_or_b32 exec_lo, exec_lo, s4
	v_cmp_lt_u32_e64 s0, 24, v0
	ds_store_b32 v129, v58
	s_wait_dscnt 0x0
	s_barrier_signal -1
	s_barrier_wait -1
	s_and_saveexec_b32 s4, s0
	s_cbranch_execz .LBB93_65
; %bb.50:
	s_and_not1_b32 vcc_lo, exec_lo, s33
	s_cbranch_vccnz .LBB93_52
; %bb.51:
	v_cmp_eq_u32_e32 vcc_lo, 1, v0
	ds_load_b32 v127, v129
	v_cndmask_b32_e32 v126, v34, v35, vcc_lo
	v_cmp_eq_u32_e32 vcc_lo, 2, v0
	s_delay_alu instid0(VALU_DEP_2) | instskip(SKIP_1) | instid1(VALU_DEP_2)
	v_cndmask_b32_e32 v126, v126, v36, vcc_lo
	v_cmp_eq_u32_e32 vcc_lo, 3, v0
	v_cndmask_b32_e32 v126, v126, v37, vcc_lo
	v_cmp_eq_u32_e32 vcc_lo, 4, v0
	s_delay_alu instid0(VALU_DEP_2) | instskip(SKIP_1) | instid1(VALU_DEP_2)
	v_cndmask_b32_e32 v126, v126, v38, vcc_lo
	v_cmp_eq_u32_e32 vcc_lo, 5, v0
	;; [unrolled: 5-line block ×14, first 2 shown]
	v_cndmask_b32_e32 v126, v126, v63, vcc_lo
	s_wait_dscnt 0x0
	s_delay_alu instid0(VALU_DEP_1)
	v_mul_f32_e32 v130, v126, v127
	s_cbranch_execz .LBB93_53
	s_branch .LBB93_54
.LBB93_52:
                                        ; implicit-def: $vgpr130
.LBB93_53:
	ds_load_b32 v130, v129
.LBB93_54:
	s_and_saveexec_b32 s5, s1
	s_cbranch_execz .LBB93_64
; %bb.55:
	v_subrev_nc_u32_e32 v128, 26, v0
	v_mov_b32_e32 v126, 25
	v_subrev_nc_u32_e32 v127, 25, v0
	s_mov_b32 s1, exec_lo
	s_delay_alu instid0(VALU_DEP_3)
	v_cmpx_lt_u32_e32 6, v128
	s_cbranch_execz .LBB93_59
; %bb.56:
	s_delay_alu instid0(VALU_DEP_2) | instskip(SKIP_3) | instid1(VALU_DEP_1)
	v_and_b32_e32 v126, -8, v127
	s_mov_b32 s6, 0
	s_mov_b64 s[2:3], 32
	s_movk_i32 s7, 0xe4
	v_sub_nc_u32_e32 v128, 0, v126
.LBB93_57:                              ; =>This Inner Loop Header: Depth=1
	s_add_co_i32 m0, s2, -7
	v_movrels_b32_e32 v131, v34
	v_mov_b32_e32 v126, s7
	s_add_co_i32 m0, s2, -6
	s_add_co_i32 s7, s7, 32
	v_movrels_b32_e32 v140, v34
	ds_load_2addr_b32 v[132:133], v126 offset1:1
	ds_load_2addr_b32 v[134:135], v126 offset0:2 offset1:3
	s_add_co_i32 m0, s2, -5
	s_wait_dscnt 0x1
	v_fmac_f32_e32 v130, v131, v132
	ds_load_2addr_b32 v[136:137], v126 offset0:4 offset1:5
	ds_load_2addr_b32 v[138:139], v126 offset0:6 offset1:7
	v_movrels_b32_e32 v126, v34
	s_add_co_i32 m0, s2, -4
	v_fmac_f32_e32 v130, v140, v133
	v_movrels_b32_e32 v131, v34
	s_add_co_i32 m0, s2, -3
	s_wait_dscnt 0x2
	s_delay_alu instid0(VALU_DEP_2) | instskip(SKIP_2) | instid1(VALU_DEP_2)
	v_fmac_f32_e32 v130, v126, v134
	v_movrels_b32_e32 v126, v34
	s_add_co_i32 m0, s2, -2
	v_fmac_f32_e32 v130, v131, v135
	v_movrels_b32_e32 v131, v34
	s_add_co_i32 m0, s2, -1
	s_wait_dscnt 0x1
	s_delay_alu instid0(VALU_DEP_2)
	v_fmac_f32_e32 v130, v126, v136
	v_movrels_b32_e32 v126, v34
	s_mov_b32 m0, s2
	s_add_nc_u64 s[2:3], s[2:3], 8
	v_movrels_b32_e32 v132, v34
	v_dual_fmac_f32 v130, v131, v137 :: v_dual_add_nc_u32 v131, s2, v128
	s_add_co_i32 s8, s2, -7
	s_wait_dscnt 0x0
	s_delay_alu instid0(VALU_DEP_1) | instskip(NEXT) | instid1(VALU_DEP_2)
	v_fmac_f32_e32 v130, v126, v138
	v_cmp_eq_u32_e32 vcc_lo, 32, v131
	s_delay_alu instid0(VALU_DEP_2) | instskip(SKIP_1) | instid1(SALU_CYCLE_1)
	v_dual_mov_b32 v126, s8 :: v_dual_fmac_f32 v130, v132, v139
	s_or_b32 s6, vcc_lo, s6
	s_and_not1_b32 exec_lo, exec_lo, s6
	s_cbranch_execnz .LBB93_57
; %bb.58:
	s_or_b32 exec_lo, exec_lo, s6
.LBB93_59:
	s_delay_alu instid0(SALU_CYCLE_1) | instskip(SKIP_3) | instid1(VALU_DEP_1)
	s_or_b32 exec_lo, exec_lo, s1
	v_and_b32_e32 v64, 7, v127
	s_mov_b32 s2, 0
	s_mov_b32 s1, exec_lo
	v_cmpx_ne_u32_e32 0, v64
	s_cbranch_execz .LBB93_63
; %bb.60:
	v_lshl_add_u32 v65, v126, 2, 0x80
	v_mov_b32_e32 v127, 0
.LBB93_61:                              ; =>This Inner Loop Header: Depth=1
	v_cmp_eq_u32_e32 vcc_lo, 1, v126
	ds_load_b32 v131, v65
	v_dual_add_nc_u32 v64, -1, v64 :: v_dual_add_nc_u32 v65, 4, v65
	v_cndmask_b32_e32 v128, v34, v35, vcc_lo
	v_cmp_eq_u32_e32 vcc_lo, 2, v126
	s_delay_alu instid0(VALU_DEP_2) | instskip(SKIP_1) | instid1(VALU_DEP_2)
	v_cndmask_b32_e32 v128, v128, v36, vcc_lo
	v_cmp_eq_u32_e32 vcc_lo, 3, v126
	v_cndmask_b32_e32 v128, v128, v37, vcc_lo
	v_cmp_eq_u32_e32 vcc_lo, 4, v126
	s_delay_alu instid0(VALU_DEP_2) | instskip(SKIP_1) | instid1(VALU_DEP_2)
	v_cndmask_b32_e32 v128, v128, v38, vcc_lo
	v_cmp_eq_u32_e32 vcc_lo, 5, v126
	v_cndmask_b32_e32 v128, v128, v39, vcc_lo
	v_cmp_eq_u32_e32 vcc_lo, 6, v126
	s_delay_alu instid0(VALU_DEP_2) | instskip(SKIP_1) | instid1(VALU_DEP_2)
	v_cndmask_b32_e32 v128, v128, v40, vcc_lo
	v_cmp_eq_u32_e32 vcc_lo, 7, v126
	v_cndmask_b32_e32 v128, v128, v41, vcc_lo
	v_cmp_eq_u32_e32 vcc_lo, 8, v126
	s_delay_alu instid0(VALU_DEP_2) | instskip(SKIP_1) | instid1(VALU_DEP_2)
	v_cndmask_b32_e32 v128, v128, v42, vcc_lo
	v_cmp_eq_u32_e32 vcc_lo, 9, v126
	v_cndmask_b32_e32 v128, v128, v43, vcc_lo
	v_cmp_eq_u32_e32 vcc_lo, 10, v126
	s_delay_alu instid0(VALU_DEP_2) | instskip(SKIP_1) | instid1(VALU_DEP_2)
	v_cndmask_b32_e32 v128, v128, v44, vcc_lo
	v_cmp_eq_u32_e32 vcc_lo, 11, v126
	v_cndmask_b32_e32 v128, v128, v45, vcc_lo
	v_cmp_eq_u32_e32 vcc_lo, 12, v126
	s_delay_alu instid0(VALU_DEP_2) | instskip(SKIP_1) | instid1(VALU_DEP_2)
	v_cndmask_b32_e32 v128, v128, v46, vcc_lo
	v_cmp_eq_u32_e32 vcc_lo, 13, v126
	v_cndmask_b32_e32 v128, v128, v47, vcc_lo
	v_cmp_eq_u32_e32 vcc_lo, 14, v126
	s_delay_alu instid0(VALU_DEP_2) | instskip(SKIP_1) | instid1(VALU_DEP_2)
	v_cndmask_b32_e32 v128, v128, v48, vcc_lo
	v_cmp_eq_u32_e32 vcc_lo, 15, v126
	v_cndmask_b32_e32 v128, v128, v49, vcc_lo
	v_cmp_eq_u32_e32 vcc_lo, 16, v126
	s_delay_alu instid0(VALU_DEP_2) | instskip(SKIP_1) | instid1(VALU_DEP_2)
	v_cndmask_b32_e32 v128, v128, v50, vcc_lo
	v_cmp_eq_u32_e32 vcc_lo, 17, v126
	v_cndmask_b32_e32 v128, v128, v51, vcc_lo
	v_cmp_eq_u32_e32 vcc_lo, 18, v126
	s_delay_alu instid0(VALU_DEP_2) | instskip(SKIP_1) | instid1(VALU_DEP_2)
	v_cndmask_b32_e32 v128, v128, v52, vcc_lo
	v_cmp_eq_u32_e32 vcc_lo, 19, v126
	v_cndmask_b32_e32 v128, v128, v53, vcc_lo
	v_cmp_eq_u32_e32 vcc_lo, 20, v126
	s_delay_alu instid0(VALU_DEP_2) | instskip(SKIP_1) | instid1(VALU_DEP_2)
	v_cndmask_b32_e32 v128, v128, v54, vcc_lo
	v_cmp_eq_u32_e32 vcc_lo, 21, v126
	v_cndmask_b32_e32 v128, v128, v55, vcc_lo
	v_cmp_eq_u32_e32 vcc_lo, 22, v126
	s_delay_alu instid0(VALU_DEP_2) | instskip(SKIP_1) | instid1(VALU_DEP_2)
	v_cndmask_b32_e32 v128, v128, v56, vcc_lo
	v_cmp_eq_u32_e32 vcc_lo, 23, v126
	v_cndmask_b32_e32 v128, v128, v57, vcc_lo
	v_cmp_eq_u32_e32 vcc_lo, 24, v126
	s_delay_alu instid0(VALU_DEP_2) | instskip(SKIP_1) | instid1(VALU_DEP_2)
	v_cndmask_b32_e32 v128, v128, v58, vcc_lo
	v_cmp_eq_u32_e32 vcc_lo, 25, v126
	v_cndmask_b32_e32 v128, v128, v59, vcc_lo
	v_cmp_eq_u32_e32 vcc_lo, 26, v126
	s_delay_alu instid0(VALU_DEP_2) | instskip(SKIP_1) | instid1(VALU_DEP_2)
	v_cndmask_b32_e32 v128, v128, v60, vcc_lo
	v_cmp_eq_u32_e32 vcc_lo, 27, v126
	v_cndmask_b32_e32 v128, v128, v61, vcc_lo
	v_cmp_eq_u32_e32 vcc_lo, 28, v126
	s_delay_alu instid0(VALU_DEP_2) | instskip(SKIP_2) | instid1(VALU_DEP_3)
	v_cndmask_b32_e32 v128, v128, v62, vcc_lo
	v_cmp_eq_u32_e32 vcc_lo, 29, v126
	v_add_nc_u64_e32 v[126:127], 1, v[126:127]
	v_cndmask_b32_e32 v128, v128, v63, vcc_lo
	v_cmp_eq_u32_e32 vcc_lo, 0, v64
	s_wait_dscnt 0x0
	s_delay_alu instid0(VALU_DEP_2) | instskip(SKIP_1) | instid1(SALU_CYCLE_1)
	v_fmac_f32_e32 v130, v128, v131
	s_or_b32 s2, vcc_lo, s2
	s_and_not1_b32 exec_lo, exec_lo, s2
	s_cbranch_execnz .LBB93_61
; %bb.62:
	s_or_b32 exec_lo, exec_lo, s2
.LBB93_63:
	s_delay_alu instid0(SALU_CYCLE_1)
	s_or_b32 exec_lo, exec_lo, s1
.LBB93_64:
	s_delay_alu instid0(SALU_CYCLE_1)
	s_or_b32 exec_lo, exec_lo, s5
	v_mov_b32_e32 v58, 0
	ds_load_b32 v58, v58 offset:96
	s_wait_dscnt 0x0
	v_mul_f32_e32 v58, v130, v58
.LBB93_65:
	s_or_b32 exec_lo, exec_lo, s4
	v_cmp_lt_u32_e64 s1, 23, v0
	ds_store_b32 v129, v57
	s_wait_dscnt 0x0
	s_barrier_signal -1
	s_barrier_wait -1
	s_and_saveexec_b32 s4, s1
	s_cbranch_execz .LBB93_81
; %bb.66:
	s_and_not1_b32 vcc_lo, exec_lo, s33
	s_cbranch_vccnz .LBB93_68
; %bb.67:
	v_cmp_eq_u32_e32 vcc_lo, 1, v0
	ds_load_b32 v127, v129
	v_cndmask_b32_e32 v126, v34, v35, vcc_lo
	v_cmp_eq_u32_e32 vcc_lo, 2, v0
	s_delay_alu instid0(VALU_DEP_2) | instskip(SKIP_1) | instid1(VALU_DEP_2)
	v_cndmask_b32_e32 v126, v126, v36, vcc_lo
	v_cmp_eq_u32_e32 vcc_lo, 3, v0
	v_cndmask_b32_e32 v126, v126, v37, vcc_lo
	v_cmp_eq_u32_e32 vcc_lo, 4, v0
	s_delay_alu instid0(VALU_DEP_2) | instskip(SKIP_1) | instid1(VALU_DEP_2)
	v_cndmask_b32_e32 v126, v126, v38, vcc_lo
	v_cmp_eq_u32_e32 vcc_lo, 5, v0
	;; [unrolled: 5-line block ×14, first 2 shown]
	v_cndmask_b32_e32 v126, v126, v63, vcc_lo
	s_wait_dscnt 0x0
	s_delay_alu instid0(VALU_DEP_1)
	v_mul_f32_e32 v130, v126, v127
	s_cbranch_execz .LBB93_69
	s_branch .LBB93_70
.LBB93_68:
                                        ; implicit-def: $vgpr130
.LBB93_69:
	ds_load_b32 v130, v129
.LBB93_70:
	s_and_saveexec_b32 s5, s0
	s_cbranch_execz .LBB93_80
; %bb.71:
	v_subrev_nc_u32_e32 v126, 25, v0
	s_delay_alu instid0(VALU_DEP_1)
	v_cmp_lt_u32_e32 vcc_lo, 6, v126
	v_mov_b32_e32 v126, 24
	s_and_saveexec_b32 s0, vcc_lo
	s_cbranch_execz .LBB93_75
; %bb.72:
	v_and_b32_e32 v126, 24, v0
	s_mov_b32 s6, 0
	s_mov_b64 s[2:3], 31
	s_movk_i32 s7, 0xe0
	s_delay_alu instid0(VALU_DEP_1)
	v_sub_nc_u32_e32 v128, 0, v126
.LBB93_73:                              ; =>This Inner Loop Header: Depth=1
	s_add_co_i32 m0, s2, -7
	v_movrels_b32_e32 v127, v34
	v_mov_b32_e32 v126, s7
	s_add_co_i32 m0, s2, -6
	s_add_co_i32 s7, s7, 32
	v_movrels_b32_e32 v131, v34
	s_add_co_i32 m0, s2, -5
	ds_load_b128 v[132:135], v126
	ds_load_b128 v[136:139], v126 offset:16
	v_movrels_b32_e32 v126, v34
	s_add_co_i32 m0, s2, -4
	s_wait_dscnt 0x1
	v_fmac_f32_e32 v130, v127, v132
	v_movrels_b32_e32 v127, v34
	s_add_co_i32 m0, s2, -3
	s_delay_alu instid0(VALU_DEP_2) | instskip(NEXT) | instid1(VALU_DEP_1)
	v_fmac_f32_e32 v130, v131, v133
	v_fmac_f32_e32 v130, v126, v134
	v_movrels_b32_e32 v126, v34
	s_add_co_i32 m0, s2, -2
	s_delay_alu instid0(VALU_DEP_2) | instskip(SKIP_3) | instid1(VALU_DEP_2)
	v_fmac_f32_e32 v130, v127, v135
	v_movrels_b32_e32 v127, v34
	s_add_co_i32 m0, s2, -1
	s_wait_dscnt 0x0
	v_fmac_f32_e32 v130, v126, v136
	v_movrels_b32_e32 v126, v34
	s_mov_b32 m0, s2
	s_add_nc_u64 s[2:3], s[2:3], 8
	v_movrels_b32_e32 v131, v34
	v_dual_fmac_f32 v130, v127, v137 :: v_dual_add_nc_u32 v127, s2, v128
	s_add_co_i32 s8, s2, -7
	s_delay_alu instid0(VALU_DEP_1) | instskip(NEXT) | instid1(VALU_DEP_2)
	v_fmac_f32_e32 v130, v126, v138
	v_cmp_eq_u32_e32 vcc_lo, 7, v127
	s_delay_alu instid0(VALU_DEP_2) | instskip(SKIP_1) | instid1(SALU_CYCLE_1)
	v_dual_mov_b32 v126, s8 :: v_dual_fmac_f32 v130, v131, v139
	s_or_b32 s6, vcc_lo, s6
	s_and_not1_b32 exec_lo, exec_lo, s6
	s_cbranch_execnz .LBB93_73
; %bb.74:
	s_or_b32 exec_lo, exec_lo, s6
.LBB93_75:
	s_delay_alu instid0(SALU_CYCLE_1) | instskip(SKIP_3) | instid1(VALU_DEP_1)
	s_or_b32 exec_lo, exec_lo, s0
	v_and_b32_e32 v64, 7, v0
	s_mov_b32 s2, 0
	s_mov_b32 s0, exec_lo
	v_cmpx_ne_u32_e32 0, v64
	s_cbranch_execz .LBB93_79
; %bb.76:
	v_lshl_add_u32 v65, v126, 2, 0x80
	v_mov_b32_e32 v127, 0
.LBB93_77:                              ; =>This Inner Loop Header: Depth=1
	v_cmp_eq_u32_e32 vcc_lo, 1, v126
	ds_load_b32 v131, v65
	v_dual_add_nc_u32 v64, -1, v64 :: v_dual_add_nc_u32 v65, 4, v65
	v_cndmask_b32_e32 v128, v34, v35, vcc_lo
	v_cmp_eq_u32_e32 vcc_lo, 2, v126
	s_delay_alu instid0(VALU_DEP_2) | instskip(SKIP_1) | instid1(VALU_DEP_2)
	v_cndmask_b32_e32 v128, v128, v36, vcc_lo
	v_cmp_eq_u32_e32 vcc_lo, 3, v126
	v_cndmask_b32_e32 v128, v128, v37, vcc_lo
	v_cmp_eq_u32_e32 vcc_lo, 4, v126
	s_delay_alu instid0(VALU_DEP_2) | instskip(SKIP_1) | instid1(VALU_DEP_2)
	v_cndmask_b32_e32 v128, v128, v38, vcc_lo
	v_cmp_eq_u32_e32 vcc_lo, 5, v126
	;; [unrolled: 5-line block ×13, first 2 shown]
	v_cndmask_b32_e32 v128, v128, v61, vcc_lo
	v_cmp_eq_u32_e32 vcc_lo, 28, v126
	s_delay_alu instid0(VALU_DEP_2) | instskip(SKIP_2) | instid1(VALU_DEP_3)
	v_cndmask_b32_e32 v128, v128, v62, vcc_lo
	v_cmp_eq_u32_e32 vcc_lo, 29, v126
	v_add_nc_u64_e32 v[126:127], 1, v[126:127]
	v_cndmask_b32_e32 v128, v128, v63, vcc_lo
	v_cmp_eq_u32_e32 vcc_lo, 0, v64
	s_wait_dscnt 0x0
	s_delay_alu instid0(VALU_DEP_2) | instskip(SKIP_1) | instid1(SALU_CYCLE_1)
	v_fmac_f32_e32 v130, v128, v131
	s_or_b32 s2, vcc_lo, s2
	s_and_not1_b32 exec_lo, exec_lo, s2
	s_cbranch_execnz .LBB93_77
; %bb.78:
	s_or_b32 exec_lo, exec_lo, s2
.LBB93_79:
	s_delay_alu instid0(SALU_CYCLE_1)
	s_or_b32 exec_lo, exec_lo, s0
.LBB93_80:
	s_delay_alu instid0(SALU_CYCLE_1)
	s_or_b32 exec_lo, exec_lo, s5
	v_mov_b32_e32 v57, 0
	ds_load_b32 v57, v57 offset:92
	s_wait_dscnt 0x0
	v_mul_f32_e32 v57, v130, v57
.LBB93_81:
	s_or_b32 exec_lo, exec_lo, s4
	v_cmp_lt_u32_e64 s0, 22, v0
	ds_store_b32 v129, v56
	s_wait_dscnt 0x0
	s_barrier_signal -1
	s_barrier_wait -1
	s_and_saveexec_b32 s4, s0
	s_cbranch_execz .LBB93_97
; %bb.82:
	s_and_not1_b32 vcc_lo, exec_lo, s33
	s_cbranch_vccnz .LBB93_84
; %bb.83:
	v_cmp_eq_u32_e32 vcc_lo, 1, v0
	ds_load_b32 v127, v129
	v_cndmask_b32_e32 v126, v34, v35, vcc_lo
	v_cmp_eq_u32_e32 vcc_lo, 2, v0
	s_delay_alu instid0(VALU_DEP_2) | instskip(SKIP_1) | instid1(VALU_DEP_2)
	v_cndmask_b32_e32 v126, v126, v36, vcc_lo
	v_cmp_eq_u32_e32 vcc_lo, 3, v0
	v_cndmask_b32_e32 v126, v126, v37, vcc_lo
	v_cmp_eq_u32_e32 vcc_lo, 4, v0
	s_delay_alu instid0(VALU_DEP_2) | instskip(SKIP_1) | instid1(VALU_DEP_2)
	v_cndmask_b32_e32 v126, v126, v38, vcc_lo
	v_cmp_eq_u32_e32 vcc_lo, 5, v0
	;; [unrolled: 5-line block ×14, first 2 shown]
	v_cndmask_b32_e32 v126, v126, v63, vcc_lo
	s_wait_dscnt 0x0
	s_delay_alu instid0(VALU_DEP_1)
	v_mul_f32_e32 v130, v126, v127
	s_cbranch_execz .LBB93_85
	s_branch .LBB93_86
.LBB93_84:
                                        ; implicit-def: $vgpr130
.LBB93_85:
	ds_load_b32 v130, v129
.LBB93_86:
	s_and_saveexec_b32 s5, s1
	s_cbranch_execz .LBB93_96
; %bb.87:
	v_subrev_nc_u32_e32 v128, 24, v0
	v_mov_b32_e32 v126, 23
	v_subrev_nc_u32_e32 v127, 23, v0
	s_mov_b32 s1, exec_lo
	s_delay_alu instid0(VALU_DEP_3)
	v_cmpx_lt_u32_e32 6, v128
	s_cbranch_execz .LBB93_91
; %bb.88:
	s_delay_alu instid0(VALU_DEP_2) | instskip(SKIP_3) | instid1(VALU_DEP_1)
	v_and_b32_e32 v126, -8, v127
	s_mov_b32 s6, 0
	s_mov_b64 s[2:3], 30
	s_movk_i32 s7, 0xdc
	v_sub_nc_u32_e32 v128, 0, v126
.LBB93_89:                              ; =>This Inner Loop Header: Depth=1
	s_add_co_i32 m0, s2, -7
	v_movrels_b32_e32 v131, v34
	v_mov_b32_e32 v126, s7
	s_add_co_i32 m0, s2, -6
	s_add_co_i32 s7, s7, 32
	v_movrels_b32_e32 v140, v34
	ds_load_2addr_b32 v[132:133], v126 offset1:1
	ds_load_2addr_b32 v[134:135], v126 offset0:2 offset1:3
	s_add_co_i32 m0, s2, -5
	s_wait_dscnt 0x1
	v_fmac_f32_e32 v130, v131, v132
	ds_load_2addr_b32 v[136:137], v126 offset0:4 offset1:5
	ds_load_2addr_b32 v[138:139], v126 offset0:6 offset1:7
	v_movrels_b32_e32 v126, v34
	s_add_co_i32 m0, s2, -4
	v_fmac_f32_e32 v130, v140, v133
	v_movrels_b32_e32 v131, v34
	s_add_co_i32 m0, s2, -3
	s_wait_dscnt 0x2
	s_delay_alu instid0(VALU_DEP_2) | instskip(SKIP_2) | instid1(VALU_DEP_2)
	v_fmac_f32_e32 v130, v126, v134
	v_movrels_b32_e32 v126, v34
	s_add_co_i32 m0, s2, -2
	v_fmac_f32_e32 v130, v131, v135
	v_movrels_b32_e32 v131, v34
	s_add_co_i32 m0, s2, -1
	s_wait_dscnt 0x1
	s_delay_alu instid0(VALU_DEP_2)
	v_fmac_f32_e32 v130, v126, v136
	v_movrels_b32_e32 v126, v34
	s_mov_b32 m0, s2
	s_add_nc_u64 s[2:3], s[2:3], 8
	v_movrels_b32_e32 v132, v34
	v_dual_fmac_f32 v130, v131, v137 :: v_dual_add_nc_u32 v131, s2, v128
	s_add_co_i32 s8, s2, -7
	s_wait_dscnt 0x0
	s_delay_alu instid0(VALU_DEP_1) | instskip(NEXT) | instid1(VALU_DEP_2)
	v_fmac_f32_e32 v130, v126, v138
	v_cmp_eq_u32_e32 vcc_lo, 30, v131
	s_delay_alu instid0(VALU_DEP_2) | instskip(SKIP_1) | instid1(SALU_CYCLE_1)
	v_dual_mov_b32 v126, s8 :: v_dual_fmac_f32 v130, v132, v139
	s_or_b32 s6, vcc_lo, s6
	s_and_not1_b32 exec_lo, exec_lo, s6
	s_cbranch_execnz .LBB93_89
; %bb.90:
	s_or_b32 exec_lo, exec_lo, s6
.LBB93_91:
	s_delay_alu instid0(SALU_CYCLE_1) | instskip(SKIP_3) | instid1(VALU_DEP_1)
	s_or_b32 exec_lo, exec_lo, s1
	v_and_b32_e32 v64, 7, v127
	s_mov_b32 s2, 0
	s_mov_b32 s1, exec_lo
	v_cmpx_ne_u32_e32 0, v64
	s_cbranch_execz .LBB93_95
; %bb.92:
	v_lshl_add_u32 v65, v126, 2, 0x80
	v_mov_b32_e32 v127, 0
.LBB93_93:                              ; =>This Inner Loop Header: Depth=1
	v_cmp_eq_u32_e32 vcc_lo, 1, v126
	ds_load_b32 v131, v65
	v_dual_add_nc_u32 v64, -1, v64 :: v_dual_add_nc_u32 v65, 4, v65
	v_cndmask_b32_e32 v128, v34, v35, vcc_lo
	v_cmp_eq_u32_e32 vcc_lo, 2, v126
	s_delay_alu instid0(VALU_DEP_2) | instskip(SKIP_1) | instid1(VALU_DEP_2)
	v_cndmask_b32_e32 v128, v128, v36, vcc_lo
	v_cmp_eq_u32_e32 vcc_lo, 3, v126
	v_cndmask_b32_e32 v128, v128, v37, vcc_lo
	v_cmp_eq_u32_e32 vcc_lo, 4, v126
	s_delay_alu instid0(VALU_DEP_2) | instskip(SKIP_1) | instid1(VALU_DEP_2)
	v_cndmask_b32_e32 v128, v128, v38, vcc_lo
	v_cmp_eq_u32_e32 vcc_lo, 5, v126
	;; [unrolled: 5-line block ×13, first 2 shown]
	v_cndmask_b32_e32 v128, v128, v61, vcc_lo
	v_cmp_eq_u32_e32 vcc_lo, 28, v126
	s_delay_alu instid0(VALU_DEP_2) | instskip(SKIP_2) | instid1(VALU_DEP_3)
	v_cndmask_b32_e32 v128, v128, v62, vcc_lo
	v_cmp_eq_u32_e32 vcc_lo, 29, v126
	v_add_nc_u64_e32 v[126:127], 1, v[126:127]
	v_cndmask_b32_e32 v128, v128, v63, vcc_lo
	v_cmp_eq_u32_e32 vcc_lo, 0, v64
	s_wait_dscnt 0x0
	s_delay_alu instid0(VALU_DEP_2) | instskip(SKIP_1) | instid1(SALU_CYCLE_1)
	v_fmac_f32_e32 v130, v128, v131
	s_or_b32 s2, vcc_lo, s2
	s_and_not1_b32 exec_lo, exec_lo, s2
	s_cbranch_execnz .LBB93_93
; %bb.94:
	s_or_b32 exec_lo, exec_lo, s2
.LBB93_95:
	s_delay_alu instid0(SALU_CYCLE_1)
	s_or_b32 exec_lo, exec_lo, s1
.LBB93_96:
	s_delay_alu instid0(SALU_CYCLE_1)
	s_or_b32 exec_lo, exec_lo, s5
	v_mov_b32_e32 v56, 0
	ds_load_b32 v56, v56 offset:88
	s_wait_dscnt 0x0
	v_mul_f32_e32 v56, v130, v56
.LBB93_97:
	s_or_b32 exec_lo, exec_lo, s4
	v_cmp_lt_u32_e64 s1, 21, v0
	ds_store_b32 v129, v55
	s_wait_dscnt 0x0
	s_barrier_signal -1
	s_barrier_wait -1
	s_and_saveexec_b32 s4, s1
	s_cbranch_execz .LBB93_113
; %bb.98:
	s_and_not1_b32 vcc_lo, exec_lo, s33
	s_cbranch_vccnz .LBB93_100
; %bb.99:
	v_cmp_eq_u32_e32 vcc_lo, 1, v0
	ds_load_b32 v127, v129
	v_cndmask_b32_e32 v126, v34, v35, vcc_lo
	v_cmp_eq_u32_e32 vcc_lo, 2, v0
	s_delay_alu instid0(VALU_DEP_2) | instskip(SKIP_1) | instid1(VALU_DEP_2)
	v_cndmask_b32_e32 v126, v126, v36, vcc_lo
	v_cmp_eq_u32_e32 vcc_lo, 3, v0
	v_cndmask_b32_e32 v126, v126, v37, vcc_lo
	v_cmp_eq_u32_e32 vcc_lo, 4, v0
	s_delay_alu instid0(VALU_DEP_2) | instskip(SKIP_1) | instid1(VALU_DEP_2)
	v_cndmask_b32_e32 v126, v126, v38, vcc_lo
	v_cmp_eq_u32_e32 vcc_lo, 5, v0
	v_cndmask_b32_e32 v126, v126, v39, vcc_lo
	v_cmp_eq_u32_e32 vcc_lo, 6, v0
	s_delay_alu instid0(VALU_DEP_2) | instskip(SKIP_1) | instid1(VALU_DEP_2)
	v_cndmask_b32_e32 v126, v126, v40, vcc_lo
	v_cmp_eq_u32_e32 vcc_lo, 7, v0
	v_cndmask_b32_e32 v126, v126, v41, vcc_lo
	v_cmp_eq_u32_e32 vcc_lo, 8, v0
	s_delay_alu instid0(VALU_DEP_2) | instskip(SKIP_1) | instid1(VALU_DEP_2)
	v_cndmask_b32_e32 v126, v126, v42, vcc_lo
	v_cmp_eq_u32_e32 vcc_lo, 9, v0
	v_cndmask_b32_e32 v126, v126, v43, vcc_lo
	v_cmp_eq_u32_e32 vcc_lo, 10, v0
	s_delay_alu instid0(VALU_DEP_2) | instskip(SKIP_1) | instid1(VALU_DEP_2)
	v_cndmask_b32_e32 v126, v126, v44, vcc_lo
	v_cmp_eq_u32_e32 vcc_lo, 11, v0
	v_cndmask_b32_e32 v126, v126, v45, vcc_lo
	v_cmp_eq_u32_e32 vcc_lo, 12, v0
	s_delay_alu instid0(VALU_DEP_2) | instskip(SKIP_1) | instid1(VALU_DEP_2)
	v_cndmask_b32_e32 v126, v126, v46, vcc_lo
	v_cmp_eq_u32_e32 vcc_lo, 13, v0
	v_cndmask_b32_e32 v126, v126, v47, vcc_lo
	v_cmp_eq_u32_e32 vcc_lo, 14, v0
	s_delay_alu instid0(VALU_DEP_2) | instskip(SKIP_1) | instid1(VALU_DEP_2)
	v_cndmask_b32_e32 v126, v126, v48, vcc_lo
	v_cmp_eq_u32_e32 vcc_lo, 15, v0
	v_cndmask_b32_e32 v126, v126, v49, vcc_lo
	v_cmp_eq_u32_e32 vcc_lo, 16, v0
	s_delay_alu instid0(VALU_DEP_2) | instskip(SKIP_1) | instid1(VALU_DEP_2)
	v_cndmask_b32_e32 v126, v126, v50, vcc_lo
	v_cmp_eq_u32_e32 vcc_lo, 17, v0
	v_cndmask_b32_e32 v126, v126, v51, vcc_lo
	v_cmp_eq_u32_e32 vcc_lo, 18, v0
	s_delay_alu instid0(VALU_DEP_2) | instskip(SKIP_1) | instid1(VALU_DEP_2)
	v_cndmask_b32_e32 v126, v126, v52, vcc_lo
	v_cmp_eq_u32_e32 vcc_lo, 19, v0
	v_cndmask_b32_e32 v126, v126, v53, vcc_lo
	v_cmp_eq_u32_e32 vcc_lo, 20, v0
	s_delay_alu instid0(VALU_DEP_2) | instskip(SKIP_1) | instid1(VALU_DEP_2)
	v_cndmask_b32_e32 v126, v126, v54, vcc_lo
	v_cmp_eq_u32_e32 vcc_lo, 21, v0
	v_cndmask_b32_e32 v126, v126, v55, vcc_lo
	v_cmp_eq_u32_e32 vcc_lo, 22, v0
	s_delay_alu instid0(VALU_DEP_2) | instskip(SKIP_1) | instid1(VALU_DEP_2)
	v_cndmask_b32_e32 v126, v126, v56, vcc_lo
	v_cmp_eq_u32_e32 vcc_lo, 23, v0
	v_cndmask_b32_e32 v126, v126, v57, vcc_lo
	v_cmp_eq_u32_e32 vcc_lo, 24, v0
	s_delay_alu instid0(VALU_DEP_2) | instskip(SKIP_1) | instid1(VALU_DEP_2)
	v_cndmask_b32_e32 v126, v126, v58, vcc_lo
	v_cmp_eq_u32_e32 vcc_lo, 25, v0
	v_cndmask_b32_e32 v126, v126, v59, vcc_lo
	v_cmp_eq_u32_e32 vcc_lo, 26, v0
	s_delay_alu instid0(VALU_DEP_2) | instskip(SKIP_1) | instid1(VALU_DEP_2)
	v_cndmask_b32_e32 v126, v126, v60, vcc_lo
	v_cmp_eq_u32_e32 vcc_lo, 27, v0
	v_cndmask_b32_e32 v126, v126, v61, vcc_lo
	v_cmp_eq_u32_e32 vcc_lo, 28, v0
	s_delay_alu instid0(VALU_DEP_2) | instskip(SKIP_1) | instid1(VALU_DEP_2)
	v_cndmask_b32_e32 v126, v126, v62, vcc_lo
	v_cmp_eq_u32_e32 vcc_lo, 29, v0
	v_cndmask_b32_e32 v126, v126, v63, vcc_lo
	s_wait_dscnt 0x0
	s_delay_alu instid0(VALU_DEP_1)
	v_mul_f32_e32 v130, v126, v127
	s_cbranch_execz .LBB93_101
	s_branch .LBB93_102
.LBB93_100:
                                        ; implicit-def: $vgpr130
.LBB93_101:
	ds_load_b32 v130, v129
.LBB93_102:
	s_and_saveexec_b32 s5, s0
	s_cbranch_execz .LBB93_112
; %bb.103:
	v_subrev_nc_u32_e32 v128, 23, v0
	v_mov_b32_e32 v126, 22
	v_subrev_nc_u32_e32 v127, 22, v0
	s_mov_b32 s0, exec_lo
	s_delay_alu instid0(VALU_DEP_3)
	v_cmpx_lt_u32_e32 6, v128
	s_cbranch_execz .LBB93_107
; %bb.104:
	s_delay_alu instid0(VALU_DEP_2) | instskip(SKIP_3) | instid1(VALU_DEP_1)
	v_and_b32_e32 v126, -8, v127
	s_mov_b32 s6, 0
	s_mov_b64 s[2:3], 29
	s_movk_i32 s7, 0xd8
	v_sub_nc_u32_e32 v128, 0, v126
.LBB93_105:                             ; =>This Inner Loop Header: Depth=1
	s_add_co_i32 m0, s2, -7
	v_movrels_b32_e32 v131, v34
	v_mov_b32_e32 v126, s7
	s_add_co_i32 m0, s2, -6
	s_add_co_i32 s7, s7, 32
	v_movrels_b32_e32 v140, v34
	s_add_co_i32 m0, s2, -5
	ds_load_2addr_b64 v[132:135], v126 offset1:1
	ds_load_2addr_b64 v[136:139], v126 offset0:2 offset1:3
	v_movrels_b32_e32 v126, v34
	s_add_co_i32 m0, s2, -4
	s_wait_dscnt 0x1
	v_fmac_f32_e32 v130, v131, v132
	v_movrels_b32_e32 v131, v34
	s_add_co_i32 m0, s2, -3
	s_delay_alu instid0(VALU_DEP_2) | instskip(NEXT) | instid1(VALU_DEP_1)
	v_fmac_f32_e32 v130, v140, v133
	v_fmac_f32_e32 v130, v126, v134
	v_movrels_b32_e32 v126, v34
	s_add_co_i32 m0, s2, -2
	s_delay_alu instid0(VALU_DEP_2) | instskip(SKIP_3) | instid1(VALU_DEP_2)
	v_fmac_f32_e32 v130, v131, v135
	v_movrels_b32_e32 v131, v34
	s_add_co_i32 m0, s2, -1
	s_wait_dscnt 0x0
	v_fmac_f32_e32 v130, v126, v136
	v_movrels_b32_e32 v126, v34
	s_mov_b32 m0, s2
	s_add_nc_u64 s[2:3], s[2:3], 8
	v_movrels_b32_e32 v132, v34
	v_dual_fmac_f32 v130, v131, v137 :: v_dual_add_nc_u32 v131, s2, v128
	s_add_co_i32 s8, s2, -7
	s_delay_alu instid0(VALU_DEP_1) | instskip(NEXT) | instid1(VALU_DEP_2)
	v_fmac_f32_e32 v130, v126, v138
	v_cmp_eq_u32_e32 vcc_lo, 29, v131
	s_delay_alu instid0(VALU_DEP_2) | instskip(SKIP_1) | instid1(SALU_CYCLE_1)
	v_dual_mov_b32 v126, s8 :: v_dual_fmac_f32 v130, v132, v139
	s_or_b32 s6, vcc_lo, s6
	s_and_not1_b32 exec_lo, exec_lo, s6
	s_cbranch_execnz .LBB93_105
; %bb.106:
	s_or_b32 exec_lo, exec_lo, s6
.LBB93_107:
	s_delay_alu instid0(SALU_CYCLE_1) | instskip(SKIP_3) | instid1(VALU_DEP_1)
	s_or_b32 exec_lo, exec_lo, s0
	v_and_b32_e32 v64, 7, v127
	s_mov_b32 s2, 0
	s_mov_b32 s0, exec_lo
	v_cmpx_ne_u32_e32 0, v64
	s_cbranch_execz .LBB93_111
; %bb.108:
	v_lshl_add_u32 v65, v126, 2, 0x80
	v_mov_b32_e32 v127, 0
.LBB93_109:                             ; =>This Inner Loop Header: Depth=1
	v_cmp_eq_u32_e32 vcc_lo, 1, v126
	ds_load_b32 v131, v65
	v_dual_add_nc_u32 v64, -1, v64 :: v_dual_add_nc_u32 v65, 4, v65
	v_cndmask_b32_e32 v128, v34, v35, vcc_lo
	v_cmp_eq_u32_e32 vcc_lo, 2, v126
	s_delay_alu instid0(VALU_DEP_2) | instskip(SKIP_1) | instid1(VALU_DEP_2)
	v_cndmask_b32_e32 v128, v128, v36, vcc_lo
	v_cmp_eq_u32_e32 vcc_lo, 3, v126
	v_cndmask_b32_e32 v128, v128, v37, vcc_lo
	v_cmp_eq_u32_e32 vcc_lo, 4, v126
	s_delay_alu instid0(VALU_DEP_2) | instskip(SKIP_1) | instid1(VALU_DEP_2)
	v_cndmask_b32_e32 v128, v128, v38, vcc_lo
	v_cmp_eq_u32_e32 vcc_lo, 5, v126
	;; [unrolled: 5-line block ×13, first 2 shown]
	v_cndmask_b32_e32 v128, v128, v61, vcc_lo
	v_cmp_eq_u32_e32 vcc_lo, 28, v126
	s_delay_alu instid0(VALU_DEP_2) | instskip(SKIP_2) | instid1(VALU_DEP_3)
	v_cndmask_b32_e32 v128, v128, v62, vcc_lo
	v_cmp_eq_u32_e32 vcc_lo, 29, v126
	v_add_nc_u64_e32 v[126:127], 1, v[126:127]
	v_cndmask_b32_e32 v128, v128, v63, vcc_lo
	v_cmp_eq_u32_e32 vcc_lo, 0, v64
	s_wait_dscnt 0x0
	s_delay_alu instid0(VALU_DEP_2) | instskip(SKIP_1) | instid1(SALU_CYCLE_1)
	v_fmac_f32_e32 v130, v128, v131
	s_or_b32 s2, vcc_lo, s2
	s_and_not1_b32 exec_lo, exec_lo, s2
	s_cbranch_execnz .LBB93_109
; %bb.110:
	s_or_b32 exec_lo, exec_lo, s2
.LBB93_111:
	s_delay_alu instid0(SALU_CYCLE_1)
	s_or_b32 exec_lo, exec_lo, s0
.LBB93_112:
	s_delay_alu instid0(SALU_CYCLE_1)
	s_or_b32 exec_lo, exec_lo, s5
	v_mov_b32_e32 v55, 0
	ds_load_b32 v55, v55 offset:84
	s_wait_dscnt 0x0
	v_mul_f32_e32 v55, v130, v55
.LBB93_113:
	s_or_b32 exec_lo, exec_lo, s4
	v_cmp_lt_u32_e64 s0, 20, v0
	ds_store_b32 v129, v54
	s_wait_dscnt 0x0
	s_barrier_signal -1
	s_barrier_wait -1
	s_and_saveexec_b32 s4, s0
	s_cbranch_execz .LBB93_129
; %bb.114:
	s_and_not1_b32 vcc_lo, exec_lo, s33
	s_cbranch_vccnz .LBB93_116
; %bb.115:
	v_cmp_eq_u32_e32 vcc_lo, 1, v0
	ds_load_b32 v127, v129
	v_cndmask_b32_e32 v126, v34, v35, vcc_lo
	v_cmp_eq_u32_e32 vcc_lo, 2, v0
	s_delay_alu instid0(VALU_DEP_2) | instskip(SKIP_1) | instid1(VALU_DEP_2)
	v_cndmask_b32_e32 v126, v126, v36, vcc_lo
	v_cmp_eq_u32_e32 vcc_lo, 3, v0
	v_cndmask_b32_e32 v126, v126, v37, vcc_lo
	v_cmp_eq_u32_e32 vcc_lo, 4, v0
	s_delay_alu instid0(VALU_DEP_2) | instskip(SKIP_1) | instid1(VALU_DEP_2)
	v_cndmask_b32_e32 v126, v126, v38, vcc_lo
	v_cmp_eq_u32_e32 vcc_lo, 5, v0
	;; [unrolled: 5-line block ×14, first 2 shown]
	v_cndmask_b32_e32 v126, v126, v63, vcc_lo
	s_wait_dscnt 0x0
	s_delay_alu instid0(VALU_DEP_1)
	v_mul_f32_e32 v130, v126, v127
	s_cbranch_execz .LBB93_117
	s_branch .LBB93_118
.LBB93_116:
                                        ; implicit-def: $vgpr130
.LBB93_117:
	ds_load_b32 v130, v129
.LBB93_118:
	s_and_saveexec_b32 s5, s1
	s_cbranch_execz .LBB93_128
; %bb.119:
	v_subrev_nc_u32_e32 v128, 22, v0
	v_mov_b32_e32 v126, 21
	v_subrev_nc_u32_e32 v127, 21, v0
	s_mov_b32 s1, exec_lo
	s_delay_alu instid0(VALU_DEP_3)
	v_cmpx_lt_u32_e32 6, v128
	s_cbranch_execz .LBB93_123
; %bb.120:
	s_delay_alu instid0(VALU_DEP_2) | instskip(SKIP_3) | instid1(VALU_DEP_1)
	v_and_b32_e32 v126, -8, v127
	s_mov_b32 s6, 0
	s_mov_b64 s[2:3], 28
	s_movk_i32 s7, 0xd4
	v_sub_nc_u32_e32 v128, 0, v126
.LBB93_121:                             ; =>This Inner Loop Header: Depth=1
	s_add_co_i32 m0, s2, -7
	v_movrels_b32_e32 v131, v34
	v_mov_b32_e32 v126, s7
	s_add_co_i32 m0, s2, -6
	s_add_co_i32 s7, s7, 32
	v_movrels_b32_e32 v140, v34
	ds_load_2addr_b32 v[132:133], v126 offset1:1
	ds_load_2addr_b32 v[134:135], v126 offset0:2 offset1:3
	s_add_co_i32 m0, s2, -5
	s_wait_dscnt 0x1
	v_fmac_f32_e32 v130, v131, v132
	ds_load_2addr_b32 v[136:137], v126 offset0:4 offset1:5
	ds_load_2addr_b32 v[138:139], v126 offset0:6 offset1:7
	v_movrels_b32_e32 v126, v34
	s_add_co_i32 m0, s2, -4
	v_fmac_f32_e32 v130, v140, v133
	v_movrels_b32_e32 v131, v34
	s_add_co_i32 m0, s2, -3
	s_wait_dscnt 0x2
	s_delay_alu instid0(VALU_DEP_2) | instskip(SKIP_2) | instid1(VALU_DEP_2)
	v_fmac_f32_e32 v130, v126, v134
	v_movrels_b32_e32 v126, v34
	s_add_co_i32 m0, s2, -2
	v_fmac_f32_e32 v130, v131, v135
	v_movrels_b32_e32 v131, v34
	s_add_co_i32 m0, s2, -1
	s_wait_dscnt 0x1
	s_delay_alu instid0(VALU_DEP_2)
	v_fmac_f32_e32 v130, v126, v136
	v_movrels_b32_e32 v126, v34
	s_mov_b32 m0, s2
	s_add_nc_u64 s[2:3], s[2:3], 8
	v_movrels_b32_e32 v132, v34
	v_dual_fmac_f32 v130, v131, v137 :: v_dual_add_nc_u32 v131, s2, v128
	s_add_co_i32 s8, s2, -7
	s_wait_dscnt 0x0
	s_delay_alu instid0(VALU_DEP_1) | instskip(NEXT) | instid1(VALU_DEP_2)
	v_fmac_f32_e32 v130, v126, v138
	v_cmp_eq_u32_e32 vcc_lo, 28, v131
	s_delay_alu instid0(VALU_DEP_2) | instskip(SKIP_1) | instid1(SALU_CYCLE_1)
	v_dual_mov_b32 v126, s8 :: v_dual_fmac_f32 v130, v132, v139
	s_or_b32 s6, vcc_lo, s6
	s_and_not1_b32 exec_lo, exec_lo, s6
	s_cbranch_execnz .LBB93_121
; %bb.122:
	s_or_b32 exec_lo, exec_lo, s6
.LBB93_123:
	s_delay_alu instid0(SALU_CYCLE_1) | instskip(SKIP_3) | instid1(VALU_DEP_1)
	s_or_b32 exec_lo, exec_lo, s1
	v_and_b32_e32 v64, 7, v127
	s_mov_b32 s2, 0
	s_mov_b32 s1, exec_lo
	v_cmpx_ne_u32_e32 0, v64
	s_cbranch_execz .LBB93_127
; %bb.124:
	v_lshl_add_u32 v65, v126, 2, 0x80
	v_mov_b32_e32 v127, 0
.LBB93_125:                             ; =>This Inner Loop Header: Depth=1
	v_cmp_eq_u32_e32 vcc_lo, 1, v126
	ds_load_b32 v131, v65
	v_dual_add_nc_u32 v64, -1, v64 :: v_dual_add_nc_u32 v65, 4, v65
	v_cndmask_b32_e32 v128, v34, v35, vcc_lo
	v_cmp_eq_u32_e32 vcc_lo, 2, v126
	s_delay_alu instid0(VALU_DEP_2) | instskip(SKIP_1) | instid1(VALU_DEP_2)
	v_cndmask_b32_e32 v128, v128, v36, vcc_lo
	v_cmp_eq_u32_e32 vcc_lo, 3, v126
	v_cndmask_b32_e32 v128, v128, v37, vcc_lo
	v_cmp_eq_u32_e32 vcc_lo, 4, v126
	s_delay_alu instid0(VALU_DEP_2) | instskip(SKIP_1) | instid1(VALU_DEP_2)
	v_cndmask_b32_e32 v128, v128, v38, vcc_lo
	v_cmp_eq_u32_e32 vcc_lo, 5, v126
	;; [unrolled: 5-line block ×13, first 2 shown]
	v_cndmask_b32_e32 v128, v128, v61, vcc_lo
	v_cmp_eq_u32_e32 vcc_lo, 28, v126
	s_delay_alu instid0(VALU_DEP_2) | instskip(SKIP_2) | instid1(VALU_DEP_3)
	v_cndmask_b32_e32 v128, v128, v62, vcc_lo
	v_cmp_eq_u32_e32 vcc_lo, 29, v126
	v_add_nc_u64_e32 v[126:127], 1, v[126:127]
	v_cndmask_b32_e32 v128, v128, v63, vcc_lo
	v_cmp_eq_u32_e32 vcc_lo, 0, v64
	s_wait_dscnt 0x0
	s_delay_alu instid0(VALU_DEP_2) | instskip(SKIP_1) | instid1(SALU_CYCLE_1)
	v_fmac_f32_e32 v130, v128, v131
	s_or_b32 s2, vcc_lo, s2
	s_and_not1_b32 exec_lo, exec_lo, s2
	s_cbranch_execnz .LBB93_125
; %bb.126:
	s_or_b32 exec_lo, exec_lo, s2
.LBB93_127:
	s_delay_alu instid0(SALU_CYCLE_1)
	s_or_b32 exec_lo, exec_lo, s1
.LBB93_128:
	s_delay_alu instid0(SALU_CYCLE_1)
	s_or_b32 exec_lo, exec_lo, s5
	v_mov_b32_e32 v54, 0
	ds_load_b32 v54, v54 offset:80
	s_wait_dscnt 0x0
	v_mul_f32_e32 v54, v130, v54
.LBB93_129:
	s_or_b32 exec_lo, exec_lo, s4
	v_cmp_lt_u32_e64 s1, 19, v0
	ds_store_b32 v129, v53
	s_wait_dscnt 0x0
	s_barrier_signal -1
	s_barrier_wait -1
	s_and_saveexec_b32 s4, s1
	s_cbranch_execz .LBB93_145
; %bb.130:
	s_and_not1_b32 vcc_lo, exec_lo, s33
	s_cbranch_vccnz .LBB93_132
; %bb.131:
	v_cmp_eq_u32_e32 vcc_lo, 1, v0
	ds_load_b32 v127, v129
	v_cndmask_b32_e32 v126, v34, v35, vcc_lo
	v_cmp_eq_u32_e32 vcc_lo, 2, v0
	s_delay_alu instid0(VALU_DEP_2) | instskip(SKIP_1) | instid1(VALU_DEP_2)
	v_cndmask_b32_e32 v126, v126, v36, vcc_lo
	v_cmp_eq_u32_e32 vcc_lo, 3, v0
	v_cndmask_b32_e32 v126, v126, v37, vcc_lo
	v_cmp_eq_u32_e32 vcc_lo, 4, v0
	s_delay_alu instid0(VALU_DEP_2) | instskip(SKIP_1) | instid1(VALU_DEP_2)
	v_cndmask_b32_e32 v126, v126, v38, vcc_lo
	v_cmp_eq_u32_e32 vcc_lo, 5, v0
	;; [unrolled: 5-line block ×14, first 2 shown]
	v_cndmask_b32_e32 v126, v126, v63, vcc_lo
	s_wait_dscnt 0x0
	s_delay_alu instid0(VALU_DEP_1)
	v_mul_f32_e32 v130, v126, v127
	s_cbranch_execz .LBB93_133
	s_branch .LBB93_134
.LBB93_132:
                                        ; implicit-def: $vgpr130
.LBB93_133:
	ds_load_b32 v130, v129
.LBB93_134:
	s_and_saveexec_b32 s5, s0
	s_cbranch_execz .LBB93_144
; %bb.135:
	v_subrev_nc_u32_e32 v128, 21, v0
	v_mov_b32_e32 v126, 20
	v_subrev_nc_u32_e32 v127, 20, v0
	s_mov_b32 s0, exec_lo
	s_delay_alu instid0(VALU_DEP_3)
	v_cmpx_lt_u32_e32 6, v128
	s_cbranch_execz .LBB93_139
; %bb.136:
	s_delay_alu instid0(VALU_DEP_2) | instskip(SKIP_3) | instid1(VALU_DEP_1)
	v_and_b32_e32 v126, -8, v127
	s_mov_b32 s6, 0
	s_mov_b64 s[2:3], 27
	s_movk_i32 s7, 0xd0
	v_sub_nc_u32_e32 v128, 0, v126
.LBB93_137:                             ; =>This Inner Loop Header: Depth=1
	s_add_co_i32 m0, s2, -7
	v_movrels_b32_e32 v131, v34
	v_mov_b32_e32 v126, s7
	s_add_co_i32 m0, s2, -6
	s_add_co_i32 s7, s7, 32
	v_movrels_b32_e32 v140, v34
	s_add_co_i32 m0, s2, -5
	ds_load_b128 v[132:135], v126
	ds_load_b128 v[136:139], v126 offset:16
	v_movrels_b32_e32 v126, v34
	s_add_co_i32 m0, s2, -4
	s_wait_dscnt 0x1
	v_fmac_f32_e32 v130, v131, v132
	v_movrels_b32_e32 v131, v34
	s_add_co_i32 m0, s2, -3
	s_delay_alu instid0(VALU_DEP_2) | instskip(NEXT) | instid1(VALU_DEP_1)
	v_fmac_f32_e32 v130, v140, v133
	v_fmac_f32_e32 v130, v126, v134
	v_movrels_b32_e32 v126, v34
	s_add_co_i32 m0, s2, -2
	s_delay_alu instid0(VALU_DEP_2) | instskip(SKIP_3) | instid1(VALU_DEP_2)
	v_fmac_f32_e32 v130, v131, v135
	v_movrels_b32_e32 v131, v34
	s_add_co_i32 m0, s2, -1
	s_wait_dscnt 0x0
	v_fmac_f32_e32 v130, v126, v136
	v_movrels_b32_e32 v126, v34
	s_mov_b32 m0, s2
	s_add_nc_u64 s[2:3], s[2:3], 8
	v_movrels_b32_e32 v132, v34
	v_dual_fmac_f32 v130, v131, v137 :: v_dual_add_nc_u32 v131, s2, v128
	s_add_co_i32 s8, s2, -7
	s_delay_alu instid0(VALU_DEP_1) | instskip(NEXT) | instid1(VALU_DEP_2)
	v_fmac_f32_e32 v130, v126, v138
	v_cmp_eq_u32_e32 vcc_lo, 27, v131
	s_delay_alu instid0(VALU_DEP_2) | instskip(SKIP_1) | instid1(SALU_CYCLE_1)
	v_dual_mov_b32 v126, s8 :: v_dual_fmac_f32 v130, v132, v139
	s_or_b32 s6, vcc_lo, s6
	s_and_not1_b32 exec_lo, exec_lo, s6
	s_cbranch_execnz .LBB93_137
; %bb.138:
	s_or_b32 exec_lo, exec_lo, s6
.LBB93_139:
	s_delay_alu instid0(SALU_CYCLE_1) | instskip(SKIP_3) | instid1(VALU_DEP_1)
	s_or_b32 exec_lo, exec_lo, s0
	v_and_b32_e32 v64, 7, v127
	s_mov_b32 s2, 0
	s_mov_b32 s0, exec_lo
	v_cmpx_ne_u32_e32 0, v64
	s_cbranch_execz .LBB93_143
; %bb.140:
	v_lshl_add_u32 v65, v126, 2, 0x80
	v_mov_b32_e32 v127, 0
.LBB93_141:                             ; =>This Inner Loop Header: Depth=1
	v_cmp_eq_u32_e32 vcc_lo, 1, v126
	ds_load_b32 v131, v65
	v_dual_add_nc_u32 v64, -1, v64 :: v_dual_add_nc_u32 v65, 4, v65
	v_cndmask_b32_e32 v128, v34, v35, vcc_lo
	v_cmp_eq_u32_e32 vcc_lo, 2, v126
	s_delay_alu instid0(VALU_DEP_2) | instskip(SKIP_1) | instid1(VALU_DEP_2)
	v_cndmask_b32_e32 v128, v128, v36, vcc_lo
	v_cmp_eq_u32_e32 vcc_lo, 3, v126
	v_cndmask_b32_e32 v128, v128, v37, vcc_lo
	v_cmp_eq_u32_e32 vcc_lo, 4, v126
	s_delay_alu instid0(VALU_DEP_2) | instskip(SKIP_1) | instid1(VALU_DEP_2)
	v_cndmask_b32_e32 v128, v128, v38, vcc_lo
	v_cmp_eq_u32_e32 vcc_lo, 5, v126
	;; [unrolled: 5-line block ×13, first 2 shown]
	v_cndmask_b32_e32 v128, v128, v61, vcc_lo
	v_cmp_eq_u32_e32 vcc_lo, 28, v126
	s_delay_alu instid0(VALU_DEP_2) | instskip(SKIP_2) | instid1(VALU_DEP_3)
	v_cndmask_b32_e32 v128, v128, v62, vcc_lo
	v_cmp_eq_u32_e32 vcc_lo, 29, v126
	v_add_nc_u64_e32 v[126:127], 1, v[126:127]
	v_cndmask_b32_e32 v128, v128, v63, vcc_lo
	v_cmp_eq_u32_e32 vcc_lo, 0, v64
	s_wait_dscnt 0x0
	s_delay_alu instid0(VALU_DEP_2) | instskip(SKIP_1) | instid1(SALU_CYCLE_1)
	v_fmac_f32_e32 v130, v128, v131
	s_or_b32 s2, vcc_lo, s2
	s_and_not1_b32 exec_lo, exec_lo, s2
	s_cbranch_execnz .LBB93_141
; %bb.142:
	s_or_b32 exec_lo, exec_lo, s2
.LBB93_143:
	s_delay_alu instid0(SALU_CYCLE_1)
	s_or_b32 exec_lo, exec_lo, s0
.LBB93_144:
	s_delay_alu instid0(SALU_CYCLE_1)
	s_or_b32 exec_lo, exec_lo, s5
	v_mov_b32_e32 v53, 0
	ds_load_b32 v53, v53 offset:76
	s_wait_dscnt 0x0
	v_mul_f32_e32 v53, v130, v53
.LBB93_145:
	s_or_b32 exec_lo, exec_lo, s4
	v_cmp_lt_u32_e64 s0, 18, v0
	ds_store_b32 v129, v52
	s_wait_dscnt 0x0
	s_barrier_signal -1
	s_barrier_wait -1
	s_and_saveexec_b32 s4, s0
	s_cbranch_execz .LBB93_161
; %bb.146:
	s_and_not1_b32 vcc_lo, exec_lo, s33
	s_cbranch_vccnz .LBB93_148
; %bb.147:
	v_cmp_eq_u32_e32 vcc_lo, 1, v0
	ds_load_b32 v127, v129
	v_cndmask_b32_e32 v126, v34, v35, vcc_lo
	v_cmp_eq_u32_e32 vcc_lo, 2, v0
	s_delay_alu instid0(VALU_DEP_2) | instskip(SKIP_1) | instid1(VALU_DEP_2)
	v_cndmask_b32_e32 v126, v126, v36, vcc_lo
	v_cmp_eq_u32_e32 vcc_lo, 3, v0
	v_cndmask_b32_e32 v126, v126, v37, vcc_lo
	v_cmp_eq_u32_e32 vcc_lo, 4, v0
	s_delay_alu instid0(VALU_DEP_2) | instskip(SKIP_1) | instid1(VALU_DEP_2)
	v_cndmask_b32_e32 v126, v126, v38, vcc_lo
	v_cmp_eq_u32_e32 vcc_lo, 5, v0
	;; [unrolled: 5-line block ×14, first 2 shown]
	v_cndmask_b32_e32 v126, v126, v63, vcc_lo
	s_wait_dscnt 0x0
	s_delay_alu instid0(VALU_DEP_1)
	v_mul_f32_e32 v130, v126, v127
	s_cbranch_execz .LBB93_149
	s_branch .LBB93_150
.LBB93_148:
                                        ; implicit-def: $vgpr130
.LBB93_149:
	ds_load_b32 v130, v129
.LBB93_150:
	s_and_saveexec_b32 s5, s1
	s_cbranch_execz .LBB93_160
; %bb.151:
	v_subrev_nc_u32_e32 v128, 20, v0
	v_mov_b32_e32 v126, 19
	v_subrev_nc_u32_e32 v127, 19, v0
	s_mov_b32 s1, exec_lo
	s_delay_alu instid0(VALU_DEP_3)
	v_cmpx_lt_u32_e32 6, v128
	s_cbranch_execz .LBB93_155
; %bb.152:
	s_delay_alu instid0(VALU_DEP_2) | instskip(SKIP_3) | instid1(VALU_DEP_1)
	v_and_b32_e32 v126, -8, v127
	s_mov_b32 s6, 0
	s_mov_b64 s[2:3], 26
	s_movk_i32 s7, 0xcc
	v_sub_nc_u32_e32 v128, 0, v126
.LBB93_153:                             ; =>This Inner Loop Header: Depth=1
	s_add_co_i32 m0, s2, -7
	v_movrels_b32_e32 v131, v34
	v_mov_b32_e32 v126, s7
	s_add_co_i32 m0, s2, -6
	s_add_co_i32 s7, s7, 32
	v_movrels_b32_e32 v140, v34
	ds_load_2addr_b32 v[132:133], v126 offset1:1
	ds_load_2addr_b32 v[134:135], v126 offset0:2 offset1:3
	s_add_co_i32 m0, s2, -5
	s_wait_dscnt 0x1
	v_fmac_f32_e32 v130, v131, v132
	ds_load_2addr_b32 v[136:137], v126 offset0:4 offset1:5
	ds_load_2addr_b32 v[138:139], v126 offset0:6 offset1:7
	v_movrels_b32_e32 v126, v34
	s_add_co_i32 m0, s2, -4
	v_fmac_f32_e32 v130, v140, v133
	v_movrels_b32_e32 v131, v34
	s_add_co_i32 m0, s2, -3
	s_wait_dscnt 0x2
	s_delay_alu instid0(VALU_DEP_2) | instskip(SKIP_2) | instid1(VALU_DEP_2)
	v_fmac_f32_e32 v130, v126, v134
	v_movrels_b32_e32 v126, v34
	s_add_co_i32 m0, s2, -2
	v_fmac_f32_e32 v130, v131, v135
	v_movrels_b32_e32 v131, v34
	s_add_co_i32 m0, s2, -1
	s_wait_dscnt 0x1
	s_delay_alu instid0(VALU_DEP_2)
	v_fmac_f32_e32 v130, v126, v136
	v_movrels_b32_e32 v126, v34
	s_mov_b32 m0, s2
	s_add_nc_u64 s[2:3], s[2:3], 8
	v_movrels_b32_e32 v132, v34
	v_dual_fmac_f32 v130, v131, v137 :: v_dual_add_nc_u32 v131, s2, v128
	s_add_co_i32 s8, s2, -7
	s_wait_dscnt 0x0
	s_delay_alu instid0(VALU_DEP_1) | instskip(NEXT) | instid1(VALU_DEP_2)
	v_fmac_f32_e32 v130, v126, v138
	v_cmp_eq_u32_e32 vcc_lo, 26, v131
	s_delay_alu instid0(VALU_DEP_2) | instskip(SKIP_1) | instid1(SALU_CYCLE_1)
	v_dual_mov_b32 v126, s8 :: v_dual_fmac_f32 v130, v132, v139
	s_or_b32 s6, vcc_lo, s6
	s_and_not1_b32 exec_lo, exec_lo, s6
	s_cbranch_execnz .LBB93_153
; %bb.154:
	s_or_b32 exec_lo, exec_lo, s6
.LBB93_155:
	s_delay_alu instid0(SALU_CYCLE_1) | instskip(SKIP_3) | instid1(VALU_DEP_1)
	s_or_b32 exec_lo, exec_lo, s1
	v_and_b32_e32 v64, 7, v127
	s_mov_b32 s2, 0
	s_mov_b32 s1, exec_lo
	v_cmpx_ne_u32_e32 0, v64
	s_cbranch_execz .LBB93_159
; %bb.156:
	v_lshl_add_u32 v65, v126, 2, 0x80
	v_mov_b32_e32 v127, 0
.LBB93_157:                             ; =>This Inner Loop Header: Depth=1
	v_cmp_eq_u32_e32 vcc_lo, 1, v126
	ds_load_b32 v131, v65
	v_dual_add_nc_u32 v64, -1, v64 :: v_dual_add_nc_u32 v65, 4, v65
	v_cndmask_b32_e32 v128, v34, v35, vcc_lo
	v_cmp_eq_u32_e32 vcc_lo, 2, v126
	s_delay_alu instid0(VALU_DEP_2) | instskip(SKIP_1) | instid1(VALU_DEP_2)
	v_cndmask_b32_e32 v128, v128, v36, vcc_lo
	v_cmp_eq_u32_e32 vcc_lo, 3, v126
	v_cndmask_b32_e32 v128, v128, v37, vcc_lo
	v_cmp_eq_u32_e32 vcc_lo, 4, v126
	s_delay_alu instid0(VALU_DEP_2) | instskip(SKIP_1) | instid1(VALU_DEP_2)
	v_cndmask_b32_e32 v128, v128, v38, vcc_lo
	v_cmp_eq_u32_e32 vcc_lo, 5, v126
	;; [unrolled: 5-line block ×13, first 2 shown]
	v_cndmask_b32_e32 v128, v128, v61, vcc_lo
	v_cmp_eq_u32_e32 vcc_lo, 28, v126
	s_delay_alu instid0(VALU_DEP_2) | instskip(SKIP_2) | instid1(VALU_DEP_3)
	v_cndmask_b32_e32 v128, v128, v62, vcc_lo
	v_cmp_eq_u32_e32 vcc_lo, 29, v126
	v_add_nc_u64_e32 v[126:127], 1, v[126:127]
	v_cndmask_b32_e32 v128, v128, v63, vcc_lo
	v_cmp_eq_u32_e32 vcc_lo, 0, v64
	s_wait_dscnt 0x0
	s_delay_alu instid0(VALU_DEP_2) | instskip(SKIP_1) | instid1(SALU_CYCLE_1)
	v_fmac_f32_e32 v130, v128, v131
	s_or_b32 s2, vcc_lo, s2
	s_and_not1_b32 exec_lo, exec_lo, s2
	s_cbranch_execnz .LBB93_157
; %bb.158:
	s_or_b32 exec_lo, exec_lo, s2
.LBB93_159:
	s_delay_alu instid0(SALU_CYCLE_1)
	s_or_b32 exec_lo, exec_lo, s1
.LBB93_160:
	s_delay_alu instid0(SALU_CYCLE_1)
	s_or_b32 exec_lo, exec_lo, s5
	v_mov_b32_e32 v52, 0
	ds_load_b32 v52, v52 offset:72
	s_wait_dscnt 0x0
	v_mul_f32_e32 v52, v130, v52
.LBB93_161:
	s_or_b32 exec_lo, exec_lo, s4
	v_cmp_lt_u32_e64 s1, 17, v0
	ds_store_b32 v129, v51
	s_wait_dscnt 0x0
	s_barrier_signal -1
	s_barrier_wait -1
	s_and_saveexec_b32 s4, s1
	s_cbranch_execz .LBB93_177
; %bb.162:
	s_and_not1_b32 vcc_lo, exec_lo, s33
	s_cbranch_vccnz .LBB93_164
; %bb.163:
	v_cmp_eq_u32_e32 vcc_lo, 1, v0
	ds_load_b32 v127, v129
	v_cndmask_b32_e32 v126, v34, v35, vcc_lo
	v_cmp_eq_u32_e32 vcc_lo, 2, v0
	s_delay_alu instid0(VALU_DEP_2) | instskip(SKIP_1) | instid1(VALU_DEP_2)
	v_cndmask_b32_e32 v126, v126, v36, vcc_lo
	v_cmp_eq_u32_e32 vcc_lo, 3, v0
	v_cndmask_b32_e32 v126, v126, v37, vcc_lo
	v_cmp_eq_u32_e32 vcc_lo, 4, v0
	s_delay_alu instid0(VALU_DEP_2) | instskip(SKIP_1) | instid1(VALU_DEP_2)
	v_cndmask_b32_e32 v126, v126, v38, vcc_lo
	v_cmp_eq_u32_e32 vcc_lo, 5, v0
	;; [unrolled: 5-line block ×14, first 2 shown]
	v_cndmask_b32_e32 v126, v126, v63, vcc_lo
	s_wait_dscnt 0x0
	s_delay_alu instid0(VALU_DEP_1)
	v_mul_f32_e32 v130, v126, v127
	s_cbranch_execz .LBB93_165
	s_branch .LBB93_166
.LBB93_164:
                                        ; implicit-def: $vgpr130
.LBB93_165:
	ds_load_b32 v130, v129
.LBB93_166:
	s_and_saveexec_b32 s5, s0
	s_cbranch_execz .LBB93_176
; %bb.167:
	v_subrev_nc_u32_e32 v128, 19, v0
	v_mov_b32_e32 v126, 18
	v_subrev_nc_u32_e32 v127, 18, v0
	s_mov_b32 s0, exec_lo
	s_delay_alu instid0(VALU_DEP_3)
	v_cmpx_lt_u32_e32 6, v128
	s_cbranch_execz .LBB93_171
; %bb.168:
	s_delay_alu instid0(VALU_DEP_2) | instskip(SKIP_3) | instid1(VALU_DEP_1)
	v_and_b32_e32 v126, -8, v127
	s_mov_b32 s6, 0
	s_mov_b64 s[2:3], 25
	s_movk_i32 s7, 0xc8
	v_sub_nc_u32_e32 v128, 0, v126
.LBB93_169:                             ; =>This Inner Loop Header: Depth=1
	s_add_co_i32 m0, s2, -7
	v_movrels_b32_e32 v131, v34
	v_mov_b32_e32 v126, s7
	s_add_co_i32 m0, s2, -6
	s_add_co_i32 s7, s7, 32
	v_movrels_b32_e32 v140, v34
	s_add_co_i32 m0, s2, -5
	ds_load_2addr_b64 v[132:135], v126 offset1:1
	ds_load_2addr_b64 v[136:139], v126 offset0:2 offset1:3
	v_movrels_b32_e32 v126, v34
	s_add_co_i32 m0, s2, -4
	s_wait_dscnt 0x1
	v_fmac_f32_e32 v130, v131, v132
	v_movrels_b32_e32 v131, v34
	s_add_co_i32 m0, s2, -3
	s_delay_alu instid0(VALU_DEP_2) | instskip(NEXT) | instid1(VALU_DEP_1)
	v_fmac_f32_e32 v130, v140, v133
	v_fmac_f32_e32 v130, v126, v134
	v_movrels_b32_e32 v126, v34
	s_add_co_i32 m0, s2, -2
	s_delay_alu instid0(VALU_DEP_2) | instskip(SKIP_3) | instid1(VALU_DEP_2)
	v_fmac_f32_e32 v130, v131, v135
	v_movrels_b32_e32 v131, v34
	s_add_co_i32 m0, s2, -1
	s_wait_dscnt 0x0
	v_fmac_f32_e32 v130, v126, v136
	v_movrels_b32_e32 v126, v34
	s_mov_b32 m0, s2
	s_add_nc_u64 s[2:3], s[2:3], 8
	v_movrels_b32_e32 v132, v34
	v_dual_fmac_f32 v130, v131, v137 :: v_dual_add_nc_u32 v131, s2, v128
	s_add_co_i32 s8, s2, -7
	s_delay_alu instid0(VALU_DEP_1) | instskip(NEXT) | instid1(VALU_DEP_2)
	v_fmac_f32_e32 v130, v126, v138
	v_cmp_eq_u32_e32 vcc_lo, 25, v131
	s_delay_alu instid0(VALU_DEP_2) | instskip(SKIP_1) | instid1(SALU_CYCLE_1)
	v_dual_mov_b32 v126, s8 :: v_dual_fmac_f32 v130, v132, v139
	s_or_b32 s6, vcc_lo, s6
	s_and_not1_b32 exec_lo, exec_lo, s6
	s_cbranch_execnz .LBB93_169
; %bb.170:
	s_or_b32 exec_lo, exec_lo, s6
.LBB93_171:
	s_delay_alu instid0(SALU_CYCLE_1) | instskip(SKIP_3) | instid1(VALU_DEP_1)
	s_or_b32 exec_lo, exec_lo, s0
	v_and_b32_e32 v64, 7, v127
	s_mov_b32 s2, 0
	s_mov_b32 s0, exec_lo
	v_cmpx_ne_u32_e32 0, v64
	s_cbranch_execz .LBB93_175
; %bb.172:
	v_lshl_add_u32 v65, v126, 2, 0x80
	v_mov_b32_e32 v127, 0
.LBB93_173:                             ; =>This Inner Loop Header: Depth=1
	v_cmp_eq_u32_e32 vcc_lo, 1, v126
	ds_load_b32 v131, v65
	v_dual_add_nc_u32 v64, -1, v64 :: v_dual_add_nc_u32 v65, 4, v65
	v_cndmask_b32_e32 v128, v34, v35, vcc_lo
	v_cmp_eq_u32_e32 vcc_lo, 2, v126
	s_delay_alu instid0(VALU_DEP_2) | instskip(SKIP_1) | instid1(VALU_DEP_2)
	v_cndmask_b32_e32 v128, v128, v36, vcc_lo
	v_cmp_eq_u32_e32 vcc_lo, 3, v126
	v_cndmask_b32_e32 v128, v128, v37, vcc_lo
	v_cmp_eq_u32_e32 vcc_lo, 4, v126
	s_delay_alu instid0(VALU_DEP_2) | instskip(SKIP_1) | instid1(VALU_DEP_2)
	v_cndmask_b32_e32 v128, v128, v38, vcc_lo
	v_cmp_eq_u32_e32 vcc_lo, 5, v126
	;; [unrolled: 5-line block ×13, first 2 shown]
	v_cndmask_b32_e32 v128, v128, v61, vcc_lo
	v_cmp_eq_u32_e32 vcc_lo, 28, v126
	s_delay_alu instid0(VALU_DEP_2) | instskip(SKIP_2) | instid1(VALU_DEP_3)
	v_cndmask_b32_e32 v128, v128, v62, vcc_lo
	v_cmp_eq_u32_e32 vcc_lo, 29, v126
	v_add_nc_u64_e32 v[126:127], 1, v[126:127]
	v_cndmask_b32_e32 v128, v128, v63, vcc_lo
	v_cmp_eq_u32_e32 vcc_lo, 0, v64
	s_wait_dscnt 0x0
	s_delay_alu instid0(VALU_DEP_2) | instskip(SKIP_1) | instid1(SALU_CYCLE_1)
	v_fmac_f32_e32 v130, v128, v131
	s_or_b32 s2, vcc_lo, s2
	s_and_not1_b32 exec_lo, exec_lo, s2
	s_cbranch_execnz .LBB93_173
; %bb.174:
	s_or_b32 exec_lo, exec_lo, s2
.LBB93_175:
	s_delay_alu instid0(SALU_CYCLE_1)
	s_or_b32 exec_lo, exec_lo, s0
.LBB93_176:
	s_delay_alu instid0(SALU_CYCLE_1)
	s_or_b32 exec_lo, exec_lo, s5
	v_mov_b32_e32 v51, 0
	ds_load_b32 v51, v51 offset:68
	s_wait_dscnt 0x0
	v_mul_f32_e32 v51, v130, v51
.LBB93_177:
	s_or_b32 exec_lo, exec_lo, s4
	v_cmp_lt_u32_e64 s0, 16, v0
	ds_store_b32 v129, v50
	s_wait_dscnt 0x0
	s_barrier_signal -1
	s_barrier_wait -1
	s_and_saveexec_b32 s4, s0
	s_cbranch_execz .LBB93_193
; %bb.178:
	s_and_not1_b32 vcc_lo, exec_lo, s33
	s_cbranch_vccnz .LBB93_180
; %bb.179:
	v_cmp_eq_u32_e32 vcc_lo, 1, v0
	ds_load_b32 v127, v129
	v_cndmask_b32_e32 v126, v34, v35, vcc_lo
	v_cmp_eq_u32_e32 vcc_lo, 2, v0
	s_delay_alu instid0(VALU_DEP_2) | instskip(SKIP_1) | instid1(VALU_DEP_2)
	v_cndmask_b32_e32 v126, v126, v36, vcc_lo
	v_cmp_eq_u32_e32 vcc_lo, 3, v0
	v_cndmask_b32_e32 v126, v126, v37, vcc_lo
	v_cmp_eq_u32_e32 vcc_lo, 4, v0
	s_delay_alu instid0(VALU_DEP_2) | instskip(SKIP_1) | instid1(VALU_DEP_2)
	v_cndmask_b32_e32 v126, v126, v38, vcc_lo
	v_cmp_eq_u32_e32 vcc_lo, 5, v0
	;; [unrolled: 5-line block ×14, first 2 shown]
	v_cndmask_b32_e32 v126, v126, v63, vcc_lo
	s_wait_dscnt 0x0
	s_delay_alu instid0(VALU_DEP_1)
	v_mul_f32_e32 v130, v126, v127
	s_cbranch_execz .LBB93_181
	s_branch .LBB93_182
.LBB93_180:
                                        ; implicit-def: $vgpr130
.LBB93_181:
	ds_load_b32 v130, v129
.LBB93_182:
	s_and_saveexec_b32 s5, s1
	s_cbranch_execz .LBB93_192
; %bb.183:
	v_subrev_nc_u32_e32 v128, 18, v0
	v_mov_b32_e32 v126, 17
	v_subrev_nc_u32_e32 v127, 17, v0
	s_mov_b32 s1, exec_lo
	s_delay_alu instid0(VALU_DEP_3)
	v_cmpx_lt_u32_e32 6, v128
	s_cbranch_execz .LBB93_187
; %bb.184:
	s_delay_alu instid0(VALU_DEP_2) | instskip(SKIP_3) | instid1(VALU_DEP_1)
	v_and_b32_e32 v126, -8, v127
	s_mov_b32 s6, 0
	s_mov_b64 s[2:3], 24
	s_movk_i32 s7, 0xc4
	v_sub_nc_u32_e32 v128, 0, v126
.LBB93_185:                             ; =>This Inner Loop Header: Depth=1
	s_add_co_i32 m0, s2, -7
	v_movrels_b32_e32 v131, v34
	v_mov_b32_e32 v126, s7
	s_add_co_i32 m0, s2, -6
	s_add_co_i32 s7, s7, 32
	v_movrels_b32_e32 v140, v34
	ds_load_2addr_b32 v[132:133], v126 offset1:1
	ds_load_2addr_b32 v[134:135], v126 offset0:2 offset1:3
	s_add_co_i32 m0, s2, -5
	s_wait_dscnt 0x1
	v_fmac_f32_e32 v130, v131, v132
	ds_load_2addr_b32 v[136:137], v126 offset0:4 offset1:5
	ds_load_2addr_b32 v[138:139], v126 offset0:6 offset1:7
	v_movrels_b32_e32 v126, v34
	s_add_co_i32 m0, s2, -4
	v_fmac_f32_e32 v130, v140, v133
	v_movrels_b32_e32 v131, v34
	s_add_co_i32 m0, s2, -3
	s_wait_dscnt 0x2
	s_delay_alu instid0(VALU_DEP_2) | instskip(SKIP_2) | instid1(VALU_DEP_2)
	v_fmac_f32_e32 v130, v126, v134
	v_movrels_b32_e32 v126, v34
	s_add_co_i32 m0, s2, -2
	v_fmac_f32_e32 v130, v131, v135
	v_movrels_b32_e32 v131, v34
	s_add_co_i32 m0, s2, -1
	s_wait_dscnt 0x1
	s_delay_alu instid0(VALU_DEP_2)
	v_fmac_f32_e32 v130, v126, v136
	v_movrels_b32_e32 v126, v34
	s_mov_b32 m0, s2
	s_add_nc_u64 s[2:3], s[2:3], 8
	v_movrels_b32_e32 v132, v34
	v_dual_fmac_f32 v130, v131, v137 :: v_dual_add_nc_u32 v131, s2, v128
	s_add_co_i32 s8, s2, -7
	s_wait_dscnt 0x0
	s_delay_alu instid0(VALU_DEP_1) | instskip(NEXT) | instid1(VALU_DEP_2)
	v_fmac_f32_e32 v130, v126, v138
	v_cmp_eq_u32_e32 vcc_lo, 24, v131
	s_delay_alu instid0(VALU_DEP_2) | instskip(SKIP_1) | instid1(SALU_CYCLE_1)
	v_dual_mov_b32 v126, s8 :: v_dual_fmac_f32 v130, v132, v139
	s_or_b32 s6, vcc_lo, s6
	s_and_not1_b32 exec_lo, exec_lo, s6
	s_cbranch_execnz .LBB93_185
; %bb.186:
	s_or_b32 exec_lo, exec_lo, s6
.LBB93_187:
	s_delay_alu instid0(SALU_CYCLE_1) | instskip(SKIP_3) | instid1(VALU_DEP_1)
	s_or_b32 exec_lo, exec_lo, s1
	v_and_b32_e32 v64, 7, v127
	s_mov_b32 s2, 0
	s_mov_b32 s1, exec_lo
	v_cmpx_ne_u32_e32 0, v64
	s_cbranch_execz .LBB93_191
; %bb.188:
	v_lshl_add_u32 v65, v126, 2, 0x80
	v_mov_b32_e32 v127, 0
.LBB93_189:                             ; =>This Inner Loop Header: Depth=1
	v_cmp_eq_u32_e32 vcc_lo, 1, v126
	ds_load_b32 v131, v65
	v_dual_add_nc_u32 v64, -1, v64 :: v_dual_add_nc_u32 v65, 4, v65
	v_cndmask_b32_e32 v128, v34, v35, vcc_lo
	v_cmp_eq_u32_e32 vcc_lo, 2, v126
	s_delay_alu instid0(VALU_DEP_2) | instskip(SKIP_1) | instid1(VALU_DEP_2)
	v_cndmask_b32_e32 v128, v128, v36, vcc_lo
	v_cmp_eq_u32_e32 vcc_lo, 3, v126
	v_cndmask_b32_e32 v128, v128, v37, vcc_lo
	v_cmp_eq_u32_e32 vcc_lo, 4, v126
	s_delay_alu instid0(VALU_DEP_2) | instskip(SKIP_1) | instid1(VALU_DEP_2)
	v_cndmask_b32_e32 v128, v128, v38, vcc_lo
	v_cmp_eq_u32_e32 vcc_lo, 5, v126
	;; [unrolled: 5-line block ×13, first 2 shown]
	v_cndmask_b32_e32 v128, v128, v61, vcc_lo
	v_cmp_eq_u32_e32 vcc_lo, 28, v126
	s_delay_alu instid0(VALU_DEP_2) | instskip(SKIP_2) | instid1(VALU_DEP_3)
	v_cndmask_b32_e32 v128, v128, v62, vcc_lo
	v_cmp_eq_u32_e32 vcc_lo, 29, v126
	v_add_nc_u64_e32 v[126:127], 1, v[126:127]
	v_cndmask_b32_e32 v128, v128, v63, vcc_lo
	v_cmp_eq_u32_e32 vcc_lo, 0, v64
	s_wait_dscnt 0x0
	s_delay_alu instid0(VALU_DEP_2) | instskip(SKIP_1) | instid1(SALU_CYCLE_1)
	v_fmac_f32_e32 v130, v128, v131
	s_or_b32 s2, vcc_lo, s2
	s_and_not1_b32 exec_lo, exec_lo, s2
	s_cbranch_execnz .LBB93_189
; %bb.190:
	s_or_b32 exec_lo, exec_lo, s2
.LBB93_191:
	s_delay_alu instid0(SALU_CYCLE_1)
	s_or_b32 exec_lo, exec_lo, s1
.LBB93_192:
	s_delay_alu instid0(SALU_CYCLE_1)
	s_or_b32 exec_lo, exec_lo, s5
	v_mov_b32_e32 v50, 0
	ds_load_b32 v50, v50 offset:64
	s_wait_dscnt 0x0
	v_mul_f32_e32 v50, v130, v50
.LBB93_193:
	s_or_b32 exec_lo, exec_lo, s4
	v_cmp_lt_u32_e64 s1, 15, v0
	ds_store_b32 v129, v49
	s_wait_dscnt 0x0
	s_barrier_signal -1
	s_barrier_wait -1
	s_and_saveexec_b32 s4, s1
	s_cbranch_execz .LBB93_209
; %bb.194:
	s_and_not1_b32 vcc_lo, exec_lo, s33
	s_cbranch_vccnz .LBB93_196
; %bb.195:
	v_cmp_eq_u32_e32 vcc_lo, 1, v0
	ds_load_b32 v127, v129
	v_cndmask_b32_e32 v126, v34, v35, vcc_lo
	v_cmp_eq_u32_e32 vcc_lo, 2, v0
	s_delay_alu instid0(VALU_DEP_2) | instskip(SKIP_1) | instid1(VALU_DEP_2)
	v_cndmask_b32_e32 v126, v126, v36, vcc_lo
	v_cmp_eq_u32_e32 vcc_lo, 3, v0
	v_cndmask_b32_e32 v126, v126, v37, vcc_lo
	v_cmp_eq_u32_e32 vcc_lo, 4, v0
	s_delay_alu instid0(VALU_DEP_2) | instskip(SKIP_1) | instid1(VALU_DEP_2)
	v_cndmask_b32_e32 v126, v126, v38, vcc_lo
	v_cmp_eq_u32_e32 vcc_lo, 5, v0
	;; [unrolled: 5-line block ×14, first 2 shown]
	v_cndmask_b32_e32 v126, v126, v63, vcc_lo
	s_wait_dscnt 0x0
	s_delay_alu instid0(VALU_DEP_1)
	v_mul_f32_e32 v130, v126, v127
	s_cbranch_execz .LBB93_197
	s_branch .LBB93_198
.LBB93_196:
                                        ; implicit-def: $vgpr130
.LBB93_197:
	ds_load_b32 v130, v129
.LBB93_198:
	s_and_saveexec_b32 s5, s0
	s_cbranch_execz .LBB93_208
; %bb.199:
	v_subrev_nc_u32_e32 v126, 17, v0
	s_delay_alu instid0(VALU_DEP_1)
	v_cmp_lt_u32_e32 vcc_lo, 6, v126
	v_mov_b32_e32 v126, 16
	s_and_saveexec_b32 s0, vcc_lo
	s_cbranch_execz .LBB93_203
; %bb.200:
	v_and_b32_e32 v126, 24, v0
	s_mov_b32 s6, 0
	s_mov_b64 s[2:3], 23
	s_movk_i32 s7, 0xc0
	s_delay_alu instid0(VALU_DEP_1)
	v_sub_nc_u32_e32 v128, 0, v126
.LBB93_201:                             ; =>This Inner Loop Header: Depth=1
	s_add_co_i32 m0, s2, -7
	v_movrels_b32_e32 v127, v34
	v_mov_b32_e32 v126, s7
	s_add_co_i32 m0, s2, -6
	s_add_co_i32 s7, s7, 32
	v_movrels_b32_e32 v131, v34
	s_add_co_i32 m0, s2, -5
	ds_load_b128 v[132:135], v126
	ds_load_b128 v[136:139], v126 offset:16
	v_movrels_b32_e32 v126, v34
	s_add_co_i32 m0, s2, -4
	s_wait_dscnt 0x1
	v_fmac_f32_e32 v130, v127, v132
	v_movrels_b32_e32 v127, v34
	s_add_co_i32 m0, s2, -3
	s_delay_alu instid0(VALU_DEP_2) | instskip(NEXT) | instid1(VALU_DEP_1)
	v_fmac_f32_e32 v130, v131, v133
	v_fmac_f32_e32 v130, v126, v134
	v_movrels_b32_e32 v126, v34
	s_add_co_i32 m0, s2, -2
	s_delay_alu instid0(VALU_DEP_2) | instskip(SKIP_3) | instid1(VALU_DEP_2)
	v_fmac_f32_e32 v130, v127, v135
	v_movrels_b32_e32 v127, v34
	s_add_co_i32 m0, s2, -1
	s_wait_dscnt 0x0
	v_fmac_f32_e32 v130, v126, v136
	v_movrels_b32_e32 v126, v34
	s_mov_b32 m0, s2
	s_add_nc_u64 s[2:3], s[2:3], 8
	v_movrels_b32_e32 v131, v34
	v_dual_fmac_f32 v130, v127, v137 :: v_dual_add_nc_u32 v127, s2, v128
	s_add_co_i32 s8, s2, -7
	s_delay_alu instid0(VALU_DEP_1) | instskip(NEXT) | instid1(VALU_DEP_2)
	v_fmac_f32_e32 v130, v126, v138
	v_cmp_eq_u32_e32 vcc_lo, 7, v127
	s_delay_alu instid0(VALU_DEP_2) | instskip(SKIP_1) | instid1(SALU_CYCLE_1)
	v_dual_mov_b32 v126, s8 :: v_dual_fmac_f32 v130, v131, v139
	s_or_b32 s6, vcc_lo, s6
	s_and_not1_b32 exec_lo, exec_lo, s6
	s_cbranch_execnz .LBB93_201
; %bb.202:
	s_or_b32 exec_lo, exec_lo, s6
.LBB93_203:
	s_delay_alu instid0(SALU_CYCLE_1) | instskip(SKIP_3) | instid1(VALU_DEP_1)
	s_or_b32 exec_lo, exec_lo, s0
	v_and_b32_e32 v64, 7, v0
	s_mov_b32 s2, 0
	s_mov_b32 s0, exec_lo
	v_cmpx_ne_u32_e32 0, v64
	s_cbranch_execz .LBB93_207
; %bb.204:
	v_lshl_add_u32 v65, v126, 2, 0x80
	v_mov_b32_e32 v127, 0
.LBB93_205:                             ; =>This Inner Loop Header: Depth=1
	v_cmp_eq_u32_e32 vcc_lo, 1, v126
	ds_load_b32 v131, v65
	v_dual_add_nc_u32 v64, -1, v64 :: v_dual_add_nc_u32 v65, 4, v65
	v_cndmask_b32_e32 v128, v34, v35, vcc_lo
	v_cmp_eq_u32_e32 vcc_lo, 2, v126
	s_delay_alu instid0(VALU_DEP_2) | instskip(SKIP_1) | instid1(VALU_DEP_2)
	v_cndmask_b32_e32 v128, v128, v36, vcc_lo
	v_cmp_eq_u32_e32 vcc_lo, 3, v126
	v_cndmask_b32_e32 v128, v128, v37, vcc_lo
	v_cmp_eq_u32_e32 vcc_lo, 4, v126
	s_delay_alu instid0(VALU_DEP_2) | instskip(SKIP_1) | instid1(VALU_DEP_2)
	v_cndmask_b32_e32 v128, v128, v38, vcc_lo
	v_cmp_eq_u32_e32 vcc_lo, 5, v126
	;; [unrolled: 5-line block ×13, first 2 shown]
	v_cndmask_b32_e32 v128, v128, v61, vcc_lo
	v_cmp_eq_u32_e32 vcc_lo, 28, v126
	s_delay_alu instid0(VALU_DEP_2) | instskip(SKIP_2) | instid1(VALU_DEP_3)
	v_cndmask_b32_e32 v128, v128, v62, vcc_lo
	v_cmp_eq_u32_e32 vcc_lo, 29, v126
	v_add_nc_u64_e32 v[126:127], 1, v[126:127]
	v_cndmask_b32_e32 v128, v128, v63, vcc_lo
	v_cmp_eq_u32_e32 vcc_lo, 0, v64
	s_wait_dscnt 0x0
	s_delay_alu instid0(VALU_DEP_2) | instskip(SKIP_1) | instid1(SALU_CYCLE_1)
	v_fmac_f32_e32 v130, v128, v131
	s_or_b32 s2, vcc_lo, s2
	s_and_not1_b32 exec_lo, exec_lo, s2
	s_cbranch_execnz .LBB93_205
; %bb.206:
	s_or_b32 exec_lo, exec_lo, s2
.LBB93_207:
	s_delay_alu instid0(SALU_CYCLE_1)
	s_or_b32 exec_lo, exec_lo, s0
.LBB93_208:
	s_delay_alu instid0(SALU_CYCLE_1)
	s_or_b32 exec_lo, exec_lo, s5
	v_mov_b32_e32 v49, 0
	ds_load_b32 v49, v49 offset:60
	s_wait_dscnt 0x0
	v_mul_f32_e32 v49, v130, v49
.LBB93_209:
	s_or_b32 exec_lo, exec_lo, s4
	v_cmp_lt_u32_e64 s0, 14, v0
	ds_store_b32 v129, v48
	s_wait_dscnt 0x0
	s_barrier_signal -1
	s_barrier_wait -1
	s_and_saveexec_b32 s4, s0
	s_cbranch_execz .LBB93_225
; %bb.210:
	s_and_not1_b32 vcc_lo, exec_lo, s33
	s_cbranch_vccnz .LBB93_212
; %bb.211:
	v_cmp_eq_u32_e32 vcc_lo, 1, v0
	ds_load_b32 v127, v129
	v_cndmask_b32_e32 v126, v34, v35, vcc_lo
	v_cmp_eq_u32_e32 vcc_lo, 2, v0
	s_delay_alu instid0(VALU_DEP_2) | instskip(SKIP_1) | instid1(VALU_DEP_2)
	v_cndmask_b32_e32 v126, v126, v36, vcc_lo
	v_cmp_eq_u32_e32 vcc_lo, 3, v0
	v_cndmask_b32_e32 v126, v126, v37, vcc_lo
	v_cmp_eq_u32_e32 vcc_lo, 4, v0
	s_delay_alu instid0(VALU_DEP_2) | instskip(SKIP_1) | instid1(VALU_DEP_2)
	v_cndmask_b32_e32 v126, v126, v38, vcc_lo
	v_cmp_eq_u32_e32 vcc_lo, 5, v0
	;; [unrolled: 5-line block ×14, first 2 shown]
	v_cndmask_b32_e32 v126, v126, v63, vcc_lo
	s_wait_dscnt 0x0
	s_delay_alu instid0(VALU_DEP_1)
	v_mul_f32_e32 v130, v126, v127
	s_cbranch_execz .LBB93_213
	s_branch .LBB93_214
.LBB93_212:
                                        ; implicit-def: $vgpr130
.LBB93_213:
	ds_load_b32 v130, v129
.LBB93_214:
	s_and_saveexec_b32 s5, s1
	s_cbranch_execz .LBB93_224
; %bb.215:
	v_dual_add_nc_u32 v126, -16, v0 :: v_dual_add_nc_u32 v127, -15, v0
	s_delay_alu instid0(VALU_DEP_1)
	v_cmp_lt_u32_e32 vcc_lo, 6, v126
	v_mov_b32_e32 v126, 15
	s_and_saveexec_b32 s1, vcc_lo
	s_cbranch_execz .LBB93_219
; %bb.216:
	v_and_b32_e32 v126, -8, v127
	s_mov_b32 s6, 0
	s_mov_b64 s[2:3], 22
	s_movk_i32 s7, 0xbc
	s_delay_alu instid0(VALU_DEP_1)
	v_sub_nc_u32_e32 v128, 0, v126
.LBB93_217:                             ; =>This Inner Loop Header: Depth=1
	s_add_co_i32 m0, s2, -7
	v_movrels_b32_e32 v131, v34
	v_mov_b32_e32 v126, s7
	s_add_co_i32 m0, s2, -6
	s_add_co_i32 s7, s7, 32
	v_movrels_b32_e32 v140, v34
	ds_load_2addr_b32 v[132:133], v126 offset1:1
	ds_load_2addr_b32 v[134:135], v126 offset0:2 offset1:3
	s_add_co_i32 m0, s2, -5
	s_wait_dscnt 0x1
	v_fmac_f32_e32 v130, v131, v132
	ds_load_2addr_b32 v[136:137], v126 offset0:4 offset1:5
	ds_load_2addr_b32 v[138:139], v126 offset0:6 offset1:7
	v_movrels_b32_e32 v126, v34
	s_add_co_i32 m0, s2, -4
	v_fmac_f32_e32 v130, v140, v133
	v_movrels_b32_e32 v131, v34
	s_add_co_i32 m0, s2, -3
	s_wait_dscnt 0x2
	s_delay_alu instid0(VALU_DEP_2) | instskip(SKIP_2) | instid1(VALU_DEP_2)
	v_fmac_f32_e32 v130, v126, v134
	v_movrels_b32_e32 v126, v34
	s_add_co_i32 m0, s2, -2
	v_fmac_f32_e32 v130, v131, v135
	v_movrels_b32_e32 v131, v34
	s_add_co_i32 m0, s2, -1
	s_wait_dscnt 0x1
	s_delay_alu instid0(VALU_DEP_2)
	v_fmac_f32_e32 v130, v126, v136
	v_movrels_b32_e32 v126, v34
	s_mov_b32 m0, s2
	s_add_nc_u64 s[2:3], s[2:3], 8
	v_movrels_b32_e32 v132, v34
	v_dual_fmac_f32 v130, v131, v137 :: v_dual_add_nc_u32 v131, s2, v128
	s_add_co_i32 s8, s2, -7
	s_wait_dscnt 0x0
	s_delay_alu instid0(VALU_DEP_1) | instskip(NEXT) | instid1(VALU_DEP_2)
	v_fmac_f32_e32 v130, v126, v138
	v_cmp_eq_u32_e32 vcc_lo, 22, v131
	s_delay_alu instid0(VALU_DEP_2) | instskip(SKIP_1) | instid1(SALU_CYCLE_1)
	v_dual_mov_b32 v126, s8 :: v_dual_fmac_f32 v130, v132, v139
	s_or_b32 s6, vcc_lo, s6
	s_and_not1_b32 exec_lo, exec_lo, s6
	s_cbranch_execnz .LBB93_217
; %bb.218:
	s_or_b32 exec_lo, exec_lo, s6
.LBB93_219:
	s_delay_alu instid0(SALU_CYCLE_1) | instskip(SKIP_3) | instid1(VALU_DEP_1)
	s_or_b32 exec_lo, exec_lo, s1
	v_and_b32_e32 v64, 7, v127
	s_mov_b32 s2, 0
	s_mov_b32 s1, exec_lo
	v_cmpx_ne_u32_e32 0, v64
	s_cbranch_execz .LBB93_223
; %bb.220:
	v_lshl_add_u32 v65, v126, 2, 0x80
	v_mov_b32_e32 v127, 0
.LBB93_221:                             ; =>This Inner Loop Header: Depth=1
	v_cmp_eq_u32_e32 vcc_lo, 1, v126
	ds_load_b32 v131, v65
	v_dual_add_nc_u32 v64, -1, v64 :: v_dual_add_nc_u32 v65, 4, v65
	v_cndmask_b32_e32 v128, v34, v35, vcc_lo
	v_cmp_eq_u32_e32 vcc_lo, 2, v126
	s_delay_alu instid0(VALU_DEP_2) | instskip(SKIP_1) | instid1(VALU_DEP_2)
	v_cndmask_b32_e32 v128, v128, v36, vcc_lo
	v_cmp_eq_u32_e32 vcc_lo, 3, v126
	v_cndmask_b32_e32 v128, v128, v37, vcc_lo
	v_cmp_eq_u32_e32 vcc_lo, 4, v126
	s_delay_alu instid0(VALU_DEP_2) | instskip(SKIP_1) | instid1(VALU_DEP_2)
	v_cndmask_b32_e32 v128, v128, v38, vcc_lo
	v_cmp_eq_u32_e32 vcc_lo, 5, v126
	;; [unrolled: 5-line block ×13, first 2 shown]
	v_cndmask_b32_e32 v128, v128, v61, vcc_lo
	v_cmp_eq_u32_e32 vcc_lo, 28, v126
	s_delay_alu instid0(VALU_DEP_2) | instskip(SKIP_2) | instid1(VALU_DEP_3)
	v_cndmask_b32_e32 v128, v128, v62, vcc_lo
	v_cmp_eq_u32_e32 vcc_lo, 29, v126
	v_add_nc_u64_e32 v[126:127], 1, v[126:127]
	v_cndmask_b32_e32 v128, v128, v63, vcc_lo
	v_cmp_eq_u32_e32 vcc_lo, 0, v64
	s_wait_dscnt 0x0
	s_delay_alu instid0(VALU_DEP_2) | instskip(SKIP_1) | instid1(SALU_CYCLE_1)
	v_fmac_f32_e32 v130, v128, v131
	s_or_b32 s2, vcc_lo, s2
	s_and_not1_b32 exec_lo, exec_lo, s2
	s_cbranch_execnz .LBB93_221
; %bb.222:
	s_or_b32 exec_lo, exec_lo, s2
.LBB93_223:
	s_delay_alu instid0(SALU_CYCLE_1)
	s_or_b32 exec_lo, exec_lo, s1
.LBB93_224:
	s_delay_alu instid0(SALU_CYCLE_1)
	s_or_b32 exec_lo, exec_lo, s5
	v_mov_b32_e32 v48, 0
	ds_load_b32 v48, v48 offset:56
	s_wait_dscnt 0x0
	v_mul_f32_e32 v48, v130, v48
.LBB93_225:
	s_or_b32 exec_lo, exec_lo, s4
	v_cmp_lt_u32_e64 s1, 13, v0
	ds_store_b32 v129, v47
	s_wait_dscnt 0x0
	s_barrier_signal -1
	s_barrier_wait -1
	s_and_saveexec_b32 s4, s1
	s_cbranch_execz .LBB93_241
; %bb.226:
	s_and_not1_b32 vcc_lo, exec_lo, s33
	s_cbranch_vccnz .LBB93_228
; %bb.227:
	v_cmp_eq_u32_e32 vcc_lo, 1, v0
	ds_load_b32 v127, v129
	v_cndmask_b32_e32 v126, v34, v35, vcc_lo
	v_cmp_eq_u32_e32 vcc_lo, 2, v0
	s_delay_alu instid0(VALU_DEP_2) | instskip(SKIP_1) | instid1(VALU_DEP_2)
	v_cndmask_b32_e32 v126, v126, v36, vcc_lo
	v_cmp_eq_u32_e32 vcc_lo, 3, v0
	v_cndmask_b32_e32 v126, v126, v37, vcc_lo
	v_cmp_eq_u32_e32 vcc_lo, 4, v0
	s_delay_alu instid0(VALU_DEP_2) | instskip(SKIP_1) | instid1(VALU_DEP_2)
	v_cndmask_b32_e32 v126, v126, v38, vcc_lo
	v_cmp_eq_u32_e32 vcc_lo, 5, v0
	;; [unrolled: 5-line block ×14, first 2 shown]
	v_cndmask_b32_e32 v126, v126, v63, vcc_lo
	s_wait_dscnt 0x0
	s_delay_alu instid0(VALU_DEP_1)
	v_mul_f32_e32 v130, v126, v127
	s_cbranch_execz .LBB93_229
	s_branch .LBB93_230
.LBB93_228:
                                        ; implicit-def: $vgpr130
.LBB93_229:
	ds_load_b32 v130, v129
.LBB93_230:
	s_and_saveexec_b32 s5, s0
	s_cbranch_execz .LBB93_240
; %bb.231:
	v_dual_add_nc_u32 v126, -15, v0 :: v_dual_add_nc_u32 v127, -14, v0
	s_delay_alu instid0(VALU_DEP_1)
	v_cmp_lt_u32_e32 vcc_lo, 6, v126
	v_mov_b32_e32 v126, 14
	s_and_saveexec_b32 s0, vcc_lo
	s_cbranch_execz .LBB93_235
; %bb.232:
	v_and_b32_e32 v126, -8, v127
	s_mov_b32 s6, 0
	s_mov_b64 s[2:3], 21
	s_movk_i32 s7, 0xb8
	s_delay_alu instid0(VALU_DEP_1)
	v_sub_nc_u32_e32 v128, 0, v126
.LBB93_233:                             ; =>This Inner Loop Header: Depth=1
	s_add_co_i32 m0, s2, -7
	v_movrels_b32_e32 v131, v34
	v_mov_b32_e32 v126, s7
	s_add_co_i32 m0, s2, -6
	s_add_co_i32 s7, s7, 32
	v_movrels_b32_e32 v140, v34
	s_add_co_i32 m0, s2, -5
	ds_load_2addr_b64 v[132:135], v126 offset1:1
	ds_load_2addr_b64 v[136:139], v126 offset0:2 offset1:3
	v_movrels_b32_e32 v126, v34
	s_add_co_i32 m0, s2, -4
	s_wait_dscnt 0x1
	v_fmac_f32_e32 v130, v131, v132
	v_movrels_b32_e32 v131, v34
	s_add_co_i32 m0, s2, -3
	s_delay_alu instid0(VALU_DEP_2) | instskip(NEXT) | instid1(VALU_DEP_1)
	v_fmac_f32_e32 v130, v140, v133
	v_fmac_f32_e32 v130, v126, v134
	v_movrels_b32_e32 v126, v34
	s_add_co_i32 m0, s2, -2
	s_delay_alu instid0(VALU_DEP_2) | instskip(SKIP_3) | instid1(VALU_DEP_2)
	v_fmac_f32_e32 v130, v131, v135
	v_movrels_b32_e32 v131, v34
	s_add_co_i32 m0, s2, -1
	s_wait_dscnt 0x0
	v_fmac_f32_e32 v130, v126, v136
	v_movrels_b32_e32 v126, v34
	s_mov_b32 m0, s2
	s_add_nc_u64 s[2:3], s[2:3], 8
	v_movrels_b32_e32 v132, v34
	v_dual_fmac_f32 v130, v131, v137 :: v_dual_add_nc_u32 v131, s2, v128
	s_add_co_i32 s8, s2, -7
	s_delay_alu instid0(VALU_DEP_1) | instskip(NEXT) | instid1(VALU_DEP_2)
	v_fmac_f32_e32 v130, v126, v138
	v_cmp_eq_u32_e32 vcc_lo, 21, v131
	s_delay_alu instid0(VALU_DEP_2) | instskip(SKIP_1) | instid1(SALU_CYCLE_1)
	v_dual_mov_b32 v126, s8 :: v_dual_fmac_f32 v130, v132, v139
	s_or_b32 s6, vcc_lo, s6
	s_and_not1_b32 exec_lo, exec_lo, s6
	s_cbranch_execnz .LBB93_233
; %bb.234:
	s_or_b32 exec_lo, exec_lo, s6
.LBB93_235:
	s_delay_alu instid0(SALU_CYCLE_1) | instskip(SKIP_3) | instid1(VALU_DEP_1)
	s_or_b32 exec_lo, exec_lo, s0
	v_and_b32_e32 v64, 7, v127
	s_mov_b32 s2, 0
	s_mov_b32 s0, exec_lo
	v_cmpx_ne_u32_e32 0, v64
	s_cbranch_execz .LBB93_239
; %bb.236:
	v_lshl_add_u32 v65, v126, 2, 0x80
	v_mov_b32_e32 v127, 0
.LBB93_237:                             ; =>This Inner Loop Header: Depth=1
	v_cmp_eq_u32_e32 vcc_lo, 1, v126
	ds_load_b32 v131, v65
	v_dual_add_nc_u32 v64, -1, v64 :: v_dual_add_nc_u32 v65, 4, v65
	v_cndmask_b32_e32 v128, v34, v35, vcc_lo
	v_cmp_eq_u32_e32 vcc_lo, 2, v126
	s_delay_alu instid0(VALU_DEP_2) | instskip(SKIP_1) | instid1(VALU_DEP_2)
	v_cndmask_b32_e32 v128, v128, v36, vcc_lo
	v_cmp_eq_u32_e32 vcc_lo, 3, v126
	v_cndmask_b32_e32 v128, v128, v37, vcc_lo
	v_cmp_eq_u32_e32 vcc_lo, 4, v126
	s_delay_alu instid0(VALU_DEP_2) | instskip(SKIP_1) | instid1(VALU_DEP_2)
	v_cndmask_b32_e32 v128, v128, v38, vcc_lo
	v_cmp_eq_u32_e32 vcc_lo, 5, v126
	;; [unrolled: 5-line block ×13, first 2 shown]
	v_cndmask_b32_e32 v128, v128, v61, vcc_lo
	v_cmp_eq_u32_e32 vcc_lo, 28, v126
	s_delay_alu instid0(VALU_DEP_2) | instskip(SKIP_2) | instid1(VALU_DEP_3)
	v_cndmask_b32_e32 v128, v128, v62, vcc_lo
	v_cmp_eq_u32_e32 vcc_lo, 29, v126
	v_add_nc_u64_e32 v[126:127], 1, v[126:127]
	v_cndmask_b32_e32 v128, v128, v63, vcc_lo
	v_cmp_eq_u32_e32 vcc_lo, 0, v64
	s_wait_dscnt 0x0
	s_delay_alu instid0(VALU_DEP_2) | instskip(SKIP_1) | instid1(SALU_CYCLE_1)
	v_fmac_f32_e32 v130, v128, v131
	s_or_b32 s2, vcc_lo, s2
	s_and_not1_b32 exec_lo, exec_lo, s2
	s_cbranch_execnz .LBB93_237
; %bb.238:
	s_or_b32 exec_lo, exec_lo, s2
.LBB93_239:
	s_delay_alu instid0(SALU_CYCLE_1)
	s_or_b32 exec_lo, exec_lo, s0
.LBB93_240:
	s_delay_alu instid0(SALU_CYCLE_1)
	s_or_b32 exec_lo, exec_lo, s5
	v_mov_b32_e32 v47, 0
	ds_load_b32 v47, v47 offset:52
	s_wait_dscnt 0x0
	v_mul_f32_e32 v47, v130, v47
.LBB93_241:
	s_or_b32 exec_lo, exec_lo, s4
	v_cmp_lt_u32_e64 s0, 12, v0
	ds_store_b32 v129, v46
	s_wait_dscnt 0x0
	s_barrier_signal -1
	s_barrier_wait -1
	s_and_saveexec_b32 s4, s0
	s_cbranch_execz .LBB93_257
; %bb.242:
	s_and_not1_b32 vcc_lo, exec_lo, s33
	s_cbranch_vccnz .LBB93_244
; %bb.243:
	v_cmp_eq_u32_e32 vcc_lo, 1, v0
	ds_load_b32 v127, v129
	v_cndmask_b32_e32 v126, v34, v35, vcc_lo
	v_cmp_eq_u32_e32 vcc_lo, 2, v0
	s_delay_alu instid0(VALU_DEP_2) | instskip(SKIP_1) | instid1(VALU_DEP_2)
	v_cndmask_b32_e32 v126, v126, v36, vcc_lo
	v_cmp_eq_u32_e32 vcc_lo, 3, v0
	v_cndmask_b32_e32 v126, v126, v37, vcc_lo
	v_cmp_eq_u32_e32 vcc_lo, 4, v0
	s_delay_alu instid0(VALU_DEP_2) | instskip(SKIP_1) | instid1(VALU_DEP_2)
	v_cndmask_b32_e32 v126, v126, v38, vcc_lo
	v_cmp_eq_u32_e32 vcc_lo, 5, v0
	;; [unrolled: 5-line block ×14, first 2 shown]
	v_cndmask_b32_e32 v126, v126, v63, vcc_lo
	s_wait_dscnt 0x0
	s_delay_alu instid0(VALU_DEP_1)
	v_mul_f32_e32 v130, v126, v127
	s_cbranch_execz .LBB93_245
	s_branch .LBB93_246
.LBB93_244:
                                        ; implicit-def: $vgpr130
.LBB93_245:
	ds_load_b32 v130, v129
.LBB93_246:
	s_and_saveexec_b32 s5, s1
	s_cbranch_execz .LBB93_256
; %bb.247:
	v_dual_add_nc_u32 v126, -14, v0 :: v_dual_add_nc_u32 v127, -13, v0
	s_delay_alu instid0(VALU_DEP_1)
	v_cmp_lt_u32_e32 vcc_lo, 6, v126
	v_mov_b32_e32 v126, 13
	s_and_saveexec_b32 s1, vcc_lo
	s_cbranch_execz .LBB93_251
; %bb.248:
	v_and_b32_e32 v126, -8, v127
	s_mov_b32 s6, 0
	s_mov_b64 s[2:3], 20
	s_movk_i32 s7, 0xb4
	s_delay_alu instid0(VALU_DEP_1)
	v_sub_nc_u32_e32 v128, 0, v126
.LBB93_249:                             ; =>This Inner Loop Header: Depth=1
	s_add_co_i32 m0, s2, -7
	v_movrels_b32_e32 v131, v34
	v_mov_b32_e32 v126, s7
	s_add_co_i32 m0, s2, -6
	s_add_co_i32 s7, s7, 32
	v_movrels_b32_e32 v140, v34
	ds_load_2addr_b32 v[132:133], v126 offset1:1
	ds_load_2addr_b32 v[134:135], v126 offset0:2 offset1:3
	s_add_co_i32 m0, s2, -5
	s_wait_dscnt 0x1
	v_fmac_f32_e32 v130, v131, v132
	ds_load_2addr_b32 v[136:137], v126 offset0:4 offset1:5
	ds_load_2addr_b32 v[138:139], v126 offset0:6 offset1:7
	v_movrels_b32_e32 v126, v34
	s_add_co_i32 m0, s2, -4
	v_fmac_f32_e32 v130, v140, v133
	v_movrels_b32_e32 v131, v34
	s_add_co_i32 m0, s2, -3
	s_wait_dscnt 0x2
	s_delay_alu instid0(VALU_DEP_2) | instskip(SKIP_2) | instid1(VALU_DEP_2)
	v_fmac_f32_e32 v130, v126, v134
	v_movrels_b32_e32 v126, v34
	s_add_co_i32 m0, s2, -2
	v_fmac_f32_e32 v130, v131, v135
	v_movrels_b32_e32 v131, v34
	s_add_co_i32 m0, s2, -1
	s_wait_dscnt 0x1
	s_delay_alu instid0(VALU_DEP_2)
	v_fmac_f32_e32 v130, v126, v136
	v_movrels_b32_e32 v126, v34
	s_mov_b32 m0, s2
	s_add_nc_u64 s[2:3], s[2:3], 8
	v_movrels_b32_e32 v132, v34
	v_dual_fmac_f32 v130, v131, v137 :: v_dual_add_nc_u32 v131, s2, v128
	s_add_co_i32 s8, s2, -7
	s_wait_dscnt 0x0
	s_delay_alu instid0(VALU_DEP_1) | instskip(NEXT) | instid1(VALU_DEP_2)
	v_fmac_f32_e32 v130, v126, v138
	v_cmp_eq_u32_e32 vcc_lo, 20, v131
	s_delay_alu instid0(VALU_DEP_2) | instskip(SKIP_1) | instid1(SALU_CYCLE_1)
	v_dual_mov_b32 v126, s8 :: v_dual_fmac_f32 v130, v132, v139
	s_or_b32 s6, vcc_lo, s6
	s_and_not1_b32 exec_lo, exec_lo, s6
	s_cbranch_execnz .LBB93_249
; %bb.250:
	s_or_b32 exec_lo, exec_lo, s6
.LBB93_251:
	s_delay_alu instid0(SALU_CYCLE_1) | instskip(SKIP_3) | instid1(VALU_DEP_1)
	s_or_b32 exec_lo, exec_lo, s1
	v_and_b32_e32 v64, 7, v127
	s_mov_b32 s2, 0
	s_mov_b32 s1, exec_lo
	v_cmpx_ne_u32_e32 0, v64
	s_cbranch_execz .LBB93_255
; %bb.252:
	v_lshl_add_u32 v65, v126, 2, 0x80
	v_mov_b32_e32 v127, 0
.LBB93_253:                             ; =>This Inner Loop Header: Depth=1
	v_cmp_eq_u32_e32 vcc_lo, 1, v126
	ds_load_b32 v131, v65
	v_dual_add_nc_u32 v64, -1, v64 :: v_dual_add_nc_u32 v65, 4, v65
	v_cndmask_b32_e32 v128, v34, v35, vcc_lo
	v_cmp_eq_u32_e32 vcc_lo, 2, v126
	s_delay_alu instid0(VALU_DEP_2) | instskip(SKIP_1) | instid1(VALU_DEP_2)
	v_cndmask_b32_e32 v128, v128, v36, vcc_lo
	v_cmp_eq_u32_e32 vcc_lo, 3, v126
	v_cndmask_b32_e32 v128, v128, v37, vcc_lo
	v_cmp_eq_u32_e32 vcc_lo, 4, v126
	s_delay_alu instid0(VALU_DEP_2) | instskip(SKIP_1) | instid1(VALU_DEP_2)
	v_cndmask_b32_e32 v128, v128, v38, vcc_lo
	v_cmp_eq_u32_e32 vcc_lo, 5, v126
	;; [unrolled: 5-line block ×13, first 2 shown]
	v_cndmask_b32_e32 v128, v128, v61, vcc_lo
	v_cmp_eq_u32_e32 vcc_lo, 28, v126
	s_delay_alu instid0(VALU_DEP_2) | instskip(SKIP_2) | instid1(VALU_DEP_3)
	v_cndmask_b32_e32 v128, v128, v62, vcc_lo
	v_cmp_eq_u32_e32 vcc_lo, 29, v126
	v_add_nc_u64_e32 v[126:127], 1, v[126:127]
	v_cndmask_b32_e32 v128, v128, v63, vcc_lo
	v_cmp_eq_u32_e32 vcc_lo, 0, v64
	s_wait_dscnt 0x0
	s_delay_alu instid0(VALU_DEP_2) | instskip(SKIP_1) | instid1(SALU_CYCLE_1)
	v_fmac_f32_e32 v130, v128, v131
	s_or_b32 s2, vcc_lo, s2
	s_and_not1_b32 exec_lo, exec_lo, s2
	s_cbranch_execnz .LBB93_253
; %bb.254:
	s_or_b32 exec_lo, exec_lo, s2
.LBB93_255:
	s_delay_alu instid0(SALU_CYCLE_1)
	s_or_b32 exec_lo, exec_lo, s1
.LBB93_256:
	s_delay_alu instid0(SALU_CYCLE_1)
	s_or_b32 exec_lo, exec_lo, s5
	v_mov_b32_e32 v46, 0
	ds_load_b32 v46, v46 offset:48
	s_wait_dscnt 0x0
	v_mul_f32_e32 v46, v130, v46
.LBB93_257:
	s_or_b32 exec_lo, exec_lo, s4
	v_cmp_lt_u32_e64 s1, 11, v0
	ds_store_b32 v129, v45
	s_wait_dscnt 0x0
	s_barrier_signal -1
	s_barrier_wait -1
	s_and_saveexec_b32 s4, s1
	s_cbranch_execz .LBB93_273
; %bb.258:
	s_and_not1_b32 vcc_lo, exec_lo, s33
	s_cbranch_vccnz .LBB93_260
; %bb.259:
	v_cmp_eq_u32_e32 vcc_lo, 1, v0
	ds_load_b32 v127, v129
	v_cndmask_b32_e32 v126, v34, v35, vcc_lo
	v_cmp_eq_u32_e32 vcc_lo, 2, v0
	s_delay_alu instid0(VALU_DEP_2) | instskip(SKIP_1) | instid1(VALU_DEP_2)
	v_cndmask_b32_e32 v126, v126, v36, vcc_lo
	v_cmp_eq_u32_e32 vcc_lo, 3, v0
	v_cndmask_b32_e32 v126, v126, v37, vcc_lo
	v_cmp_eq_u32_e32 vcc_lo, 4, v0
	s_delay_alu instid0(VALU_DEP_2) | instskip(SKIP_1) | instid1(VALU_DEP_2)
	v_cndmask_b32_e32 v126, v126, v38, vcc_lo
	v_cmp_eq_u32_e32 vcc_lo, 5, v0
	;; [unrolled: 5-line block ×14, first 2 shown]
	v_cndmask_b32_e32 v126, v126, v63, vcc_lo
	s_wait_dscnt 0x0
	s_delay_alu instid0(VALU_DEP_1)
	v_mul_f32_e32 v130, v126, v127
	s_cbranch_execz .LBB93_261
	s_branch .LBB93_262
.LBB93_260:
                                        ; implicit-def: $vgpr130
.LBB93_261:
	ds_load_b32 v130, v129
.LBB93_262:
	s_and_saveexec_b32 s5, s0
	s_cbranch_execz .LBB93_272
; %bb.263:
	v_dual_add_nc_u32 v126, -13, v0 :: v_dual_add_nc_u32 v127, -12, v0
	s_delay_alu instid0(VALU_DEP_1)
	v_cmp_lt_u32_e32 vcc_lo, 6, v126
	v_mov_b32_e32 v126, 12
	s_and_saveexec_b32 s0, vcc_lo
	s_cbranch_execz .LBB93_267
; %bb.264:
	v_and_b32_e32 v126, -8, v127
	s_mov_b32 s6, 0
	s_mov_b64 s[2:3], 19
	s_movk_i32 s7, 0xb0
	s_delay_alu instid0(VALU_DEP_1)
	v_sub_nc_u32_e32 v128, 0, v126
.LBB93_265:                             ; =>This Inner Loop Header: Depth=1
	s_add_co_i32 m0, s2, -7
	v_movrels_b32_e32 v131, v34
	v_mov_b32_e32 v126, s7
	s_add_co_i32 m0, s2, -6
	s_add_co_i32 s7, s7, 32
	v_movrels_b32_e32 v140, v34
	s_add_co_i32 m0, s2, -5
	ds_load_b128 v[132:135], v126
	ds_load_b128 v[136:139], v126 offset:16
	v_movrels_b32_e32 v126, v34
	s_add_co_i32 m0, s2, -4
	s_wait_dscnt 0x1
	v_fmac_f32_e32 v130, v131, v132
	v_movrels_b32_e32 v131, v34
	s_add_co_i32 m0, s2, -3
	s_delay_alu instid0(VALU_DEP_2) | instskip(NEXT) | instid1(VALU_DEP_1)
	v_fmac_f32_e32 v130, v140, v133
	v_fmac_f32_e32 v130, v126, v134
	v_movrels_b32_e32 v126, v34
	s_add_co_i32 m0, s2, -2
	s_delay_alu instid0(VALU_DEP_2) | instskip(SKIP_3) | instid1(VALU_DEP_2)
	v_fmac_f32_e32 v130, v131, v135
	v_movrels_b32_e32 v131, v34
	s_add_co_i32 m0, s2, -1
	s_wait_dscnt 0x0
	v_fmac_f32_e32 v130, v126, v136
	v_movrels_b32_e32 v126, v34
	s_mov_b32 m0, s2
	s_add_nc_u64 s[2:3], s[2:3], 8
	v_movrels_b32_e32 v132, v34
	v_dual_fmac_f32 v130, v131, v137 :: v_dual_add_nc_u32 v131, s2, v128
	s_add_co_i32 s8, s2, -7
	s_delay_alu instid0(VALU_DEP_1) | instskip(NEXT) | instid1(VALU_DEP_2)
	v_fmac_f32_e32 v130, v126, v138
	v_cmp_eq_u32_e32 vcc_lo, 19, v131
	s_delay_alu instid0(VALU_DEP_2) | instskip(SKIP_1) | instid1(SALU_CYCLE_1)
	v_dual_mov_b32 v126, s8 :: v_dual_fmac_f32 v130, v132, v139
	s_or_b32 s6, vcc_lo, s6
	s_and_not1_b32 exec_lo, exec_lo, s6
	s_cbranch_execnz .LBB93_265
; %bb.266:
	s_or_b32 exec_lo, exec_lo, s6
.LBB93_267:
	s_delay_alu instid0(SALU_CYCLE_1) | instskip(SKIP_3) | instid1(VALU_DEP_1)
	s_or_b32 exec_lo, exec_lo, s0
	v_and_b32_e32 v64, 7, v127
	s_mov_b32 s2, 0
	s_mov_b32 s0, exec_lo
	v_cmpx_ne_u32_e32 0, v64
	s_cbranch_execz .LBB93_271
; %bb.268:
	v_lshl_add_u32 v65, v126, 2, 0x80
	v_mov_b32_e32 v127, 0
.LBB93_269:                             ; =>This Inner Loop Header: Depth=1
	v_cmp_eq_u32_e32 vcc_lo, 1, v126
	ds_load_b32 v131, v65
	v_dual_add_nc_u32 v64, -1, v64 :: v_dual_add_nc_u32 v65, 4, v65
	v_cndmask_b32_e32 v128, v34, v35, vcc_lo
	v_cmp_eq_u32_e32 vcc_lo, 2, v126
	s_delay_alu instid0(VALU_DEP_2) | instskip(SKIP_1) | instid1(VALU_DEP_2)
	v_cndmask_b32_e32 v128, v128, v36, vcc_lo
	v_cmp_eq_u32_e32 vcc_lo, 3, v126
	v_cndmask_b32_e32 v128, v128, v37, vcc_lo
	v_cmp_eq_u32_e32 vcc_lo, 4, v126
	s_delay_alu instid0(VALU_DEP_2) | instskip(SKIP_1) | instid1(VALU_DEP_2)
	v_cndmask_b32_e32 v128, v128, v38, vcc_lo
	v_cmp_eq_u32_e32 vcc_lo, 5, v126
	;; [unrolled: 5-line block ×13, first 2 shown]
	v_cndmask_b32_e32 v128, v128, v61, vcc_lo
	v_cmp_eq_u32_e32 vcc_lo, 28, v126
	s_delay_alu instid0(VALU_DEP_2) | instskip(SKIP_2) | instid1(VALU_DEP_3)
	v_cndmask_b32_e32 v128, v128, v62, vcc_lo
	v_cmp_eq_u32_e32 vcc_lo, 29, v126
	v_add_nc_u64_e32 v[126:127], 1, v[126:127]
	v_cndmask_b32_e32 v128, v128, v63, vcc_lo
	v_cmp_eq_u32_e32 vcc_lo, 0, v64
	s_wait_dscnt 0x0
	s_delay_alu instid0(VALU_DEP_2) | instskip(SKIP_1) | instid1(SALU_CYCLE_1)
	v_fmac_f32_e32 v130, v128, v131
	s_or_b32 s2, vcc_lo, s2
	s_and_not1_b32 exec_lo, exec_lo, s2
	s_cbranch_execnz .LBB93_269
; %bb.270:
	s_or_b32 exec_lo, exec_lo, s2
.LBB93_271:
	s_delay_alu instid0(SALU_CYCLE_1)
	s_or_b32 exec_lo, exec_lo, s0
.LBB93_272:
	s_delay_alu instid0(SALU_CYCLE_1)
	s_or_b32 exec_lo, exec_lo, s5
	v_mov_b32_e32 v45, 0
	ds_load_b32 v45, v45 offset:44
	s_wait_dscnt 0x0
	v_mul_f32_e32 v45, v130, v45
.LBB93_273:
	s_or_b32 exec_lo, exec_lo, s4
	v_cmp_lt_u32_e64 s0, 10, v0
	ds_store_b32 v129, v44
	s_wait_dscnt 0x0
	s_barrier_signal -1
	s_barrier_wait -1
	s_and_saveexec_b32 s4, s0
	s_cbranch_execz .LBB93_289
; %bb.274:
	s_and_not1_b32 vcc_lo, exec_lo, s33
	s_cbranch_vccnz .LBB93_276
; %bb.275:
	v_cmp_eq_u32_e32 vcc_lo, 1, v0
	ds_load_b32 v127, v129
	v_cndmask_b32_e32 v126, v34, v35, vcc_lo
	v_cmp_eq_u32_e32 vcc_lo, 2, v0
	s_delay_alu instid0(VALU_DEP_2) | instskip(SKIP_1) | instid1(VALU_DEP_2)
	v_cndmask_b32_e32 v126, v126, v36, vcc_lo
	v_cmp_eq_u32_e32 vcc_lo, 3, v0
	v_cndmask_b32_e32 v126, v126, v37, vcc_lo
	v_cmp_eq_u32_e32 vcc_lo, 4, v0
	s_delay_alu instid0(VALU_DEP_2) | instskip(SKIP_1) | instid1(VALU_DEP_2)
	v_cndmask_b32_e32 v126, v126, v38, vcc_lo
	v_cmp_eq_u32_e32 vcc_lo, 5, v0
	;; [unrolled: 5-line block ×14, first 2 shown]
	v_cndmask_b32_e32 v126, v126, v63, vcc_lo
	s_wait_dscnt 0x0
	s_delay_alu instid0(VALU_DEP_1)
	v_mul_f32_e32 v130, v126, v127
	s_cbranch_execz .LBB93_277
	s_branch .LBB93_278
.LBB93_276:
                                        ; implicit-def: $vgpr130
.LBB93_277:
	ds_load_b32 v130, v129
.LBB93_278:
	s_and_saveexec_b32 s5, s1
	s_cbranch_execz .LBB93_288
; %bb.279:
	v_dual_add_nc_u32 v126, -12, v0 :: v_dual_add_nc_u32 v127, -11, v0
	s_delay_alu instid0(VALU_DEP_1)
	v_cmp_lt_u32_e32 vcc_lo, 6, v126
	v_mov_b32_e32 v126, 11
	s_and_saveexec_b32 s1, vcc_lo
	s_cbranch_execz .LBB93_283
; %bb.280:
	v_and_b32_e32 v126, -8, v127
	s_mov_b32 s6, 0
	s_mov_b64 s[2:3], 18
	s_movk_i32 s7, 0xac
	s_delay_alu instid0(VALU_DEP_1)
	v_sub_nc_u32_e32 v128, 0, v126
.LBB93_281:                             ; =>This Inner Loop Header: Depth=1
	s_add_co_i32 m0, s2, -7
	v_movrels_b32_e32 v131, v34
	v_mov_b32_e32 v126, s7
	s_add_co_i32 m0, s2, -6
	s_add_co_i32 s7, s7, 32
	v_movrels_b32_e32 v140, v34
	ds_load_2addr_b32 v[132:133], v126 offset1:1
	ds_load_2addr_b32 v[134:135], v126 offset0:2 offset1:3
	s_add_co_i32 m0, s2, -5
	s_wait_dscnt 0x1
	v_fmac_f32_e32 v130, v131, v132
	ds_load_2addr_b32 v[136:137], v126 offset0:4 offset1:5
	ds_load_2addr_b32 v[138:139], v126 offset0:6 offset1:7
	v_movrels_b32_e32 v126, v34
	s_add_co_i32 m0, s2, -4
	v_fmac_f32_e32 v130, v140, v133
	v_movrels_b32_e32 v131, v34
	s_add_co_i32 m0, s2, -3
	s_wait_dscnt 0x2
	s_delay_alu instid0(VALU_DEP_2) | instskip(SKIP_2) | instid1(VALU_DEP_2)
	v_fmac_f32_e32 v130, v126, v134
	v_movrels_b32_e32 v126, v34
	s_add_co_i32 m0, s2, -2
	v_fmac_f32_e32 v130, v131, v135
	v_movrels_b32_e32 v131, v34
	s_add_co_i32 m0, s2, -1
	s_wait_dscnt 0x1
	s_delay_alu instid0(VALU_DEP_2)
	v_fmac_f32_e32 v130, v126, v136
	v_movrels_b32_e32 v126, v34
	s_mov_b32 m0, s2
	s_add_nc_u64 s[2:3], s[2:3], 8
	v_movrels_b32_e32 v132, v34
	v_dual_fmac_f32 v130, v131, v137 :: v_dual_add_nc_u32 v131, s2, v128
	s_add_co_i32 s8, s2, -7
	s_wait_dscnt 0x0
	s_delay_alu instid0(VALU_DEP_1) | instskip(NEXT) | instid1(VALU_DEP_2)
	v_fmac_f32_e32 v130, v126, v138
	v_cmp_eq_u32_e32 vcc_lo, 18, v131
	s_delay_alu instid0(VALU_DEP_2) | instskip(SKIP_1) | instid1(SALU_CYCLE_1)
	v_dual_mov_b32 v126, s8 :: v_dual_fmac_f32 v130, v132, v139
	s_or_b32 s6, vcc_lo, s6
	s_and_not1_b32 exec_lo, exec_lo, s6
	s_cbranch_execnz .LBB93_281
; %bb.282:
	s_or_b32 exec_lo, exec_lo, s6
.LBB93_283:
	s_delay_alu instid0(SALU_CYCLE_1) | instskip(SKIP_3) | instid1(VALU_DEP_1)
	s_or_b32 exec_lo, exec_lo, s1
	v_and_b32_e32 v64, 7, v127
	s_mov_b32 s2, 0
	s_mov_b32 s1, exec_lo
	v_cmpx_ne_u32_e32 0, v64
	s_cbranch_execz .LBB93_287
; %bb.284:
	v_lshl_add_u32 v65, v126, 2, 0x80
	v_mov_b32_e32 v127, 0
.LBB93_285:                             ; =>This Inner Loop Header: Depth=1
	v_cmp_eq_u32_e32 vcc_lo, 1, v126
	ds_load_b32 v131, v65
	v_dual_add_nc_u32 v64, -1, v64 :: v_dual_add_nc_u32 v65, 4, v65
	v_cndmask_b32_e32 v128, v34, v35, vcc_lo
	v_cmp_eq_u32_e32 vcc_lo, 2, v126
	s_delay_alu instid0(VALU_DEP_2) | instskip(SKIP_1) | instid1(VALU_DEP_2)
	v_cndmask_b32_e32 v128, v128, v36, vcc_lo
	v_cmp_eq_u32_e32 vcc_lo, 3, v126
	v_cndmask_b32_e32 v128, v128, v37, vcc_lo
	v_cmp_eq_u32_e32 vcc_lo, 4, v126
	s_delay_alu instid0(VALU_DEP_2) | instskip(SKIP_1) | instid1(VALU_DEP_2)
	v_cndmask_b32_e32 v128, v128, v38, vcc_lo
	v_cmp_eq_u32_e32 vcc_lo, 5, v126
	;; [unrolled: 5-line block ×13, first 2 shown]
	v_cndmask_b32_e32 v128, v128, v61, vcc_lo
	v_cmp_eq_u32_e32 vcc_lo, 28, v126
	s_delay_alu instid0(VALU_DEP_2) | instskip(SKIP_2) | instid1(VALU_DEP_3)
	v_cndmask_b32_e32 v128, v128, v62, vcc_lo
	v_cmp_eq_u32_e32 vcc_lo, 29, v126
	v_add_nc_u64_e32 v[126:127], 1, v[126:127]
	v_cndmask_b32_e32 v128, v128, v63, vcc_lo
	v_cmp_eq_u32_e32 vcc_lo, 0, v64
	s_wait_dscnt 0x0
	s_delay_alu instid0(VALU_DEP_2) | instskip(SKIP_1) | instid1(SALU_CYCLE_1)
	v_fmac_f32_e32 v130, v128, v131
	s_or_b32 s2, vcc_lo, s2
	s_and_not1_b32 exec_lo, exec_lo, s2
	s_cbranch_execnz .LBB93_285
; %bb.286:
	s_or_b32 exec_lo, exec_lo, s2
.LBB93_287:
	s_delay_alu instid0(SALU_CYCLE_1)
	s_or_b32 exec_lo, exec_lo, s1
.LBB93_288:
	s_delay_alu instid0(SALU_CYCLE_1)
	s_or_b32 exec_lo, exec_lo, s5
	v_mov_b32_e32 v44, 0
	ds_load_b32 v44, v44 offset:40
	s_wait_dscnt 0x0
	v_mul_f32_e32 v44, v130, v44
.LBB93_289:
	s_or_b32 exec_lo, exec_lo, s4
	v_cmp_lt_u32_e64 s1, 9, v0
	ds_store_b32 v129, v43
	s_wait_dscnt 0x0
	s_barrier_signal -1
	s_barrier_wait -1
	s_and_saveexec_b32 s4, s1
	s_cbranch_execz .LBB93_305
; %bb.290:
	s_and_not1_b32 vcc_lo, exec_lo, s33
	s_cbranch_vccnz .LBB93_292
; %bb.291:
	v_cmp_eq_u32_e32 vcc_lo, 1, v0
	ds_load_b32 v127, v129
	v_cndmask_b32_e32 v126, v34, v35, vcc_lo
	v_cmp_eq_u32_e32 vcc_lo, 2, v0
	s_delay_alu instid0(VALU_DEP_2) | instskip(SKIP_1) | instid1(VALU_DEP_2)
	v_cndmask_b32_e32 v126, v126, v36, vcc_lo
	v_cmp_eq_u32_e32 vcc_lo, 3, v0
	v_cndmask_b32_e32 v126, v126, v37, vcc_lo
	v_cmp_eq_u32_e32 vcc_lo, 4, v0
	s_delay_alu instid0(VALU_DEP_2) | instskip(SKIP_1) | instid1(VALU_DEP_2)
	v_cndmask_b32_e32 v126, v126, v38, vcc_lo
	v_cmp_eq_u32_e32 vcc_lo, 5, v0
	;; [unrolled: 5-line block ×14, first 2 shown]
	v_cndmask_b32_e32 v126, v126, v63, vcc_lo
	s_wait_dscnt 0x0
	s_delay_alu instid0(VALU_DEP_1)
	v_mul_f32_e32 v130, v126, v127
	s_cbranch_execz .LBB93_293
	s_branch .LBB93_294
.LBB93_292:
                                        ; implicit-def: $vgpr130
.LBB93_293:
	ds_load_b32 v130, v129
.LBB93_294:
	s_and_saveexec_b32 s5, s0
	s_cbranch_execz .LBB93_304
; %bb.295:
	v_dual_add_nc_u32 v126, -11, v0 :: v_dual_add_nc_u32 v127, -10, v0
	s_delay_alu instid0(VALU_DEP_1)
	v_cmp_lt_u32_e32 vcc_lo, 6, v126
	v_mov_b32_e32 v126, 10
	s_and_saveexec_b32 s0, vcc_lo
	s_cbranch_execz .LBB93_299
; %bb.296:
	v_and_b32_e32 v126, -8, v127
	s_mov_b32 s6, 0
	s_mov_b64 s[2:3], 17
	s_movk_i32 s7, 0xa8
	s_delay_alu instid0(VALU_DEP_1)
	v_sub_nc_u32_e32 v128, 0, v126
.LBB93_297:                             ; =>This Inner Loop Header: Depth=1
	s_add_co_i32 m0, s2, -7
	v_movrels_b32_e32 v131, v34
	v_mov_b32_e32 v126, s7
	s_add_co_i32 m0, s2, -6
	s_add_co_i32 s7, s7, 32
	v_movrels_b32_e32 v140, v34
	s_add_co_i32 m0, s2, -5
	ds_load_2addr_b64 v[132:135], v126 offset1:1
	ds_load_2addr_b64 v[136:139], v126 offset0:2 offset1:3
	v_movrels_b32_e32 v126, v34
	s_add_co_i32 m0, s2, -4
	s_wait_dscnt 0x1
	v_fmac_f32_e32 v130, v131, v132
	v_movrels_b32_e32 v131, v34
	s_add_co_i32 m0, s2, -3
	s_delay_alu instid0(VALU_DEP_2) | instskip(NEXT) | instid1(VALU_DEP_1)
	v_fmac_f32_e32 v130, v140, v133
	v_fmac_f32_e32 v130, v126, v134
	v_movrels_b32_e32 v126, v34
	s_add_co_i32 m0, s2, -2
	s_delay_alu instid0(VALU_DEP_2) | instskip(SKIP_3) | instid1(VALU_DEP_2)
	v_fmac_f32_e32 v130, v131, v135
	v_movrels_b32_e32 v131, v34
	s_add_co_i32 m0, s2, -1
	s_wait_dscnt 0x0
	v_fmac_f32_e32 v130, v126, v136
	v_movrels_b32_e32 v126, v34
	s_mov_b32 m0, s2
	s_add_nc_u64 s[2:3], s[2:3], 8
	v_movrels_b32_e32 v132, v34
	v_dual_fmac_f32 v130, v131, v137 :: v_dual_add_nc_u32 v131, s2, v128
	s_add_co_i32 s8, s2, -7
	s_delay_alu instid0(VALU_DEP_1) | instskip(NEXT) | instid1(VALU_DEP_2)
	v_fmac_f32_e32 v130, v126, v138
	v_cmp_eq_u32_e32 vcc_lo, 17, v131
	s_delay_alu instid0(VALU_DEP_2) | instskip(SKIP_1) | instid1(SALU_CYCLE_1)
	v_dual_mov_b32 v126, s8 :: v_dual_fmac_f32 v130, v132, v139
	s_or_b32 s6, vcc_lo, s6
	s_and_not1_b32 exec_lo, exec_lo, s6
	s_cbranch_execnz .LBB93_297
; %bb.298:
	s_or_b32 exec_lo, exec_lo, s6
.LBB93_299:
	s_delay_alu instid0(SALU_CYCLE_1) | instskip(SKIP_3) | instid1(VALU_DEP_1)
	s_or_b32 exec_lo, exec_lo, s0
	v_and_b32_e32 v64, 7, v127
	s_mov_b32 s2, 0
	s_mov_b32 s0, exec_lo
	v_cmpx_ne_u32_e32 0, v64
	s_cbranch_execz .LBB93_303
; %bb.300:
	v_lshl_add_u32 v65, v126, 2, 0x80
	v_mov_b32_e32 v127, 0
.LBB93_301:                             ; =>This Inner Loop Header: Depth=1
	v_cmp_eq_u32_e32 vcc_lo, 1, v126
	ds_load_b32 v131, v65
	v_dual_add_nc_u32 v64, -1, v64 :: v_dual_add_nc_u32 v65, 4, v65
	v_cndmask_b32_e32 v128, v34, v35, vcc_lo
	v_cmp_eq_u32_e32 vcc_lo, 2, v126
	s_delay_alu instid0(VALU_DEP_2) | instskip(SKIP_1) | instid1(VALU_DEP_2)
	v_cndmask_b32_e32 v128, v128, v36, vcc_lo
	v_cmp_eq_u32_e32 vcc_lo, 3, v126
	v_cndmask_b32_e32 v128, v128, v37, vcc_lo
	v_cmp_eq_u32_e32 vcc_lo, 4, v126
	s_delay_alu instid0(VALU_DEP_2) | instskip(SKIP_1) | instid1(VALU_DEP_2)
	v_cndmask_b32_e32 v128, v128, v38, vcc_lo
	v_cmp_eq_u32_e32 vcc_lo, 5, v126
	v_cndmask_b32_e32 v128, v128, v39, vcc_lo
	v_cmp_eq_u32_e32 vcc_lo, 6, v126
	s_delay_alu instid0(VALU_DEP_2) | instskip(SKIP_1) | instid1(VALU_DEP_2)
	v_cndmask_b32_e32 v128, v128, v40, vcc_lo
	v_cmp_eq_u32_e32 vcc_lo, 7, v126
	v_cndmask_b32_e32 v128, v128, v41, vcc_lo
	v_cmp_eq_u32_e32 vcc_lo, 8, v126
	s_delay_alu instid0(VALU_DEP_2) | instskip(SKIP_1) | instid1(VALU_DEP_2)
	v_cndmask_b32_e32 v128, v128, v42, vcc_lo
	v_cmp_eq_u32_e32 vcc_lo, 9, v126
	v_cndmask_b32_e32 v128, v128, v43, vcc_lo
	v_cmp_eq_u32_e32 vcc_lo, 10, v126
	s_delay_alu instid0(VALU_DEP_2) | instskip(SKIP_1) | instid1(VALU_DEP_2)
	v_cndmask_b32_e32 v128, v128, v44, vcc_lo
	v_cmp_eq_u32_e32 vcc_lo, 11, v126
	v_cndmask_b32_e32 v128, v128, v45, vcc_lo
	v_cmp_eq_u32_e32 vcc_lo, 12, v126
	s_delay_alu instid0(VALU_DEP_2) | instskip(SKIP_1) | instid1(VALU_DEP_2)
	v_cndmask_b32_e32 v128, v128, v46, vcc_lo
	v_cmp_eq_u32_e32 vcc_lo, 13, v126
	v_cndmask_b32_e32 v128, v128, v47, vcc_lo
	v_cmp_eq_u32_e32 vcc_lo, 14, v126
	s_delay_alu instid0(VALU_DEP_2) | instskip(SKIP_1) | instid1(VALU_DEP_2)
	v_cndmask_b32_e32 v128, v128, v48, vcc_lo
	v_cmp_eq_u32_e32 vcc_lo, 15, v126
	v_cndmask_b32_e32 v128, v128, v49, vcc_lo
	v_cmp_eq_u32_e32 vcc_lo, 16, v126
	s_delay_alu instid0(VALU_DEP_2) | instskip(SKIP_1) | instid1(VALU_DEP_2)
	v_cndmask_b32_e32 v128, v128, v50, vcc_lo
	v_cmp_eq_u32_e32 vcc_lo, 17, v126
	v_cndmask_b32_e32 v128, v128, v51, vcc_lo
	v_cmp_eq_u32_e32 vcc_lo, 18, v126
	s_delay_alu instid0(VALU_DEP_2) | instskip(SKIP_1) | instid1(VALU_DEP_2)
	v_cndmask_b32_e32 v128, v128, v52, vcc_lo
	v_cmp_eq_u32_e32 vcc_lo, 19, v126
	v_cndmask_b32_e32 v128, v128, v53, vcc_lo
	v_cmp_eq_u32_e32 vcc_lo, 20, v126
	s_delay_alu instid0(VALU_DEP_2) | instskip(SKIP_1) | instid1(VALU_DEP_2)
	v_cndmask_b32_e32 v128, v128, v54, vcc_lo
	v_cmp_eq_u32_e32 vcc_lo, 21, v126
	v_cndmask_b32_e32 v128, v128, v55, vcc_lo
	v_cmp_eq_u32_e32 vcc_lo, 22, v126
	s_delay_alu instid0(VALU_DEP_2) | instskip(SKIP_1) | instid1(VALU_DEP_2)
	v_cndmask_b32_e32 v128, v128, v56, vcc_lo
	v_cmp_eq_u32_e32 vcc_lo, 23, v126
	v_cndmask_b32_e32 v128, v128, v57, vcc_lo
	v_cmp_eq_u32_e32 vcc_lo, 24, v126
	s_delay_alu instid0(VALU_DEP_2) | instskip(SKIP_1) | instid1(VALU_DEP_2)
	v_cndmask_b32_e32 v128, v128, v58, vcc_lo
	v_cmp_eq_u32_e32 vcc_lo, 25, v126
	v_cndmask_b32_e32 v128, v128, v59, vcc_lo
	v_cmp_eq_u32_e32 vcc_lo, 26, v126
	s_delay_alu instid0(VALU_DEP_2) | instskip(SKIP_1) | instid1(VALU_DEP_2)
	v_cndmask_b32_e32 v128, v128, v60, vcc_lo
	v_cmp_eq_u32_e32 vcc_lo, 27, v126
	v_cndmask_b32_e32 v128, v128, v61, vcc_lo
	v_cmp_eq_u32_e32 vcc_lo, 28, v126
	s_delay_alu instid0(VALU_DEP_2) | instskip(SKIP_2) | instid1(VALU_DEP_3)
	v_cndmask_b32_e32 v128, v128, v62, vcc_lo
	v_cmp_eq_u32_e32 vcc_lo, 29, v126
	v_add_nc_u64_e32 v[126:127], 1, v[126:127]
	v_cndmask_b32_e32 v128, v128, v63, vcc_lo
	v_cmp_eq_u32_e32 vcc_lo, 0, v64
	s_wait_dscnt 0x0
	s_delay_alu instid0(VALU_DEP_2) | instskip(SKIP_1) | instid1(SALU_CYCLE_1)
	v_fmac_f32_e32 v130, v128, v131
	s_or_b32 s2, vcc_lo, s2
	s_and_not1_b32 exec_lo, exec_lo, s2
	s_cbranch_execnz .LBB93_301
; %bb.302:
	s_or_b32 exec_lo, exec_lo, s2
.LBB93_303:
	s_delay_alu instid0(SALU_CYCLE_1)
	s_or_b32 exec_lo, exec_lo, s0
.LBB93_304:
	s_delay_alu instid0(SALU_CYCLE_1)
	s_or_b32 exec_lo, exec_lo, s5
	v_mov_b32_e32 v43, 0
	ds_load_b32 v43, v43 offset:36
	s_wait_dscnt 0x0
	v_mul_f32_e32 v43, v130, v43
.LBB93_305:
	s_or_b32 exec_lo, exec_lo, s4
	v_cmp_lt_u32_e64 s0, 8, v0
	ds_store_b32 v129, v42
	s_wait_dscnt 0x0
	s_barrier_signal -1
	s_barrier_wait -1
	s_and_saveexec_b32 s4, s0
	s_cbranch_execz .LBB93_321
; %bb.306:
	s_and_not1_b32 vcc_lo, exec_lo, s33
	s_cbranch_vccnz .LBB93_308
; %bb.307:
	v_cmp_eq_u32_e32 vcc_lo, 1, v0
	ds_load_b32 v127, v129
	v_cndmask_b32_e32 v126, v34, v35, vcc_lo
	v_cmp_eq_u32_e32 vcc_lo, 2, v0
	s_delay_alu instid0(VALU_DEP_2) | instskip(SKIP_1) | instid1(VALU_DEP_2)
	v_cndmask_b32_e32 v126, v126, v36, vcc_lo
	v_cmp_eq_u32_e32 vcc_lo, 3, v0
	v_cndmask_b32_e32 v126, v126, v37, vcc_lo
	v_cmp_eq_u32_e32 vcc_lo, 4, v0
	s_delay_alu instid0(VALU_DEP_2) | instskip(SKIP_1) | instid1(VALU_DEP_2)
	v_cndmask_b32_e32 v126, v126, v38, vcc_lo
	v_cmp_eq_u32_e32 vcc_lo, 5, v0
	v_cndmask_b32_e32 v126, v126, v39, vcc_lo
	v_cmp_eq_u32_e32 vcc_lo, 6, v0
	s_delay_alu instid0(VALU_DEP_2) | instskip(SKIP_1) | instid1(VALU_DEP_2)
	v_cndmask_b32_e32 v126, v126, v40, vcc_lo
	v_cmp_eq_u32_e32 vcc_lo, 7, v0
	v_cndmask_b32_e32 v126, v126, v41, vcc_lo
	v_cmp_eq_u32_e32 vcc_lo, 8, v0
	s_delay_alu instid0(VALU_DEP_2) | instskip(SKIP_1) | instid1(VALU_DEP_2)
	v_cndmask_b32_e32 v126, v126, v42, vcc_lo
	v_cmp_eq_u32_e32 vcc_lo, 9, v0
	v_cndmask_b32_e32 v126, v126, v43, vcc_lo
	v_cmp_eq_u32_e32 vcc_lo, 10, v0
	s_delay_alu instid0(VALU_DEP_2) | instskip(SKIP_1) | instid1(VALU_DEP_2)
	v_cndmask_b32_e32 v126, v126, v44, vcc_lo
	v_cmp_eq_u32_e32 vcc_lo, 11, v0
	v_cndmask_b32_e32 v126, v126, v45, vcc_lo
	v_cmp_eq_u32_e32 vcc_lo, 12, v0
	s_delay_alu instid0(VALU_DEP_2) | instskip(SKIP_1) | instid1(VALU_DEP_2)
	v_cndmask_b32_e32 v126, v126, v46, vcc_lo
	v_cmp_eq_u32_e32 vcc_lo, 13, v0
	v_cndmask_b32_e32 v126, v126, v47, vcc_lo
	v_cmp_eq_u32_e32 vcc_lo, 14, v0
	s_delay_alu instid0(VALU_DEP_2) | instskip(SKIP_1) | instid1(VALU_DEP_2)
	v_cndmask_b32_e32 v126, v126, v48, vcc_lo
	v_cmp_eq_u32_e32 vcc_lo, 15, v0
	v_cndmask_b32_e32 v126, v126, v49, vcc_lo
	v_cmp_eq_u32_e32 vcc_lo, 16, v0
	s_delay_alu instid0(VALU_DEP_2) | instskip(SKIP_1) | instid1(VALU_DEP_2)
	v_cndmask_b32_e32 v126, v126, v50, vcc_lo
	v_cmp_eq_u32_e32 vcc_lo, 17, v0
	v_cndmask_b32_e32 v126, v126, v51, vcc_lo
	v_cmp_eq_u32_e32 vcc_lo, 18, v0
	s_delay_alu instid0(VALU_DEP_2) | instskip(SKIP_1) | instid1(VALU_DEP_2)
	v_cndmask_b32_e32 v126, v126, v52, vcc_lo
	v_cmp_eq_u32_e32 vcc_lo, 19, v0
	v_cndmask_b32_e32 v126, v126, v53, vcc_lo
	v_cmp_eq_u32_e32 vcc_lo, 20, v0
	s_delay_alu instid0(VALU_DEP_2) | instskip(SKIP_1) | instid1(VALU_DEP_2)
	v_cndmask_b32_e32 v126, v126, v54, vcc_lo
	v_cmp_eq_u32_e32 vcc_lo, 21, v0
	v_cndmask_b32_e32 v126, v126, v55, vcc_lo
	v_cmp_eq_u32_e32 vcc_lo, 22, v0
	s_delay_alu instid0(VALU_DEP_2) | instskip(SKIP_1) | instid1(VALU_DEP_2)
	v_cndmask_b32_e32 v126, v126, v56, vcc_lo
	v_cmp_eq_u32_e32 vcc_lo, 23, v0
	v_cndmask_b32_e32 v126, v126, v57, vcc_lo
	v_cmp_eq_u32_e32 vcc_lo, 24, v0
	s_delay_alu instid0(VALU_DEP_2) | instskip(SKIP_1) | instid1(VALU_DEP_2)
	v_cndmask_b32_e32 v126, v126, v58, vcc_lo
	v_cmp_eq_u32_e32 vcc_lo, 25, v0
	v_cndmask_b32_e32 v126, v126, v59, vcc_lo
	v_cmp_eq_u32_e32 vcc_lo, 26, v0
	s_delay_alu instid0(VALU_DEP_2) | instskip(SKIP_1) | instid1(VALU_DEP_2)
	v_cndmask_b32_e32 v126, v126, v60, vcc_lo
	v_cmp_eq_u32_e32 vcc_lo, 27, v0
	v_cndmask_b32_e32 v126, v126, v61, vcc_lo
	v_cmp_eq_u32_e32 vcc_lo, 28, v0
	s_delay_alu instid0(VALU_DEP_2) | instskip(SKIP_1) | instid1(VALU_DEP_2)
	v_cndmask_b32_e32 v126, v126, v62, vcc_lo
	v_cmp_eq_u32_e32 vcc_lo, 29, v0
	v_cndmask_b32_e32 v126, v126, v63, vcc_lo
	s_wait_dscnt 0x0
	s_delay_alu instid0(VALU_DEP_1)
	v_mul_f32_e32 v130, v126, v127
	s_cbranch_execz .LBB93_309
	s_branch .LBB93_310
.LBB93_308:
                                        ; implicit-def: $vgpr130
.LBB93_309:
	ds_load_b32 v130, v129
.LBB93_310:
	s_and_saveexec_b32 s5, s1
	s_cbranch_execz .LBB93_320
; %bb.311:
	v_dual_add_nc_u32 v126, -10, v0 :: v_dual_add_nc_u32 v127, -9, v0
	s_delay_alu instid0(VALU_DEP_1)
	v_cmp_lt_u32_e32 vcc_lo, 6, v126
	v_mov_b32_e32 v126, 9
	s_and_saveexec_b32 s1, vcc_lo
	s_cbranch_execz .LBB93_315
; %bb.312:
	v_and_b32_e32 v126, -8, v127
	s_mov_b32 s6, 0
	s_mov_b64 s[2:3], 16
	s_movk_i32 s7, 0xa4
	s_delay_alu instid0(VALU_DEP_1)
	v_sub_nc_u32_e32 v128, 0, v126
.LBB93_313:                             ; =>This Inner Loop Header: Depth=1
	s_add_co_i32 m0, s2, -7
	v_movrels_b32_e32 v131, v34
	v_mov_b32_e32 v126, s7
	s_add_co_i32 m0, s2, -6
	s_add_co_i32 s7, s7, 32
	v_movrels_b32_e32 v140, v34
	ds_load_2addr_b32 v[132:133], v126 offset1:1
	ds_load_2addr_b32 v[134:135], v126 offset0:2 offset1:3
	s_add_co_i32 m0, s2, -5
	s_wait_dscnt 0x1
	v_fmac_f32_e32 v130, v131, v132
	ds_load_2addr_b32 v[136:137], v126 offset0:4 offset1:5
	ds_load_2addr_b32 v[138:139], v126 offset0:6 offset1:7
	v_movrels_b32_e32 v126, v34
	s_add_co_i32 m0, s2, -4
	v_fmac_f32_e32 v130, v140, v133
	v_movrels_b32_e32 v131, v34
	s_add_co_i32 m0, s2, -3
	s_wait_dscnt 0x2
	s_delay_alu instid0(VALU_DEP_2) | instskip(SKIP_2) | instid1(VALU_DEP_2)
	v_fmac_f32_e32 v130, v126, v134
	v_movrels_b32_e32 v126, v34
	s_add_co_i32 m0, s2, -2
	v_fmac_f32_e32 v130, v131, v135
	v_movrels_b32_e32 v131, v34
	s_add_co_i32 m0, s2, -1
	s_wait_dscnt 0x1
	s_delay_alu instid0(VALU_DEP_2)
	v_fmac_f32_e32 v130, v126, v136
	v_movrels_b32_e32 v126, v34
	s_mov_b32 m0, s2
	s_add_nc_u64 s[2:3], s[2:3], 8
	v_movrels_b32_e32 v132, v34
	v_dual_fmac_f32 v130, v131, v137 :: v_dual_add_nc_u32 v131, s2, v128
	s_add_co_i32 s8, s2, -7
	s_wait_dscnt 0x0
	s_delay_alu instid0(VALU_DEP_1) | instskip(NEXT) | instid1(VALU_DEP_2)
	v_fmac_f32_e32 v130, v126, v138
	v_cmp_eq_u32_e32 vcc_lo, 16, v131
	s_delay_alu instid0(VALU_DEP_2) | instskip(SKIP_1) | instid1(SALU_CYCLE_1)
	v_dual_mov_b32 v126, s8 :: v_dual_fmac_f32 v130, v132, v139
	s_or_b32 s6, vcc_lo, s6
	s_and_not1_b32 exec_lo, exec_lo, s6
	s_cbranch_execnz .LBB93_313
; %bb.314:
	s_or_b32 exec_lo, exec_lo, s6
.LBB93_315:
	s_delay_alu instid0(SALU_CYCLE_1) | instskip(SKIP_3) | instid1(VALU_DEP_1)
	s_or_b32 exec_lo, exec_lo, s1
	v_and_b32_e32 v64, 7, v127
	s_mov_b32 s2, 0
	s_mov_b32 s1, exec_lo
	v_cmpx_ne_u32_e32 0, v64
	s_cbranch_execz .LBB93_319
; %bb.316:
	v_lshl_add_u32 v65, v126, 2, 0x80
	v_mov_b32_e32 v127, 0
.LBB93_317:                             ; =>This Inner Loop Header: Depth=1
	v_cmp_eq_u32_e32 vcc_lo, 1, v126
	ds_load_b32 v131, v65
	v_dual_add_nc_u32 v64, -1, v64 :: v_dual_add_nc_u32 v65, 4, v65
	v_cndmask_b32_e32 v128, v34, v35, vcc_lo
	v_cmp_eq_u32_e32 vcc_lo, 2, v126
	s_delay_alu instid0(VALU_DEP_2) | instskip(SKIP_1) | instid1(VALU_DEP_2)
	v_cndmask_b32_e32 v128, v128, v36, vcc_lo
	v_cmp_eq_u32_e32 vcc_lo, 3, v126
	v_cndmask_b32_e32 v128, v128, v37, vcc_lo
	v_cmp_eq_u32_e32 vcc_lo, 4, v126
	s_delay_alu instid0(VALU_DEP_2) | instskip(SKIP_1) | instid1(VALU_DEP_2)
	v_cndmask_b32_e32 v128, v128, v38, vcc_lo
	v_cmp_eq_u32_e32 vcc_lo, 5, v126
	;; [unrolled: 5-line block ×13, first 2 shown]
	v_cndmask_b32_e32 v128, v128, v61, vcc_lo
	v_cmp_eq_u32_e32 vcc_lo, 28, v126
	s_delay_alu instid0(VALU_DEP_2) | instskip(SKIP_2) | instid1(VALU_DEP_3)
	v_cndmask_b32_e32 v128, v128, v62, vcc_lo
	v_cmp_eq_u32_e32 vcc_lo, 29, v126
	v_add_nc_u64_e32 v[126:127], 1, v[126:127]
	v_cndmask_b32_e32 v128, v128, v63, vcc_lo
	v_cmp_eq_u32_e32 vcc_lo, 0, v64
	s_wait_dscnt 0x0
	s_delay_alu instid0(VALU_DEP_2) | instskip(SKIP_1) | instid1(SALU_CYCLE_1)
	v_fmac_f32_e32 v130, v128, v131
	s_or_b32 s2, vcc_lo, s2
	s_and_not1_b32 exec_lo, exec_lo, s2
	s_cbranch_execnz .LBB93_317
; %bb.318:
	s_or_b32 exec_lo, exec_lo, s2
.LBB93_319:
	s_delay_alu instid0(SALU_CYCLE_1)
	s_or_b32 exec_lo, exec_lo, s1
.LBB93_320:
	s_delay_alu instid0(SALU_CYCLE_1)
	s_or_b32 exec_lo, exec_lo, s5
	v_mov_b32_e32 v42, 0
	ds_load_b32 v42, v42 offset:32
	s_wait_dscnt 0x0
	v_mul_f32_e32 v42, v130, v42
.LBB93_321:
	s_or_b32 exec_lo, exec_lo, s4
	v_cmp_lt_u32_e64 s1, 7, v0
	ds_store_b32 v129, v41
	s_wait_dscnt 0x0
	s_barrier_signal -1
	s_barrier_wait -1
	s_and_saveexec_b32 s4, s1
	s_cbranch_execz .LBB93_337
; %bb.322:
	s_and_not1_b32 vcc_lo, exec_lo, s33
	s_cbranch_vccnz .LBB93_324
; %bb.323:
	v_cmp_eq_u32_e32 vcc_lo, 1, v0
	ds_load_b32 v127, v129
	v_cndmask_b32_e32 v126, v34, v35, vcc_lo
	v_cmp_eq_u32_e32 vcc_lo, 2, v0
	s_delay_alu instid0(VALU_DEP_2) | instskip(SKIP_1) | instid1(VALU_DEP_2)
	v_cndmask_b32_e32 v126, v126, v36, vcc_lo
	v_cmp_eq_u32_e32 vcc_lo, 3, v0
	v_cndmask_b32_e32 v126, v126, v37, vcc_lo
	v_cmp_eq_u32_e32 vcc_lo, 4, v0
	s_delay_alu instid0(VALU_DEP_2) | instskip(SKIP_1) | instid1(VALU_DEP_2)
	v_cndmask_b32_e32 v126, v126, v38, vcc_lo
	v_cmp_eq_u32_e32 vcc_lo, 5, v0
	;; [unrolled: 5-line block ×14, first 2 shown]
	v_cndmask_b32_e32 v126, v126, v63, vcc_lo
	s_wait_dscnt 0x0
	s_delay_alu instid0(VALU_DEP_1)
	v_mul_f32_e32 v130, v126, v127
	s_cbranch_execz .LBB93_325
	s_branch .LBB93_326
.LBB93_324:
                                        ; implicit-def: $vgpr130
.LBB93_325:
	ds_load_b32 v130, v129
.LBB93_326:
	s_and_saveexec_b32 s5, s0
	s_cbranch_execz .LBB93_336
; %bb.327:
	v_add_nc_u32_e32 v126, -9, v0
	s_delay_alu instid0(VALU_DEP_1)
	v_cmp_lt_u32_e32 vcc_lo, 6, v126
	v_mov_b32_e32 v126, 8
	s_and_saveexec_b32 s0, vcc_lo
	s_cbranch_execz .LBB93_331
; %bb.328:
	v_and_b32_e32 v126, 24, v0
	s_mov_b32 s6, 0
	s_mov_b64 s[2:3], 15
	s_movk_i32 s7, 0xa0
	s_delay_alu instid0(VALU_DEP_1)
	v_sub_nc_u32_e32 v128, 0, v126
.LBB93_329:                             ; =>This Inner Loop Header: Depth=1
	s_add_co_i32 m0, s2, -7
	v_movrels_b32_e32 v127, v34
	v_mov_b32_e32 v126, s7
	s_add_co_i32 m0, s2, -6
	s_add_co_i32 s7, s7, 32
	v_movrels_b32_e32 v131, v34
	s_add_co_i32 m0, s2, -5
	ds_load_b128 v[132:135], v126
	ds_load_b128 v[136:139], v126 offset:16
	v_movrels_b32_e32 v126, v34
	s_add_co_i32 m0, s2, -4
	s_wait_dscnt 0x1
	v_fmac_f32_e32 v130, v127, v132
	v_movrels_b32_e32 v127, v34
	s_add_co_i32 m0, s2, -3
	s_delay_alu instid0(VALU_DEP_2) | instskip(NEXT) | instid1(VALU_DEP_1)
	v_fmac_f32_e32 v130, v131, v133
	v_fmac_f32_e32 v130, v126, v134
	v_movrels_b32_e32 v126, v34
	s_add_co_i32 m0, s2, -2
	s_delay_alu instid0(VALU_DEP_2) | instskip(SKIP_3) | instid1(VALU_DEP_2)
	v_fmac_f32_e32 v130, v127, v135
	v_movrels_b32_e32 v127, v34
	s_add_co_i32 m0, s2, -1
	s_wait_dscnt 0x0
	v_fmac_f32_e32 v130, v126, v136
	v_movrels_b32_e32 v126, v34
	s_mov_b32 m0, s2
	s_add_nc_u64 s[2:3], s[2:3], 8
	v_movrels_b32_e32 v131, v34
	v_dual_fmac_f32 v130, v127, v137 :: v_dual_add_nc_u32 v127, s2, v128
	s_add_co_i32 s8, s2, -7
	s_delay_alu instid0(VALU_DEP_1) | instskip(NEXT) | instid1(VALU_DEP_2)
	v_fmac_f32_e32 v130, v126, v138
	v_cmp_eq_u32_e32 vcc_lo, 7, v127
	s_delay_alu instid0(VALU_DEP_2) | instskip(SKIP_1) | instid1(SALU_CYCLE_1)
	v_dual_mov_b32 v126, s8 :: v_dual_fmac_f32 v130, v131, v139
	s_or_b32 s6, vcc_lo, s6
	s_and_not1_b32 exec_lo, exec_lo, s6
	s_cbranch_execnz .LBB93_329
; %bb.330:
	s_or_b32 exec_lo, exec_lo, s6
.LBB93_331:
	s_delay_alu instid0(SALU_CYCLE_1) | instskip(SKIP_3) | instid1(VALU_DEP_1)
	s_or_b32 exec_lo, exec_lo, s0
	v_and_b32_e32 v64, 7, v0
	s_mov_b32 s2, 0
	s_mov_b32 s0, exec_lo
	v_cmpx_ne_u32_e32 0, v64
	s_cbranch_execz .LBB93_335
; %bb.332:
	v_lshl_add_u32 v65, v126, 2, 0x80
	v_mov_b32_e32 v127, 0
.LBB93_333:                             ; =>This Inner Loop Header: Depth=1
	v_cmp_eq_u32_e32 vcc_lo, 1, v126
	ds_load_b32 v131, v65
	v_dual_add_nc_u32 v64, -1, v64 :: v_dual_add_nc_u32 v65, 4, v65
	v_cndmask_b32_e32 v128, v34, v35, vcc_lo
	v_cmp_eq_u32_e32 vcc_lo, 2, v126
	s_delay_alu instid0(VALU_DEP_2) | instskip(SKIP_1) | instid1(VALU_DEP_2)
	v_cndmask_b32_e32 v128, v128, v36, vcc_lo
	v_cmp_eq_u32_e32 vcc_lo, 3, v126
	v_cndmask_b32_e32 v128, v128, v37, vcc_lo
	v_cmp_eq_u32_e32 vcc_lo, 4, v126
	s_delay_alu instid0(VALU_DEP_2) | instskip(SKIP_1) | instid1(VALU_DEP_2)
	v_cndmask_b32_e32 v128, v128, v38, vcc_lo
	v_cmp_eq_u32_e32 vcc_lo, 5, v126
	;; [unrolled: 5-line block ×13, first 2 shown]
	v_cndmask_b32_e32 v128, v128, v61, vcc_lo
	v_cmp_eq_u32_e32 vcc_lo, 28, v126
	s_delay_alu instid0(VALU_DEP_2) | instskip(SKIP_2) | instid1(VALU_DEP_3)
	v_cndmask_b32_e32 v128, v128, v62, vcc_lo
	v_cmp_eq_u32_e32 vcc_lo, 29, v126
	v_add_nc_u64_e32 v[126:127], 1, v[126:127]
	v_cndmask_b32_e32 v128, v128, v63, vcc_lo
	v_cmp_eq_u32_e32 vcc_lo, 0, v64
	s_wait_dscnt 0x0
	s_delay_alu instid0(VALU_DEP_2) | instskip(SKIP_1) | instid1(SALU_CYCLE_1)
	v_fmac_f32_e32 v130, v128, v131
	s_or_b32 s2, vcc_lo, s2
	s_and_not1_b32 exec_lo, exec_lo, s2
	s_cbranch_execnz .LBB93_333
; %bb.334:
	s_or_b32 exec_lo, exec_lo, s2
.LBB93_335:
	s_delay_alu instid0(SALU_CYCLE_1)
	s_or_b32 exec_lo, exec_lo, s0
.LBB93_336:
	s_delay_alu instid0(SALU_CYCLE_1)
	s_or_b32 exec_lo, exec_lo, s5
	v_mov_b32_e32 v41, 0
	ds_load_b32 v41, v41 offset:28
	s_wait_dscnt 0x0
	v_mul_f32_e32 v41, v130, v41
.LBB93_337:
	s_or_b32 exec_lo, exec_lo, s4
	v_cmp_lt_u32_e64 s0, 6, v0
	ds_store_b32 v129, v40
	s_wait_dscnt 0x0
	s_barrier_signal -1
	s_barrier_wait -1
	s_and_saveexec_b32 s4, s0
	s_cbranch_execz .LBB93_353
; %bb.338:
	s_and_not1_b32 vcc_lo, exec_lo, s33
	s_cbranch_vccnz .LBB93_340
; %bb.339:
	v_cmp_eq_u32_e32 vcc_lo, 1, v0
	ds_load_b32 v127, v129
	v_cndmask_b32_e32 v126, v34, v35, vcc_lo
	v_cmp_eq_u32_e32 vcc_lo, 2, v0
	s_delay_alu instid0(VALU_DEP_2) | instskip(SKIP_1) | instid1(VALU_DEP_2)
	v_cndmask_b32_e32 v126, v126, v36, vcc_lo
	v_cmp_eq_u32_e32 vcc_lo, 3, v0
	v_cndmask_b32_e32 v126, v126, v37, vcc_lo
	v_cmp_eq_u32_e32 vcc_lo, 4, v0
	s_delay_alu instid0(VALU_DEP_2) | instskip(SKIP_1) | instid1(VALU_DEP_2)
	v_cndmask_b32_e32 v126, v126, v38, vcc_lo
	v_cmp_eq_u32_e32 vcc_lo, 5, v0
	;; [unrolled: 5-line block ×14, first 2 shown]
	v_cndmask_b32_e32 v126, v126, v63, vcc_lo
	s_wait_dscnt 0x0
	s_delay_alu instid0(VALU_DEP_1)
	v_mul_f32_e32 v130, v126, v127
	s_cbranch_execz .LBB93_341
	s_branch .LBB93_342
.LBB93_340:
                                        ; implicit-def: $vgpr130
.LBB93_341:
	ds_load_b32 v130, v129
.LBB93_342:
	s_and_saveexec_b32 s5, s1
	s_cbranch_execz .LBB93_352
; %bb.343:
	v_dual_add_nc_u32 v126, -8, v0 :: v_dual_add_nc_u32 v127, -7, v0
	s_delay_alu instid0(VALU_DEP_1)
	v_cmp_lt_u32_e32 vcc_lo, 6, v126
	v_mov_b32_e32 v126, 7
	s_and_saveexec_b32 s1, vcc_lo
	s_cbranch_execz .LBB93_347
; %bb.344:
	v_and_b32_e32 v126, -8, v127
	s_mov_b32 s6, 0
	s_mov_b64 s[2:3], 14
	s_movk_i32 s7, 0x9c
	s_delay_alu instid0(VALU_DEP_1)
	v_sub_nc_u32_e32 v128, 0, v126
.LBB93_345:                             ; =>This Inner Loop Header: Depth=1
	s_add_co_i32 m0, s2, -7
	v_movrels_b32_e32 v131, v34
	v_mov_b32_e32 v126, s7
	s_add_co_i32 m0, s2, -6
	s_add_co_i32 s7, s7, 32
	v_movrels_b32_e32 v140, v34
	ds_load_2addr_b32 v[132:133], v126 offset1:1
	ds_load_2addr_b32 v[134:135], v126 offset0:2 offset1:3
	s_add_co_i32 m0, s2, -5
	s_wait_dscnt 0x1
	v_fmac_f32_e32 v130, v131, v132
	ds_load_2addr_b32 v[136:137], v126 offset0:4 offset1:5
	ds_load_2addr_b32 v[138:139], v126 offset0:6 offset1:7
	v_movrels_b32_e32 v126, v34
	s_add_co_i32 m0, s2, -4
	v_fmac_f32_e32 v130, v140, v133
	v_movrels_b32_e32 v131, v34
	s_add_co_i32 m0, s2, -3
	s_wait_dscnt 0x2
	s_delay_alu instid0(VALU_DEP_2) | instskip(SKIP_2) | instid1(VALU_DEP_2)
	v_fmac_f32_e32 v130, v126, v134
	v_movrels_b32_e32 v126, v34
	s_add_co_i32 m0, s2, -2
	v_fmac_f32_e32 v130, v131, v135
	v_movrels_b32_e32 v131, v34
	s_add_co_i32 m0, s2, -1
	s_wait_dscnt 0x1
	s_delay_alu instid0(VALU_DEP_2)
	v_fmac_f32_e32 v130, v126, v136
	v_movrels_b32_e32 v126, v34
	s_mov_b32 m0, s2
	s_add_nc_u64 s[2:3], s[2:3], 8
	v_movrels_b32_e32 v132, v34
	v_dual_fmac_f32 v130, v131, v137 :: v_dual_add_nc_u32 v131, s2, v128
	s_add_co_i32 s8, s2, -7
	s_wait_dscnt 0x0
	s_delay_alu instid0(VALU_DEP_1) | instskip(NEXT) | instid1(VALU_DEP_2)
	v_fmac_f32_e32 v130, v126, v138
	v_cmp_eq_u32_e32 vcc_lo, 14, v131
	s_delay_alu instid0(VALU_DEP_2) | instskip(SKIP_1) | instid1(SALU_CYCLE_1)
	v_dual_mov_b32 v126, s8 :: v_dual_fmac_f32 v130, v132, v139
	s_or_b32 s6, vcc_lo, s6
	s_and_not1_b32 exec_lo, exec_lo, s6
	s_cbranch_execnz .LBB93_345
; %bb.346:
	s_or_b32 exec_lo, exec_lo, s6
.LBB93_347:
	s_delay_alu instid0(SALU_CYCLE_1) | instskip(SKIP_3) | instid1(VALU_DEP_1)
	s_or_b32 exec_lo, exec_lo, s1
	v_and_b32_e32 v64, 7, v127
	s_mov_b32 s2, 0
	s_mov_b32 s1, exec_lo
	v_cmpx_ne_u32_e32 0, v64
	s_cbranch_execz .LBB93_351
; %bb.348:
	v_lshl_add_u32 v65, v126, 2, 0x80
	v_mov_b32_e32 v127, 0
.LBB93_349:                             ; =>This Inner Loop Header: Depth=1
	v_cmp_eq_u32_e32 vcc_lo, 1, v126
	ds_load_b32 v131, v65
	v_dual_add_nc_u32 v64, -1, v64 :: v_dual_add_nc_u32 v65, 4, v65
	v_cndmask_b32_e32 v128, v34, v35, vcc_lo
	v_cmp_eq_u32_e32 vcc_lo, 2, v126
	s_delay_alu instid0(VALU_DEP_2) | instskip(SKIP_1) | instid1(VALU_DEP_2)
	v_cndmask_b32_e32 v128, v128, v36, vcc_lo
	v_cmp_eq_u32_e32 vcc_lo, 3, v126
	v_cndmask_b32_e32 v128, v128, v37, vcc_lo
	v_cmp_eq_u32_e32 vcc_lo, 4, v126
	s_delay_alu instid0(VALU_DEP_2) | instskip(SKIP_1) | instid1(VALU_DEP_2)
	v_cndmask_b32_e32 v128, v128, v38, vcc_lo
	v_cmp_eq_u32_e32 vcc_lo, 5, v126
	;; [unrolled: 5-line block ×13, first 2 shown]
	v_cndmask_b32_e32 v128, v128, v61, vcc_lo
	v_cmp_eq_u32_e32 vcc_lo, 28, v126
	s_delay_alu instid0(VALU_DEP_2) | instskip(SKIP_2) | instid1(VALU_DEP_3)
	v_cndmask_b32_e32 v128, v128, v62, vcc_lo
	v_cmp_eq_u32_e32 vcc_lo, 29, v126
	v_add_nc_u64_e32 v[126:127], 1, v[126:127]
	v_cndmask_b32_e32 v128, v128, v63, vcc_lo
	v_cmp_eq_u32_e32 vcc_lo, 0, v64
	s_wait_dscnt 0x0
	s_delay_alu instid0(VALU_DEP_2) | instskip(SKIP_1) | instid1(SALU_CYCLE_1)
	v_fmac_f32_e32 v130, v128, v131
	s_or_b32 s2, vcc_lo, s2
	s_and_not1_b32 exec_lo, exec_lo, s2
	s_cbranch_execnz .LBB93_349
; %bb.350:
	s_or_b32 exec_lo, exec_lo, s2
.LBB93_351:
	s_delay_alu instid0(SALU_CYCLE_1)
	s_or_b32 exec_lo, exec_lo, s1
.LBB93_352:
	s_delay_alu instid0(SALU_CYCLE_1)
	s_or_b32 exec_lo, exec_lo, s5
	v_mov_b32_e32 v40, 0
	ds_load_b32 v40, v40 offset:24
	s_wait_dscnt 0x0
	v_mul_f32_e32 v40, v130, v40
.LBB93_353:
	s_or_b32 exec_lo, exec_lo, s4
	v_cmp_lt_u32_e64 s1, 5, v0
	ds_store_b32 v129, v39
	s_wait_dscnt 0x0
	s_barrier_signal -1
	s_barrier_wait -1
	s_and_saveexec_b32 s4, s1
	s_cbranch_execz .LBB93_369
; %bb.354:
	s_and_not1_b32 vcc_lo, exec_lo, s33
	s_cbranch_vccnz .LBB93_356
; %bb.355:
	v_cmp_eq_u32_e32 vcc_lo, 1, v0
	ds_load_b32 v127, v129
	v_cndmask_b32_e32 v126, v34, v35, vcc_lo
	v_cmp_eq_u32_e32 vcc_lo, 2, v0
	s_delay_alu instid0(VALU_DEP_2) | instskip(SKIP_1) | instid1(VALU_DEP_2)
	v_cndmask_b32_e32 v126, v126, v36, vcc_lo
	v_cmp_eq_u32_e32 vcc_lo, 3, v0
	v_cndmask_b32_e32 v126, v126, v37, vcc_lo
	v_cmp_eq_u32_e32 vcc_lo, 4, v0
	s_delay_alu instid0(VALU_DEP_2) | instskip(SKIP_1) | instid1(VALU_DEP_2)
	v_cndmask_b32_e32 v126, v126, v38, vcc_lo
	v_cmp_eq_u32_e32 vcc_lo, 5, v0
	v_cndmask_b32_e32 v126, v126, v39, vcc_lo
	v_cmp_eq_u32_e32 vcc_lo, 6, v0
	s_delay_alu instid0(VALU_DEP_2) | instskip(SKIP_1) | instid1(VALU_DEP_2)
	v_cndmask_b32_e32 v126, v126, v40, vcc_lo
	v_cmp_eq_u32_e32 vcc_lo, 7, v0
	v_cndmask_b32_e32 v126, v126, v41, vcc_lo
	v_cmp_eq_u32_e32 vcc_lo, 8, v0
	s_delay_alu instid0(VALU_DEP_2) | instskip(SKIP_1) | instid1(VALU_DEP_2)
	v_cndmask_b32_e32 v126, v126, v42, vcc_lo
	v_cmp_eq_u32_e32 vcc_lo, 9, v0
	v_cndmask_b32_e32 v126, v126, v43, vcc_lo
	v_cmp_eq_u32_e32 vcc_lo, 10, v0
	s_delay_alu instid0(VALU_DEP_2) | instskip(SKIP_1) | instid1(VALU_DEP_2)
	v_cndmask_b32_e32 v126, v126, v44, vcc_lo
	v_cmp_eq_u32_e32 vcc_lo, 11, v0
	v_cndmask_b32_e32 v126, v126, v45, vcc_lo
	v_cmp_eq_u32_e32 vcc_lo, 12, v0
	s_delay_alu instid0(VALU_DEP_2) | instskip(SKIP_1) | instid1(VALU_DEP_2)
	v_cndmask_b32_e32 v126, v126, v46, vcc_lo
	v_cmp_eq_u32_e32 vcc_lo, 13, v0
	v_cndmask_b32_e32 v126, v126, v47, vcc_lo
	v_cmp_eq_u32_e32 vcc_lo, 14, v0
	s_delay_alu instid0(VALU_DEP_2) | instskip(SKIP_1) | instid1(VALU_DEP_2)
	v_cndmask_b32_e32 v126, v126, v48, vcc_lo
	v_cmp_eq_u32_e32 vcc_lo, 15, v0
	v_cndmask_b32_e32 v126, v126, v49, vcc_lo
	v_cmp_eq_u32_e32 vcc_lo, 16, v0
	s_delay_alu instid0(VALU_DEP_2) | instskip(SKIP_1) | instid1(VALU_DEP_2)
	v_cndmask_b32_e32 v126, v126, v50, vcc_lo
	v_cmp_eq_u32_e32 vcc_lo, 17, v0
	v_cndmask_b32_e32 v126, v126, v51, vcc_lo
	v_cmp_eq_u32_e32 vcc_lo, 18, v0
	s_delay_alu instid0(VALU_DEP_2) | instskip(SKIP_1) | instid1(VALU_DEP_2)
	v_cndmask_b32_e32 v126, v126, v52, vcc_lo
	v_cmp_eq_u32_e32 vcc_lo, 19, v0
	v_cndmask_b32_e32 v126, v126, v53, vcc_lo
	v_cmp_eq_u32_e32 vcc_lo, 20, v0
	s_delay_alu instid0(VALU_DEP_2) | instskip(SKIP_1) | instid1(VALU_DEP_2)
	v_cndmask_b32_e32 v126, v126, v54, vcc_lo
	v_cmp_eq_u32_e32 vcc_lo, 21, v0
	v_cndmask_b32_e32 v126, v126, v55, vcc_lo
	v_cmp_eq_u32_e32 vcc_lo, 22, v0
	s_delay_alu instid0(VALU_DEP_2) | instskip(SKIP_1) | instid1(VALU_DEP_2)
	v_cndmask_b32_e32 v126, v126, v56, vcc_lo
	v_cmp_eq_u32_e32 vcc_lo, 23, v0
	v_cndmask_b32_e32 v126, v126, v57, vcc_lo
	v_cmp_eq_u32_e32 vcc_lo, 24, v0
	s_delay_alu instid0(VALU_DEP_2) | instskip(SKIP_1) | instid1(VALU_DEP_2)
	v_cndmask_b32_e32 v126, v126, v58, vcc_lo
	v_cmp_eq_u32_e32 vcc_lo, 25, v0
	v_cndmask_b32_e32 v126, v126, v59, vcc_lo
	v_cmp_eq_u32_e32 vcc_lo, 26, v0
	s_delay_alu instid0(VALU_DEP_2) | instskip(SKIP_1) | instid1(VALU_DEP_2)
	v_cndmask_b32_e32 v126, v126, v60, vcc_lo
	v_cmp_eq_u32_e32 vcc_lo, 27, v0
	v_cndmask_b32_e32 v126, v126, v61, vcc_lo
	v_cmp_eq_u32_e32 vcc_lo, 28, v0
	s_delay_alu instid0(VALU_DEP_2) | instskip(SKIP_1) | instid1(VALU_DEP_2)
	v_cndmask_b32_e32 v126, v126, v62, vcc_lo
	v_cmp_eq_u32_e32 vcc_lo, 29, v0
	v_cndmask_b32_e32 v126, v126, v63, vcc_lo
	s_wait_dscnt 0x0
	s_delay_alu instid0(VALU_DEP_1)
	v_mul_f32_e32 v130, v126, v127
	s_cbranch_execz .LBB93_357
	s_branch .LBB93_358
.LBB93_356:
                                        ; implicit-def: $vgpr130
.LBB93_357:
	ds_load_b32 v130, v129
.LBB93_358:
	s_and_saveexec_b32 s5, s0
	s_cbranch_execz .LBB93_368
; %bb.359:
	v_dual_add_nc_u32 v128, -7, v0 :: v_dual_add_nc_u32 v127, -6, v0
	v_mov_b32_e32 v126, 6
	s_mov_b32 s0, exec_lo
	s_delay_alu instid0(VALU_DEP_2)
	v_cmpx_lt_u32_e32 6, v128
	s_cbranch_execz .LBB93_363
; %bb.360:
	v_and_b32_e32 v126, -8, v127
	s_mov_b32 s6, 0
	s_mov_b64 s[2:3], 13
	s_movk_i32 s7, 0x98
	s_delay_alu instid0(VALU_DEP_1)
	v_sub_nc_u32_e32 v128, 0, v126
.LBB93_361:                             ; =>This Inner Loop Header: Depth=1
	s_add_co_i32 m0, s2, -7
	v_movrels_b32_e32 v131, v34
	v_mov_b32_e32 v126, s7
	s_add_co_i32 m0, s2, -6
	s_add_co_i32 s7, s7, 32
	v_movrels_b32_e32 v140, v34
	s_add_co_i32 m0, s2, -5
	ds_load_2addr_b64 v[132:135], v126 offset1:1
	ds_load_2addr_b64 v[136:139], v126 offset0:2 offset1:3
	v_movrels_b32_e32 v126, v34
	s_add_co_i32 m0, s2, -4
	s_wait_dscnt 0x1
	v_fmac_f32_e32 v130, v131, v132
	v_movrels_b32_e32 v131, v34
	s_add_co_i32 m0, s2, -3
	s_delay_alu instid0(VALU_DEP_2) | instskip(NEXT) | instid1(VALU_DEP_1)
	v_fmac_f32_e32 v130, v140, v133
	v_fmac_f32_e32 v130, v126, v134
	v_movrels_b32_e32 v126, v34
	s_add_co_i32 m0, s2, -2
	s_delay_alu instid0(VALU_DEP_2) | instskip(SKIP_3) | instid1(VALU_DEP_2)
	v_fmac_f32_e32 v130, v131, v135
	v_movrels_b32_e32 v131, v34
	s_add_co_i32 m0, s2, -1
	s_wait_dscnt 0x0
	v_fmac_f32_e32 v130, v126, v136
	v_movrels_b32_e32 v126, v34
	s_mov_b32 m0, s2
	s_add_nc_u64 s[2:3], s[2:3], 8
	v_movrels_b32_e32 v132, v34
	v_dual_fmac_f32 v130, v131, v137 :: v_dual_add_nc_u32 v131, s2, v128
	s_add_co_i32 s8, s2, -7
	s_delay_alu instid0(VALU_DEP_1) | instskip(NEXT) | instid1(VALU_DEP_2)
	v_fmac_f32_e32 v130, v126, v138
	v_cmp_eq_u32_e32 vcc_lo, 13, v131
	s_delay_alu instid0(VALU_DEP_2) | instskip(SKIP_1) | instid1(SALU_CYCLE_1)
	v_dual_mov_b32 v126, s8 :: v_dual_fmac_f32 v130, v132, v139
	s_or_b32 s6, vcc_lo, s6
	s_and_not1_b32 exec_lo, exec_lo, s6
	s_cbranch_execnz .LBB93_361
; %bb.362:
	s_or_b32 exec_lo, exec_lo, s6
.LBB93_363:
	s_delay_alu instid0(SALU_CYCLE_1) | instskip(SKIP_3) | instid1(VALU_DEP_1)
	s_or_b32 exec_lo, exec_lo, s0
	v_and_b32_e32 v64, 7, v127
	s_mov_b32 s2, 0
	s_mov_b32 s0, exec_lo
	v_cmpx_ne_u32_e32 0, v64
	s_cbranch_execz .LBB93_367
; %bb.364:
	v_lshl_add_u32 v65, v126, 2, 0x80
	v_mov_b32_e32 v127, 0
.LBB93_365:                             ; =>This Inner Loop Header: Depth=1
	v_cmp_eq_u32_e32 vcc_lo, 1, v126
	ds_load_b32 v131, v65
	v_dual_add_nc_u32 v64, -1, v64 :: v_dual_add_nc_u32 v65, 4, v65
	v_cndmask_b32_e32 v128, v34, v35, vcc_lo
	v_cmp_eq_u32_e32 vcc_lo, 2, v126
	s_delay_alu instid0(VALU_DEP_2) | instskip(SKIP_1) | instid1(VALU_DEP_2)
	v_cndmask_b32_e32 v128, v128, v36, vcc_lo
	v_cmp_eq_u32_e32 vcc_lo, 3, v126
	v_cndmask_b32_e32 v128, v128, v37, vcc_lo
	v_cmp_eq_u32_e32 vcc_lo, 4, v126
	s_delay_alu instid0(VALU_DEP_2) | instskip(SKIP_1) | instid1(VALU_DEP_2)
	v_cndmask_b32_e32 v128, v128, v38, vcc_lo
	v_cmp_eq_u32_e32 vcc_lo, 5, v126
	;; [unrolled: 5-line block ×13, first 2 shown]
	v_cndmask_b32_e32 v128, v128, v61, vcc_lo
	v_cmp_eq_u32_e32 vcc_lo, 28, v126
	s_delay_alu instid0(VALU_DEP_2) | instskip(SKIP_2) | instid1(VALU_DEP_3)
	v_cndmask_b32_e32 v128, v128, v62, vcc_lo
	v_cmp_eq_u32_e32 vcc_lo, 29, v126
	v_add_nc_u64_e32 v[126:127], 1, v[126:127]
	v_cndmask_b32_e32 v128, v128, v63, vcc_lo
	v_cmp_eq_u32_e32 vcc_lo, 0, v64
	s_wait_dscnt 0x0
	s_delay_alu instid0(VALU_DEP_2) | instskip(SKIP_1) | instid1(SALU_CYCLE_1)
	v_fmac_f32_e32 v130, v128, v131
	s_or_b32 s2, vcc_lo, s2
	s_and_not1_b32 exec_lo, exec_lo, s2
	s_cbranch_execnz .LBB93_365
; %bb.366:
	s_or_b32 exec_lo, exec_lo, s2
.LBB93_367:
	s_delay_alu instid0(SALU_CYCLE_1)
	s_or_b32 exec_lo, exec_lo, s0
.LBB93_368:
	s_delay_alu instid0(SALU_CYCLE_1)
	s_or_b32 exec_lo, exec_lo, s5
	v_mov_b32_e32 v39, 0
	ds_load_b32 v39, v39 offset:20
	s_wait_dscnt 0x0
	v_mul_f32_e32 v39, v130, v39
.LBB93_369:
	s_or_b32 exec_lo, exec_lo, s4
	v_cmp_lt_u32_e64 s0, 4, v0
	ds_store_b32 v129, v38
	s_wait_dscnt 0x0
	s_barrier_signal -1
	s_barrier_wait -1
	s_and_saveexec_b32 s4, s0
	s_cbranch_execz .LBB93_385
; %bb.370:
	s_and_not1_b32 vcc_lo, exec_lo, s33
	s_cbranch_vccnz .LBB93_372
; %bb.371:
	v_cmp_eq_u32_e32 vcc_lo, 1, v0
	ds_load_b32 v127, v129
	v_cndmask_b32_e32 v126, v34, v35, vcc_lo
	v_cmp_eq_u32_e32 vcc_lo, 2, v0
	s_delay_alu instid0(VALU_DEP_2) | instskip(SKIP_1) | instid1(VALU_DEP_2)
	v_cndmask_b32_e32 v126, v126, v36, vcc_lo
	v_cmp_eq_u32_e32 vcc_lo, 3, v0
	v_cndmask_b32_e32 v126, v126, v37, vcc_lo
	v_cmp_eq_u32_e32 vcc_lo, 4, v0
	s_delay_alu instid0(VALU_DEP_2) | instskip(SKIP_1) | instid1(VALU_DEP_2)
	v_cndmask_b32_e32 v126, v126, v38, vcc_lo
	v_cmp_eq_u32_e32 vcc_lo, 5, v0
	;; [unrolled: 5-line block ×14, first 2 shown]
	v_cndmask_b32_e32 v126, v126, v63, vcc_lo
	s_wait_dscnt 0x0
	s_delay_alu instid0(VALU_DEP_1)
	v_mul_f32_e32 v130, v126, v127
	s_cbranch_execz .LBB93_373
	s_branch .LBB93_374
.LBB93_372:
                                        ; implicit-def: $vgpr130
.LBB93_373:
	ds_load_b32 v130, v129
.LBB93_374:
	s_and_saveexec_b32 s5, s1
	s_cbranch_execz .LBB93_384
; %bb.375:
	v_dual_add_nc_u32 v126, -6, v0 :: v_dual_add_nc_u32 v127, -5, v0
	s_delay_alu instid0(VALU_DEP_1)
	v_cmp_lt_u32_e32 vcc_lo, 6, v126
	v_mov_b32_e32 v126, 5
	s_and_saveexec_b32 s1, vcc_lo
	s_cbranch_execz .LBB93_379
; %bb.376:
	v_and_b32_e32 v126, -8, v127
	s_mov_b32 s6, 0
	s_mov_b64 s[2:3], 12
	s_movk_i32 s7, 0x94
	s_delay_alu instid0(VALU_DEP_1)
	v_sub_nc_u32_e32 v128, 0, v126
.LBB93_377:                             ; =>This Inner Loop Header: Depth=1
	s_add_co_i32 m0, s2, -7
	v_movrels_b32_e32 v131, v34
	v_mov_b32_e32 v126, s7
	s_add_co_i32 m0, s2, -6
	s_add_co_i32 s7, s7, 32
	v_movrels_b32_e32 v140, v34
	ds_load_2addr_b32 v[132:133], v126 offset1:1
	ds_load_2addr_b32 v[134:135], v126 offset0:2 offset1:3
	s_add_co_i32 m0, s2, -5
	s_wait_dscnt 0x1
	v_fmac_f32_e32 v130, v131, v132
	ds_load_2addr_b32 v[136:137], v126 offset0:4 offset1:5
	ds_load_2addr_b32 v[138:139], v126 offset0:6 offset1:7
	v_movrels_b32_e32 v126, v34
	s_add_co_i32 m0, s2, -4
	v_fmac_f32_e32 v130, v140, v133
	v_movrels_b32_e32 v131, v34
	s_add_co_i32 m0, s2, -3
	s_wait_dscnt 0x2
	s_delay_alu instid0(VALU_DEP_2) | instskip(SKIP_2) | instid1(VALU_DEP_2)
	v_fmac_f32_e32 v130, v126, v134
	v_movrels_b32_e32 v126, v34
	s_add_co_i32 m0, s2, -2
	v_fmac_f32_e32 v130, v131, v135
	v_movrels_b32_e32 v131, v34
	s_add_co_i32 m0, s2, -1
	s_wait_dscnt 0x1
	s_delay_alu instid0(VALU_DEP_2)
	v_fmac_f32_e32 v130, v126, v136
	v_movrels_b32_e32 v126, v34
	s_mov_b32 m0, s2
	s_add_nc_u64 s[2:3], s[2:3], 8
	v_movrels_b32_e32 v132, v34
	v_dual_fmac_f32 v130, v131, v137 :: v_dual_add_nc_u32 v131, s2, v128
	s_add_co_i32 s8, s2, -7
	s_wait_dscnt 0x0
	s_delay_alu instid0(VALU_DEP_1) | instskip(NEXT) | instid1(VALU_DEP_2)
	v_fmac_f32_e32 v130, v126, v138
	v_cmp_eq_u32_e32 vcc_lo, 12, v131
	s_delay_alu instid0(VALU_DEP_2) | instskip(SKIP_1) | instid1(SALU_CYCLE_1)
	v_dual_mov_b32 v126, s8 :: v_dual_fmac_f32 v130, v132, v139
	s_or_b32 s6, vcc_lo, s6
	s_and_not1_b32 exec_lo, exec_lo, s6
	s_cbranch_execnz .LBB93_377
; %bb.378:
	s_or_b32 exec_lo, exec_lo, s6
.LBB93_379:
	s_delay_alu instid0(SALU_CYCLE_1) | instskip(SKIP_3) | instid1(VALU_DEP_1)
	s_or_b32 exec_lo, exec_lo, s1
	v_and_b32_e32 v64, 7, v127
	s_mov_b32 s2, 0
	s_mov_b32 s1, exec_lo
	v_cmpx_ne_u32_e32 0, v64
	s_cbranch_execz .LBB93_383
; %bb.380:
	v_lshl_add_u32 v65, v126, 2, 0x80
	v_mov_b32_e32 v127, 0
.LBB93_381:                             ; =>This Inner Loop Header: Depth=1
	v_cmp_eq_u32_e32 vcc_lo, 1, v126
	ds_load_b32 v131, v65
	v_dual_add_nc_u32 v64, -1, v64 :: v_dual_add_nc_u32 v65, 4, v65
	v_cndmask_b32_e32 v128, v34, v35, vcc_lo
	v_cmp_eq_u32_e32 vcc_lo, 2, v126
	s_delay_alu instid0(VALU_DEP_2) | instskip(SKIP_1) | instid1(VALU_DEP_2)
	v_cndmask_b32_e32 v128, v128, v36, vcc_lo
	v_cmp_eq_u32_e32 vcc_lo, 3, v126
	v_cndmask_b32_e32 v128, v128, v37, vcc_lo
	v_cmp_eq_u32_e32 vcc_lo, 4, v126
	s_delay_alu instid0(VALU_DEP_2) | instskip(SKIP_1) | instid1(VALU_DEP_2)
	v_cndmask_b32_e32 v128, v128, v38, vcc_lo
	v_cmp_eq_u32_e32 vcc_lo, 5, v126
	;; [unrolled: 5-line block ×13, first 2 shown]
	v_cndmask_b32_e32 v128, v128, v61, vcc_lo
	v_cmp_eq_u32_e32 vcc_lo, 28, v126
	s_delay_alu instid0(VALU_DEP_2) | instskip(SKIP_2) | instid1(VALU_DEP_3)
	v_cndmask_b32_e32 v128, v128, v62, vcc_lo
	v_cmp_eq_u32_e32 vcc_lo, 29, v126
	v_add_nc_u64_e32 v[126:127], 1, v[126:127]
	v_cndmask_b32_e32 v128, v128, v63, vcc_lo
	v_cmp_eq_u32_e32 vcc_lo, 0, v64
	s_wait_dscnt 0x0
	s_delay_alu instid0(VALU_DEP_2) | instskip(SKIP_1) | instid1(SALU_CYCLE_1)
	v_fmac_f32_e32 v130, v128, v131
	s_or_b32 s2, vcc_lo, s2
	s_and_not1_b32 exec_lo, exec_lo, s2
	s_cbranch_execnz .LBB93_381
; %bb.382:
	s_or_b32 exec_lo, exec_lo, s2
.LBB93_383:
	s_delay_alu instid0(SALU_CYCLE_1)
	s_or_b32 exec_lo, exec_lo, s1
.LBB93_384:
	s_delay_alu instid0(SALU_CYCLE_1)
	s_or_b32 exec_lo, exec_lo, s5
	v_mov_b32_e32 v38, 0
	ds_load_b32 v38, v38 offset:16
	s_wait_dscnt 0x0
	v_mul_f32_e32 v38, v130, v38
.LBB93_385:
	s_or_b32 exec_lo, exec_lo, s4
	v_cmp_lt_u32_e64 s1, 3, v0
	ds_store_b32 v129, v37
	s_wait_dscnt 0x0
	s_barrier_signal -1
	s_barrier_wait -1
	s_and_saveexec_b32 s4, s1
	s_cbranch_execz .LBB93_401
; %bb.386:
	s_and_not1_b32 vcc_lo, exec_lo, s33
	s_cbranch_vccnz .LBB93_388
; %bb.387:
	v_cmp_eq_u32_e32 vcc_lo, 1, v0
	ds_load_b32 v127, v129
	v_cndmask_b32_e32 v126, v34, v35, vcc_lo
	v_cmp_eq_u32_e32 vcc_lo, 2, v0
	s_delay_alu instid0(VALU_DEP_2) | instskip(SKIP_1) | instid1(VALU_DEP_2)
	v_cndmask_b32_e32 v126, v126, v36, vcc_lo
	v_cmp_eq_u32_e32 vcc_lo, 3, v0
	v_cndmask_b32_e32 v126, v126, v37, vcc_lo
	v_cmp_eq_u32_e32 vcc_lo, 4, v0
	s_delay_alu instid0(VALU_DEP_2) | instskip(SKIP_1) | instid1(VALU_DEP_2)
	v_cndmask_b32_e32 v126, v126, v38, vcc_lo
	v_cmp_eq_u32_e32 vcc_lo, 5, v0
	;; [unrolled: 5-line block ×14, first 2 shown]
	v_cndmask_b32_e32 v126, v126, v63, vcc_lo
	s_wait_dscnt 0x0
	s_delay_alu instid0(VALU_DEP_1)
	v_mul_f32_e32 v130, v126, v127
	s_cbranch_execz .LBB93_389
	s_branch .LBB93_390
.LBB93_388:
                                        ; implicit-def: $vgpr130
.LBB93_389:
	ds_load_b32 v130, v129
.LBB93_390:
	s_and_saveexec_b32 s5, s0
	s_cbranch_execz .LBB93_400
; %bb.391:
	v_dual_add_nc_u32 v126, -5, v0 :: v_dual_add_nc_u32 v127, -4, v0
	s_delay_alu instid0(VALU_DEP_1)
	v_cmp_lt_u32_e32 vcc_lo, 6, v126
	v_mov_b32_e32 v126, 4
	s_and_saveexec_b32 s0, vcc_lo
	s_cbranch_execz .LBB93_395
; %bb.392:
	v_and_b32_e32 v126, -8, v127
	s_mov_b32 s6, 0
	s_mov_b64 s[2:3], 5
	s_movk_i32 s7, 0x90
	s_delay_alu instid0(VALU_DEP_1)
	v_sub_nc_u32_e32 v128, 0, v126
.LBB93_393:                             ; =>This Inner Loop Header: Depth=1
	s_add_co_i32 m0, s2, -1
	v_movrels_b32_e32 v131, v34
	v_mov_b32_e32 v126, s7
	s_mov_b32 m0, s2
	s_add_co_i32 s7, s7, 32
	v_movrels_b32_e32 v140, v34
	s_add_co_i32 m0, s2, 1
	ds_load_b128 v[132:135], v126
	ds_load_b128 v[136:139], v126 offset:16
	v_movrels_b32_e32 v126, v34
	s_add_co_i32 m0, s2, 2
	s_wait_dscnt 0x1
	v_fmac_f32_e32 v130, v131, v132
	v_movrels_b32_e32 v131, v34
	s_add_co_i32 m0, s2, 3
	s_delay_alu instid0(VALU_DEP_2) | instskip(NEXT) | instid1(VALU_DEP_1)
	v_fmac_f32_e32 v130, v140, v133
	v_fmac_f32_e32 v130, v126, v134
	v_movrels_b32_e32 v126, v34
	s_add_co_i32 m0, s2, 4
	s_delay_alu instid0(VALU_DEP_2) | instskip(SKIP_3) | instid1(VALU_DEP_2)
	v_fmac_f32_e32 v130, v131, v135
	v_movrels_b32_e32 v131, v34
	s_add_co_i32 m0, s2, 5
	s_wait_dscnt 0x0
	v_fmac_f32_e32 v130, v126, v136
	v_movrels_b32_e32 v126, v34
	s_add_co_i32 m0, s2, 6
	s_add_nc_u64 s[2:3], s[2:3], 8
	v_movrels_b32_e32 v132, v34
	v_dual_fmac_f32 v130, v131, v137 :: v_dual_add_nc_u32 v131, s2, v128
	s_add_co_i32 s8, s2, -1
	s_delay_alu instid0(VALU_DEP_1) | instskip(NEXT) | instid1(VALU_DEP_2)
	v_fmac_f32_e32 v130, v126, v138
	v_cmp_eq_u32_e32 vcc_lo, 5, v131
	s_delay_alu instid0(VALU_DEP_2) | instskip(SKIP_1) | instid1(SALU_CYCLE_1)
	v_dual_mov_b32 v126, s8 :: v_dual_fmac_f32 v130, v132, v139
	s_or_b32 s6, vcc_lo, s6
	s_and_not1_b32 exec_lo, exec_lo, s6
	s_cbranch_execnz .LBB93_393
; %bb.394:
	s_or_b32 exec_lo, exec_lo, s6
.LBB93_395:
	s_delay_alu instid0(SALU_CYCLE_1) | instskip(SKIP_3) | instid1(VALU_DEP_1)
	s_or_b32 exec_lo, exec_lo, s0
	v_and_b32_e32 v64, 7, v127
	s_mov_b32 s2, 0
	s_mov_b32 s0, exec_lo
	v_cmpx_ne_u32_e32 0, v64
	s_cbranch_execz .LBB93_399
; %bb.396:
	v_lshl_add_u32 v65, v126, 2, 0x80
	v_mov_b32_e32 v127, 0
.LBB93_397:                             ; =>This Inner Loop Header: Depth=1
	v_cmp_eq_u32_e32 vcc_lo, 1, v126
	ds_load_b32 v131, v65
	v_dual_add_nc_u32 v64, -1, v64 :: v_dual_add_nc_u32 v65, 4, v65
	v_cndmask_b32_e32 v128, v34, v35, vcc_lo
	v_cmp_eq_u32_e32 vcc_lo, 2, v126
	s_delay_alu instid0(VALU_DEP_2) | instskip(SKIP_1) | instid1(VALU_DEP_2)
	v_cndmask_b32_e32 v128, v128, v36, vcc_lo
	v_cmp_eq_u32_e32 vcc_lo, 3, v126
	v_cndmask_b32_e32 v128, v128, v37, vcc_lo
	v_cmp_eq_u32_e32 vcc_lo, 4, v126
	s_delay_alu instid0(VALU_DEP_2) | instskip(SKIP_1) | instid1(VALU_DEP_2)
	v_cndmask_b32_e32 v128, v128, v38, vcc_lo
	v_cmp_eq_u32_e32 vcc_lo, 5, v126
	;; [unrolled: 5-line block ×13, first 2 shown]
	v_cndmask_b32_e32 v128, v128, v61, vcc_lo
	v_cmp_eq_u32_e32 vcc_lo, 28, v126
	s_delay_alu instid0(VALU_DEP_2) | instskip(SKIP_2) | instid1(VALU_DEP_3)
	v_cndmask_b32_e32 v128, v128, v62, vcc_lo
	v_cmp_eq_u32_e32 vcc_lo, 29, v126
	v_add_nc_u64_e32 v[126:127], 1, v[126:127]
	v_cndmask_b32_e32 v128, v128, v63, vcc_lo
	v_cmp_eq_u32_e32 vcc_lo, 0, v64
	s_wait_dscnt 0x0
	s_delay_alu instid0(VALU_DEP_2) | instskip(SKIP_1) | instid1(SALU_CYCLE_1)
	v_fmac_f32_e32 v130, v128, v131
	s_or_b32 s2, vcc_lo, s2
	s_and_not1_b32 exec_lo, exec_lo, s2
	s_cbranch_execnz .LBB93_397
; %bb.398:
	s_or_b32 exec_lo, exec_lo, s2
.LBB93_399:
	s_delay_alu instid0(SALU_CYCLE_1)
	s_or_b32 exec_lo, exec_lo, s0
.LBB93_400:
	s_delay_alu instid0(SALU_CYCLE_1)
	s_or_b32 exec_lo, exec_lo, s5
	v_mov_b32_e32 v37, 0
	ds_load_b32 v37, v37 offset:12
	s_wait_dscnt 0x0
	v_mul_f32_e32 v37, v130, v37
.LBB93_401:
	s_or_b32 exec_lo, exec_lo, s4
	v_cmp_lt_u32_e64 s0, 2, v0
	ds_store_b32 v129, v36
	s_wait_dscnt 0x0
	s_barrier_signal -1
	s_barrier_wait -1
	s_and_saveexec_b32 s4, s0
	s_cbranch_execz .LBB93_417
; %bb.402:
	s_and_not1_b32 vcc_lo, exec_lo, s33
	s_cbranch_vccnz .LBB93_404
; %bb.403:
	v_cmp_eq_u32_e32 vcc_lo, 1, v0
	ds_load_b32 v127, v129
	v_cndmask_b32_e32 v126, v34, v35, vcc_lo
	v_cmp_eq_u32_e32 vcc_lo, 2, v0
	s_delay_alu instid0(VALU_DEP_2) | instskip(SKIP_1) | instid1(VALU_DEP_2)
	v_cndmask_b32_e32 v126, v126, v36, vcc_lo
	v_cmp_eq_u32_e32 vcc_lo, 3, v0
	v_cndmask_b32_e32 v126, v126, v37, vcc_lo
	v_cmp_eq_u32_e32 vcc_lo, 4, v0
	s_delay_alu instid0(VALU_DEP_2) | instskip(SKIP_1) | instid1(VALU_DEP_2)
	v_cndmask_b32_e32 v126, v126, v38, vcc_lo
	v_cmp_eq_u32_e32 vcc_lo, 5, v0
	;; [unrolled: 5-line block ×14, first 2 shown]
	v_cndmask_b32_e32 v126, v126, v63, vcc_lo
	s_wait_dscnt 0x0
	s_delay_alu instid0(VALU_DEP_1)
	v_mul_f32_e32 v130, v126, v127
	s_cbranch_execz .LBB93_405
	s_branch .LBB93_406
.LBB93_404:
                                        ; implicit-def: $vgpr130
.LBB93_405:
	ds_load_b32 v130, v129
.LBB93_406:
	s_and_saveexec_b32 s5, s1
	s_cbranch_execz .LBB93_416
; %bb.407:
	v_dual_add_nc_u32 v126, -4, v0 :: v_dual_add_nc_u32 v127, -3, v0
	s_delay_alu instid0(VALU_DEP_1)
	v_cmp_lt_u32_e32 vcc_lo, 6, v126
	v_mov_b32_e32 v126, 3
	s_and_saveexec_b32 s1, vcc_lo
	s_cbranch_execz .LBB93_411
; %bb.408:
	v_and_b32_e32 v126, -8, v127
	s_mov_b32 s6, 0
	s_mov_b64 s[2:3], 10
	s_movk_i32 s7, 0x8c
	s_delay_alu instid0(VALU_DEP_1)
	v_sub_nc_u32_e32 v128, 0, v126
.LBB93_409:                             ; =>This Inner Loop Header: Depth=1
	s_add_co_i32 m0, s2, -7
	v_movrels_b32_e32 v131, v34
	v_mov_b32_e32 v126, s7
	s_add_co_i32 m0, s2, -6
	s_add_co_i32 s7, s7, 32
	v_movrels_b32_e32 v140, v34
	ds_load_2addr_b32 v[132:133], v126 offset1:1
	ds_load_2addr_b32 v[134:135], v126 offset0:2 offset1:3
	s_add_co_i32 m0, s2, -5
	s_wait_dscnt 0x1
	v_fmac_f32_e32 v130, v131, v132
	ds_load_2addr_b32 v[136:137], v126 offset0:4 offset1:5
	ds_load_2addr_b32 v[138:139], v126 offset0:6 offset1:7
	v_movrels_b32_e32 v126, v34
	s_add_co_i32 m0, s2, -4
	v_fmac_f32_e32 v130, v140, v133
	v_movrels_b32_e32 v131, v34
	s_add_co_i32 m0, s2, -3
	s_wait_dscnt 0x2
	s_delay_alu instid0(VALU_DEP_2) | instskip(SKIP_2) | instid1(VALU_DEP_2)
	v_fmac_f32_e32 v130, v126, v134
	v_movrels_b32_e32 v126, v34
	s_add_co_i32 m0, s2, -2
	v_fmac_f32_e32 v130, v131, v135
	v_movrels_b32_e32 v131, v34
	s_add_co_i32 m0, s2, -1
	s_wait_dscnt 0x1
	s_delay_alu instid0(VALU_DEP_2)
	v_fmac_f32_e32 v130, v126, v136
	v_movrels_b32_e32 v126, v34
	s_mov_b32 m0, s2
	s_add_nc_u64 s[2:3], s[2:3], 8
	v_movrels_b32_e32 v132, v34
	v_dual_fmac_f32 v130, v131, v137 :: v_dual_add_nc_u32 v131, s2, v128
	s_add_co_i32 s8, s2, -7
	s_wait_dscnt 0x0
	s_delay_alu instid0(VALU_DEP_1) | instskip(NEXT) | instid1(VALU_DEP_2)
	v_fmac_f32_e32 v130, v126, v138
	v_cmp_eq_u32_e32 vcc_lo, 10, v131
	s_delay_alu instid0(VALU_DEP_2) | instskip(SKIP_1) | instid1(SALU_CYCLE_1)
	v_dual_mov_b32 v126, s8 :: v_dual_fmac_f32 v130, v132, v139
	s_or_b32 s6, vcc_lo, s6
	s_and_not1_b32 exec_lo, exec_lo, s6
	s_cbranch_execnz .LBB93_409
; %bb.410:
	s_or_b32 exec_lo, exec_lo, s6
.LBB93_411:
	s_delay_alu instid0(SALU_CYCLE_1) | instskip(SKIP_3) | instid1(VALU_DEP_1)
	s_or_b32 exec_lo, exec_lo, s1
	v_and_b32_e32 v64, 7, v127
	s_mov_b32 s2, 0
	s_mov_b32 s1, exec_lo
	v_cmpx_ne_u32_e32 0, v64
	s_cbranch_execz .LBB93_415
; %bb.412:
	v_lshl_add_u32 v65, v126, 2, 0x80
	v_mov_b32_e32 v127, 0
.LBB93_413:                             ; =>This Inner Loop Header: Depth=1
	v_cmp_eq_u32_e32 vcc_lo, 1, v126
	ds_load_b32 v131, v65
	v_dual_add_nc_u32 v64, -1, v64 :: v_dual_add_nc_u32 v65, 4, v65
	v_cndmask_b32_e32 v128, v34, v35, vcc_lo
	v_cmp_eq_u32_e32 vcc_lo, 2, v126
	s_delay_alu instid0(VALU_DEP_2) | instskip(SKIP_1) | instid1(VALU_DEP_2)
	v_cndmask_b32_e32 v128, v128, v36, vcc_lo
	v_cmp_eq_u32_e32 vcc_lo, 3, v126
	v_cndmask_b32_e32 v128, v128, v37, vcc_lo
	v_cmp_eq_u32_e32 vcc_lo, 4, v126
	s_delay_alu instid0(VALU_DEP_2) | instskip(SKIP_1) | instid1(VALU_DEP_2)
	v_cndmask_b32_e32 v128, v128, v38, vcc_lo
	v_cmp_eq_u32_e32 vcc_lo, 5, v126
	v_cndmask_b32_e32 v128, v128, v39, vcc_lo
	v_cmp_eq_u32_e32 vcc_lo, 6, v126
	s_delay_alu instid0(VALU_DEP_2) | instskip(SKIP_1) | instid1(VALU_DEP_2)
	v_cndmask_b32_e32 v128, v128, v40, vcc_lo
	v_cmp_eq_u32_e32 vcc_lo, 7, v126
	v_cndmask_b32_e32 v128, v128, v41, vcc_lo
	v_cmp_eq_u32_e32 vcc_lo, 8, v126
	s_delay_alu instid0(VALU_DEP_2) | instskip(SKIP_1) | instid1(VALU_DEP_2)
	v_cndmask_b32_e32 v128, v128, v42, vcc_lo
	v_cmp_eq_u32_e32 vcc_lo, 9, v126
	v_cndmask_b32_e32 v128, v128, v43, vcc_lo
	v_cmp_eq_u32_e32 vcc_lo, 10, v126
	s_delay_alu instid0(VALU_DEP_2) | instskip(SKIP_1) | instid1(VALU_DEP_2)
	v_cndmask_b32_e32 v128, v128, v44, vcc_lo
	v_cmp_eq_u32_e32 vcc_lo, 11, v126
	v_cndmask_b32_e32 v128, v128, v45, vcc_lo
	v_cmp_eq_u32_e32 vcc_lo, 12, v126
	s_delay_alu instid0(VALU_DEP_2) | instskip(SKIP_1) | instid1(VALU_DEP_2)
	v_cndmask_b32_e32 v128, v128, v46, vcc_lo
	v_cmp_eq_u32_e32 vcc_lo, 13, v126
	v_cndmask_b32_e32 v128, v128, v47, vcc_lo
	v_cmp_eq_u32_e32 vcc_lo, 14, v126
	s_delay_alu instid0(VALU_DEP_2) | instskip(SKIP_1) | instid1(VALU_DEP_2)
	v_cndmask_b32_e32 v128, v128, v48, vcc_lo
	v_cmp_eq_u32_e32 vcc_lo, 15, v126
	v_cndmask_b32_e32 v128, v128, v49, vcc_lo
	v_cmp_eq_u32_e32 vcc_lo, 16, v126
	s_delay_alu instid0(VALU_DEP_2) | instskip(SKIP_1) | instid1(VALU_DEP_2)
	v_cndmask_b32_e32 v128, v128, v50, vcc_lo
	v_cmp_eq_u32_e32 vcc_lo, 17, v126
	v_cndmask_b32_e32 v128, v128, v51, vcc_lo
	v_cmp_eq_u32_e32 vcc_lo, 18, v126
	s_delay_alu instid0(VALU_DEP_2) | instskip(SKIP_1) | instid1(VALU_DEP_2)
	v_cndmask_b32_e32 v128, v128, v52, vcc_lo
	v_cmp_eq_u32_e32 vcc_lo, 19, v126
	v_cndmask_b32_e32 v128, v128, v53, vcc_lo
	v_cmp_eq_u32_e32 vcc_lo, 20, v126
	s_delay_alu instid0(VALU_DEP_2) | instskip(SKIP_1) | instid1(VALU_DEP_2)
	v_cndmask_b32_e32 v128, v128, v54, vcc_lo
	v_cmp_eq_u32_e32 vcc_lo, 21, v126
	v_cndmask_b32_e32 v128, v128, v55, vcc_lo
	v_cmp_eq_u32_e32 vcc_lo, 22, v126
	s_delay_alu instid0(VALU_DEP_2) | instskip(SKIP_1) | instid1(VALU_DEP_2)
	v_cndmask_b32_e32 v128, v128, v56, vcc_lo
	v_cmp_eq_u32_e32 vcc_lo, 23, v126
	v_cndmask_b32_e32 v128, v128, v57, vcc_lo
	v_cmp_eq_u32_e32 vcc_lo, 24, v126
	s_delay_alu instid0(VALU_DEP_2) | instskip(SKIP_1) | instid1(VALU_DEP_2)
	v_cndmask_b32_e32 v128, v128, v58, vcc_lo
	v_cmp_eq_u32_e32 vcc_lo, 25, v126
	v_cndmask_b32_e32 v128, v128, v59, vcc_lo
	v_cmp_eq_u32_e32 vcc_lo, 26, v126
	s_delay_alu instid0(VALU_DEP_2) | instskip(SKIP_1) | instid1(VALU_DEP_2)
	v_cndmask_b32_e32 v128, v128, v60, vcc_lo
	v_cmp_eq_u32_e32 vcc_lo, 27, v126
	v_cndmask_b32_e32 v128, v128, v61, vcc_lo
	v_cmp_eq_u32_e32 vcc_lo, 28, v126
	s_delay_alu instid0(VALU_DEP_2) | instskip(SKIP_2) | instid1(VALU_DEP_3)
	v_cndmask_b32_e32 v128, v128, v62, vcc_lo
	v_cmp_eq_u32_e32 vcc_lo, 29, v126
	v_add_nc_u64_e32 v[126:127], 1, v[126:127]
	v_cndmask_b32_e32 v128, v128, v63, vcc_lo
	v_cmp_eq_u32_e32 vcc_lo, 0, v64
	s_wait_dscnt 0x0
	s_delay_alu instid0(VALU_DEP_2) | instskip(SKIP_1) | instid1(SALU_CYCLE_1)
	v_fmac_f32_e32 v130, v128, v131
	s_or_b32 s2, vcc_lo, s2
	s_and_not1_b32 exec_lo, exec_lo, s2
	s_cbranch_execnz .LBB93_413
; %bb.414:
	s_or_b32 exec_lo, exec_lo, s2
.LBB93_415:
	s_delay_alu instid0(SALU_CYCLE_1)
	s_or_b32 exec_lo, exec_lo, s1
.LBB93_416:
	s_delay_alu instid0(SALU_CYCLE_1)
	s_or_b32 exec_lo, exec_lo, s5
	v_mov_b32_e32 v36, 0
	ds_load_b32 v36, v36 offset:8
	s_wait_dscnt 0x0
	v_mul_f32_e32 v36, v130, v36
.LBB93_417:
	s_or_b32 exec_lo, exec_lo, s4
	v_cmp_lt_u32_e64 s1, 1, v0
	ds_store_b32 v129, v35
	s_wait_dscnt 0x0
	s_barrier_signal -1
	s_barrier_wait -1
	s_and_saveexec_b32 s4, s1
	s_cbranch_execz .LBB93_433
; %bb.418:
	s_and_not1_b32 vcc_lo, exec_lo, s33
	s_cbranch_vccnz .LBB93_420
; %bb.419:
	v_cmp_eq_u32_e32 vcc_lo, 1, v0
	ds_load_b32 v127, v129
	v_cndmask_b32_e32 v126, v34, v35, vcc_lo
	v_cmp_eq_u32_e32 vcc_lo, 2, v0
	s_delay_alu instid0(VALU_DEP_2) | instskip(SKIP_1) | instid1(VALU_DEP_2)
	v_cndmask_b32_e32 v126, v126, v36, vcc_lo
	v_cmp_eq_u32_e32 vcc_lo, 3, v0
	v_cndmask_b32_e32 v126, v126, v37, vcc_lo
	v_cmp_eq_u32_e32 vcc_lo, 4, v0
	s_delay_alu instid0(VALU_DEP_2) | instskip(SKIP_1) | instid1(VALU_DEP_2)
	v_cndmask_b32_e32 v126, v126, v38, vcc_lo
	v_cmp_eq_u32_e32 vcc_lo, 5, v0
	;; [unrolled: 5-line block ×14, first 2 shown]
	v_cndmask_b32_e32 v126, v126, v63, vcc_lo
	s_wait_dscnt 0x0
	s_delay_alu instid0(VALU_DEP_1)
	v_mul_f32_e32 v130, v126, v127
	s_cbranch_execz .LBB93_421
	s_branch .LBB93_422
.LBB93_420:
                                        ; implicit-def: $vgpr130
.LBB93_421:
	ds_load_b32 v130, v129
.LBB93_422:
	s_and_saveexec_b32 s5, s0
	s_cbranch_execz .LBB93_432
; %bb.423:
	v_dual_add_nc_u32 v126, -3, v0 :: v_dual_add_nc_u32 v127, -2, v0
	s_delay_alu instid0(VALU_DEP_1)
	v_cmp_lt_u32_e32 vcc_lo, 6, v126
	v_mov_b32_e32 v126, 2
	s_and_saveexec_b32 s0, vcc_lo
	s_cbranch_execz .LBB93_427
; %bb.424:
	v_and_b32_e32 v126, -8, v127
	s_mov_b32 s6, 0
	s_mov_b64 s[2:3], 9
	s_movk_i32 s7, 0x88
	s_delay_alu instid0(VALU_DEP_1)
	v_sub_nc_u32_e32 v128, 0, v126
.LBB93_425:                             ; =>This Inner Loop Header: Depth=1
	s_add_co_i32 m0, s2, -7
	v_movrels_b32_e32 v131, v34
	v_mov_b32_e32 v126, s7
	s_add_co_i32 m0, s2, -6
	s_add_co_i32 s7, s7, 32
	v_movrels_b32_e32 v140, v34
	s_add_co_i32 m0, s2, -5
	ds_load_2addr_b64 v[132:135], v126 offset1:1
	ds_load_2addr_b64 v[136:139], v126 offset0:2 offset1:3
	v_movrels_b32_e32 v126, v34
	s_add_co_i32 m0, s2, -4
	s_wait_dscnt 0x1
	v_fmac_f32_e32 v130, v131, v132
	v_movrels_b32_e32 v131, v34
	s_add_co_i32 m0, s2, -3
	s_delay_alu instid0(VALU_DEP_2) | instskip(NEXT) | instid1(VALU_DEP_1)
	v_fmac_f32_e32 v130, v140, v133
	v_fmac_f32_e32 v130, v126, v134
	v_movrels_b32_e32 v126, v34
	s_add_co_i32 m0, s2, -2
	s_delay_alu instid0(VALU_DEP_2) | instskip(SKIP_3) | instid1(VALU_DEP_2)
	v_fmac_f32_e32 v130, v131, v135
	v_movrels_b32_e32 v131, v34
	s_add_co_i32 m0, s2, -1
	s_wait_dscnt 0x0
	v_fmac_f32_e32 v130, v126, v136
	v_movrels_b32_e32 v126, v34
	s_mov_b32 m0, s2
	s_add_nc_u64 s[2:3], s[2:3], 8
	v_movrels_b32_e32 v132, v34
	v_dual_fmac_f32 v130, v131, v137 :: v_dual_add_nc_u32 v131, s2, v128
	s_add_co_i32 s8, s2, -7
	s_delay_alu instid0(VALU_DEP_1) | instskip(NEXT) | instid1(VALU_DEP_2)
	v_fmac_f32_e32 v130, v126, v138
	v_cmp_eq_u32_e32 vcc_lo, 9, v131
	s_delay_alu instid0(VALU_DEP_2) | instskip(SKIP_1) | instid1(SALU_CYCLE_1)
	v_dual_mov_b32 v126, s8 :: v_dual_fmac_f32 v130, v132, v139
	s_or_b32 s6, vcc_lo, s6
	s_and_not1_b32 exec_lo, exec_lo, s6
	s_cbranch_execnz .LBB93_425
; %bb.426:
	s_or_b32 exec_lo, exec_lo, s6
.LBB93_427:
	s_delay_alu instid0(SALU_CYCLE_1) | instskip(SKIP_3) | instid1(VALU_DEP_1)
	s_or_b32 exec_lo, exec_lo, s0
	v_and_b32_e32 v64, 7, v127
	s_mov_b32 s2, 0
	s_mov_b32 s0, exec_lo
	v_cmpx_ne_u32_e32 0, v64
	s_cbranch_execz .LBB93_431
; %bb.428:
	v_lshl_add_u32 v65, v126, 2, 0x80
	v_mov_b32_e32 v127, 0
.LBB93_429:                             ; =>This Inner Loop Header: Depth=1
	v_cmp_eq_u32_e32 vcc_lo, 1, v126
	ds_load_b32 v131, v65
	v_dual_add_nc_u32 v64, -1, v64 :: v_dual_add_nc_u32 v65, 4, v65
	v_cndmask_b32_e32 v128, v34, v35, vcc_lo
	v_cmp_eq_u32_e32 vcc_lo, 2, v126
	s_delay_alu instid0(VALU_DEP_2) | instskip(SKIP_1) | instid1(VALU_DEP_2)
	v_cndmask_b32_e32 v128, v128, v36, vcc_lo
	v_cmp_eq_u32_e32 vcc_lo, 3, v126
	v_cndmask_b32_e32 v128, v128, v37, vcc_lo
	v_cmp_eq_u32_e32 vcc_lo, 4, v126
	s_delay_alu instid0(VALU_DEP_2) | instskip(SKIP_1) | instid1(VALU_DEP_2)
	v_cndmask_b32_e32 v128, v128, v38, vcc_lo
	v_cmp_eq_u32_e32 vcc_lo, 5, v126
	;; [unrolled: 5-line block ×13, first 2 shown]
	v_cndmask_b32_e32 v128, v128, v61, vcc_lo
	v_cmp_eq_u32_e32 vcc_lo, 28, v126
	s_delay_alu instid0(VALU_DEP_2) | instskip(SKIP_2) | instid1(VALU_DEP_3)
	v_cndmask_b32_e32 v128, v128, v62, vcc_lo
	v_cmp_eq_u32_e32 vcc_lo, 29, v126
	v_add_nc_u64_e32 v[126:127], 1, v[126:127]
	v_cndmask_b32_e32 v128, v128, v63, vcc_lo
	v_cmp_eq_u32_e32 vcc_lo, 0, v64
	s_wait_dscnt 0x0
	s_delay_alu instid0(VALU_DEP_2) | instskip(SKIP_1) | instid1(SALU_CYCLE_1)
	v_fmac_f32_e32 v130, v128, v131
	s_or_b32 s2, vcc_lo, s2
	s_and_not1_b32 exec_lo, exec_lo, s2
	s_cbranch_execnz .LBB93_429
; %bb.430:
	s_or_b32 exec_lo, exec_lo, s2
.LBB93_431:
	s_delay_alu instid0(SALU_CYCLE_1)
	s_or_b32 exec_lo, exec_lo, s0
.LBB93_432:
	s_delay_alu instid0(SALU_CYCLE_1)
	s_or_b32 exec_lo, exec_lo, s5
	v_mov_b32_e32 v35, 0
	ds_load_b32 v35, v35 offset:4
	s_wait_dscnt 0x0
	v_mul_f32_e32 v35, v130, v35
.LBB93_433:
	s_or_b32 exec_lo, exec_lo, s4
	s_mov_b32 s2, 0
	s_mov_b32 s3, exec_lo
	ds_store_b32 v129, v34
	s_wait_dscnt 0x0
	s_barrier_signal -1
	s_barrier_wait -1
	v_cmpx_ne_u32_e32 0, v0
	s_cbranch_execz .LBB93_449
; %bb.434:
	s_and_not1_b32 vcc_lo, exec_lo, s33
	s_cbranch_vccnz .LBB93_436
; %bb.435:
	v_cmp_eq_u32_e32 vcc_lo, 1, v0
	ds_load_b32 v127, v129
	v_cndmask_b32_e32 v126, v34, v35, vcc_lo
	v_cmp_eq_u32_e32 vcc_lo, 2, v0
	s_delay_alu instid0(VALU_DEP_2) | instskip(SKIP_1) | instid1(VALU_DEP_2)
	v_cndmask_b32_e32 v126, v126, v36, vcc_lo
	v_cmp_eq_u32_e32 vcc_lo, 3, v0
	v_cndmask_b32_e32 v126, v126, v37, vcc_lo
	v_cmp_eq_u32_e32 vcc_lo, 4, v0
	s_delay_alu instid0(VALU_DEP_2) | instskip(SKIP_1) | instid1(VALU_DEP_2)
	v_cndmask_b32_e32 v126, v126, v38, vcc_lo
	v_cmp_eq_u32_e32 vcc_lo, 5, v0
	;; [unrolled: 5-line block ×14, first 2 shown]
	v_cndmask_b32_e32 v126, v126, v63, vcc_lo
	s_wait_dscnt 0x0
	s_delay_alu instid0(VALU_DEP_1)
	v_mul_f32_e32 v130, v126, v127
	s_cbranch_execz .LBB93_437
	s_branch .LBB93_438
.LBB93_436:
                                        ; implicit-def: $vgpr130
.LBB93_437:
	ds_load_b32 v130, v129
.LBB93_438:
	s_and_saveexec_b32 s4, s1
	s_cbranch_execz .LBB93_448
; %bb.439:
	v_dual_add_nc_u32 v126, -2, v0 :: v_dual_add_nc_u32 v127, -1, v0
	s_delay_alu instid0(VALU_DEP_1)
	v_cmp_lt_u32_e32 vcc_lo, 6, v126
	v_mov_b32_e32 v126, 1
	s_and_saveexec_b32 s5, vcc_lo
	s_cbranch_execz .LBB93_443
; %bb.440:
	v_and_b32_e32 v126, -8, v127
	s_mov_b32 s6, 0
	s_mov_b64 s[0:1], 8
	s_movk_i32 s7, 0x84
	s_delay_alu instid0(VALU_DEP_1)
	v_sub_nc_u32_e32 v128, 0, v126
.LBB93_441:                             ; =>This Inner Loop Header: Depth=1
	s_add_co_i32 m0, s0, -7
	v_movrels_b32_e32 v131, v34
	v_mov_b32_e32 v126, s7
	s_add_co_i32 m0, s0, -6
	s_add_co_i32 s7, s7, 32
	v_movrels_b32_e32 v140, v34
	ds_load_2addr_b32 v[132:133], v126 offset1:1
	ds_load_2addr_b32 v[134:135], v126 offset0:2 offset1:3
	s_add_co_i32 m0, s0, -5
	s_wait_dscnt 0x1
	v_fmac_f32_e32 v130, v131, v132
	ds_load_2addr_b32 v[136:137], v126 offset0:4 offset1:5
	ds_load_2addr_b32 v[138:139], v126 offset0:6 offset1:7
	v_movrels_b32_e32 v126, v34
	s_add_co_i32 m0, s0, -4
	v_fmac_f32_e32 v130, v140, v133
	v_movrels_b32_e32 v131, v34
	s_add_co_i32 m0, s0, -3
	s_wait_dscnt 0x2
	s_delay_alu instid0(VALU_DEP_2) | instskip(SKIP_2) | instid1(VALU_DEP_2)
	v_fmac_f32_e32 v130, v126, v134
	v_movrels_b32_e32 v126, v34
	s_add_co_i32 m0, s0, -2
	v_fmac_f32_e32 v130, v131, v135
	v_movrels_b32_e32 v131, v34
	s_add_co_i32 m0, s0, -1
	s_wait_dscnt 0x1
	s_delay_alu instid0(VALU_DEP_2)
	v_fmac_f32_e32 v130, v126, v136
	v_movrels_b32_e32 v126, v34
	s_mov_b32 m0, s0
	s_add_nc_u64 s[0:1], s[0:1], 8
	v_movrels_b32_e32 v132, v34
	v_dual_fmac_f32 v130, v131, v137 :: v_dual_add_nc_u32 v131, s0, v128
	s_add_co_i32 s8, s0, -7
	s_wait_dscnt 0x0
	s_delay_alu instid0(VALU_DEP_1) | instskip(NEXT) | instid1(VALU_DEP_2)
	v_fmac_f32_e32 v130, v126, v138
	v_cmp_eq_u32_e32 vcc_lo, 8, v131
	s_delay_alu instid0(VALU_DEP_2) | instskip(SKIP_1) | instid1(SALU_CYCLE_1)
	v_dual_mov_b32 v126, s8 :: v_dual_fmac_f32 v130, v132, v139
	s_or_b32 s6, vcc_lo, s6
	s_and_not1_b32 exec_lo, exec_lo, s6
	s_cbranch_execnz .LBB93_441
; %bb.442:
	s_or_b32 exec_lo, exec_lo, s6
.LBB93_443:
	s_delay_alu instid0(SALU_CYCLE_1) | instskip(SKIP_3) | instid1(VALU_DEP_1)
	s_or_b32 exec_lo, exec_lo, s5
	v_and_b32_e32 v64, 7, v127
	s_mov_b32 s1, 0
	s_mov_b32 s0, exec_lo
	v_cmpx_ne_u32_e32 0, v64
	s_cbranch_execz .LBB93_447
; %bb.444:
	v_lshl_add_u32 v65, v126, 2, 0x80
	v_mov_b32_e32 v127, 0
.LBB93_445:                             ; =>This Inner Loop Header: Depth=1
	v_cmp_eq_u32_e32 vcc_lo, 1, v126
	ds_load_b32 v131, v65
	v_dual_add_nc_u32 v64, -1, v64 :: v_dual_add_nc_u32 v65, 4, v65
	v_cndmask_b32_e32 v128, v34, v35, vcc_lo
	v_cmp_eq_u32_e32 vcc_lo, 2, v126
	s_delay_alu instid0(VALU_DEP_2) | instskip(SKIP_1) | instid1(VALU_DEP_2)
	v_cndmask_b32_e32 v128, v128, v36, vcc_lo
	v_cmp_eq_u32_e32 vcc_lo, 3, v126
	v_cndmask_b32_e32 v128, v128, v37, vcc_lo
	v_cmp_eq_u32_e32 vcc_lo, 4, v126
	s_delay_alu instid0(VALU_DEP_2) | instskip(SKIP_1) | instid1(VALU_DEP_2)
	v_cndmask_b32_e32 v128, v128, v38, vcc_lo
	v_cmp_eq_u32_e32 vcc_lo, 5, v126
	;; [unrolled: 5-line block ×13, first 2 shown]
	v_cndmask_b32_e32 v128, v128, v61, vcc_lo
	v_cmp_eq_u32_e32 vcc_lo, 28, v126
	s_delay_alu instid0(VALU_DEP_2) | instskip(SKIP_2) | instid1(VALU_DEP_3)
	v_cndmask_b32_e32 v128, v128, v62, vcc_lo
	v_cmp_eq_u32_e32 vcc_lo, 29, v126
	v_add_nc_u64_e32 v[126:127], 1, v[126:127]
	v_cndmask_b32_e32 v128, v128, v63, vcc_lo
	v_cmp_eq_u32_e32 vcc_lo, 0, v64
	s_wait_dscnt 0x0
	s_delay_alu instid0(VALU_DEP_2) | instskip(SKIP_1) | instid1(SALU_CYCLE_1)
	v_fmac_f32_e32 v130, v128, v131
	s_or_b32 s1, vcc_lo, s1
	s_and_not1_b32 exec_lo, exec_lo, s1
	s_cbranch_execnz .LBB93_445
; %bb.446:
	s_or_b32 exec_lo, exec_lo, s1
.LBB93_447:
	s_delay_alu instid0(SALU_CYCLE_1)
	s_or_b32 exec_lo, exec_lo, s0
.LBB93_448:
	s_delay_alu instid0(SALU_CYCLE_1)
	s_or_b32 exec_lo, exec_lo, s4
	v_mov_b32_e32 v34, 0
	ds_load_b32 v34, v34
	s_wait_dscnt 0x0
	v_mul_f32_e32 v34, v130, v34
.LBB93_449:
	s_or_b32 exec_lo, exec_lo, s3
	s_delay_alu instid0(SALU_CYCLE_1)
	s_and_b32 vcc_lo, exec_lo, s2
	s_cbranch_vccz .LBB93_743
.LBB93_450:
	v_cmp_eq_u32_e64 s0, 0, v0
	s_wait_loadcnt_dscnt 0x1d1e
	ds_store_b32 v129, v3
	s_wait_loadcnt_dscnt 0x0
	s_barrier_signal -1
	s_barrier_wait -1
	s_and_saveexec_b32 s1, s0
	s_cbranch_execz .LBB93_456
; %bb.451:
	s_and_b32 vcc_lo, exec_lo, s33
	s_cbranch_vccz .LBB93_453
; %bb.452:
	v_cmp_eq_u32_e32 vcc_lo, 1, v0
	ds_load_b32 v32, v129
	v_cndmask_b32_e32 v3, v2, v3, vcc_lo
	v_cmp_eq_u32_e32 vcc_lo, 2, v0
	s_delay_alu instid0(VALU_DEP_2) | instskip(SKIP_1) | instid1(VALU_DEP_2)
	v_cndmask_b32_e32 v3, v3, v4, vcc_lo
	v_cmp_eq_u32_e32 vcc_lo, 3, v0
	v_cndmask_b32_e32 v3, v3, v5, vcc_lo
	v_cmp_eq_u32_e32 vcc_lo, 4, v0
	s_delay_alu instid0(VALU_DEP_2) | instskip(SKIP_1) | instid1(VALU_DEP_2)
	v_cndmask_b32_e32 v3, v3, v6, vcc_lo
	v_cmp_eq_u32_e32 vcc_lo, 5, v0
	;; [unrolled: 5-line block ×14, first 2 shown]
	v_cndmask_b32_e32 v3, v3, v31, vcc_lo
	s_wait_dscnt 0x0
	s_delay_alu instid0(VALU_DEP_1)
	v_mul_f32_e32 v3, v3, v32
	s_cbranch_execz .LBB93_454
	s_branch .LBB93_455
.LBB93_453:
                                        ; implicit-def: $vgpr3
.LBB93_454:
	ds_load_b32 v3, v129
.LBB93_455:
	v_mov_b32_e32 v32, 0
	ds_load_b32 v32, v32 offset:4
	s_wait_dscnt 0x0
	v_mul_f32_e32 v3, v3, v32
.LBB93_456:
	s_or_b32 exec_lo, exec_lo, s1
	v_cndmask_b32_e64 v34, 0, 1, s33
	s_mov_b32 s1, exec_lo
	ds_store_b32 v129, v4
	s_wait_dscnt 0x0
	s_barrier_signal -1
	s_barrier_wait -1
	v_cmpx_gt_u32_e32 2, v0
	s_cbranch_execz .LBB93_462
; %bb.457:
	s_and_not1_b32 vcc_lo, exec_lo, s33
	s_cbranch_vccnz .LBB93_459
; %bb.458:
	v_cmp_eq_u32_e32 vcc_lo, 1, v0
	v_cndmask_b32_e32 v32, v2, v3, vcc_lo
	v_cmp_eq_u32_e32 vcc_lo, 2, v0
	s_delay_alu instid0(VALU_DEP_2) | instskip(SKIP_4) | instid1(VALU_DEP_2)
	v_cndmask_b32_e32 v4, v32, v4, vcc_lo
	v_cmp_eq_u32_e32 vcc_lo, 3, v0
	ds_load_b32 v32, v129
	v_cndmask_b32_e32 v4, v4, v5, vcc_lo
	v_cmp_eq_u32_e32 vcc_lo, 4, v0
	v_cndmask_b32_e32 v4, v4, v6, vcc_lo
	v_cmp_eq_u32_e32 vcc_lo, 5, v0
	s_delay_alu instid0(VALU_DEP_2) | instskip(SKIP_1) | instid1(VALU_DEP_2)
	v_cndmask_b32_e32 v4, v4, v7, vcc_lo
	v_cmp_eq_u32_e32 vcc_lo, 6, v0
	v_cndmask_b32_e32 v4, v4, v8, vcc_lo
	v_cmp_eq_u32_e32 vcc_lo, 7, v0
	s_delay_alu instid0(VALU_DEP_2) | instskip(SKIP_1) | instid1(VALU_DEP_2)
	;; [unrolled: 5-line block ×12, first 2 shown]
	v_cndmask_b32_e32 v4, v4, v29, vcc_lo
	v_cmp_eq_u32_e32 vcc_lo, 28, v0
	v_cndmask_b32_e32 v4, v4, v30, vcc_lo
	v_cmp_eq_u32_e32 vcc_lo, 29, v0
	s_delay_alu instid0(VALU_DEP_2) | instskip(SKIP_1) | instid1(VALU_DEP_1)
	v_cndmask_b32_e32 v4, v4, v31, vcc_lo
	s_wait_dscnt 0x0
	v_mul_f32_e32 v4, v4, v32
	s_cbranch_execz .LBB93_460
	s_branch .LBB93_461
.LBB93_459:
                                        ; implicit-def: $vgpr4
.LBB93_460:
	ds_load_b32 v4, v129
.LBB93_461:
	v_mov_b32_e32 v32, 0
	ds_load_2addr_b32 v[32:33], v32 offset0:2 offset1:33
	s_wait_dscnt 0x0
	v_fma_f32 v33, v3, v33, v4
	s_delay_alu instid0(VALU_DEP_1) | instskip(NEXT) | instid1(VALU_DEP_1)
	v_cndmask_b32_e64 v4, v4, v33, s0
	v_mul_f32_e32 v4, v4, v32
.LBB93_462:
	s_or_b32 exec_lo, exec_lo, s1
	v_add_nc_u32_e32 v35, 1, v0
	v_cmp_gt_u32_e64 s1, 3, v0
	ds_store_b32 v129, v5
	s_wait_dscnt 0x0
	s_barrier_signal -1
	s_barrier_wait -1
	s_and_saveexec_b32 s2, s1
	s_cbranch_execz .LBB93_470
; %bb.463:
	v_cmp_ne_u32_e32 vcc_lo, 1, v34
	s_cbranch_vccnz .LBB93_465
; %bb.464:
	v_cmp_eq_u32_e32 vcc_lo, 1, v0
	ds_load_b32 v33, v129
	v_cndmask_b32_e32 v32, v2, v3, vcc_lo
	v_cmp_eq_u32_e32 vcc_lo, 2, v0
	s_delay_alu instid0(VALU_DEP_2) | instskip(SKIP_1) | instid1(VALU_DEP_2)
	v_cndmask_b32_e32 v32, v32, v4, vcc_lo
	v_cmp_eq_u32_e32 vcc_lo, 3, v0
	v_cndmask_b32_e32 v32, v32, v5, vcc_lo
	v_cmp_eq_u32_e32 vcc_lo, 4, v0
	s_delay_alu instid0(VALU_DEP_2) | instskip(SKIP_1) | instid1(VALU_DEP_2)
	v_cndmask_b32_e32 v32, v32, v6, vcc_lo
	v_cmp_eq_u32_e32 vcc_lo, 5, v0
	;; [unrolled: 5-line block ×14, first 2 shown]
	v_cndmask_b32_e32 v32, v32, v31, vcc_lo
	s_wait_dscnt 0x0
	s_delay_alu instid0(VALU_DEP_1)
	v_mul_f32_e32 v32, v32, v33
	s_cbranch_execz .LBB93_466
	s_branch .LBB93_467
.LBB93_465:
                                        ; implicit-def: $vgpr32
.LBB93_466:
	ds_load_b32 v32, v129
.LBB93_467:
	s_mov_b32 s3, exec_lo
	v_cmpx_ne_u32_e32 2, v0
	s_cbranch_execz .LBB93_469
; %bb.468:
	v_cmp_eq_u32_e32 vcc_lo, 1, v35
	v_dual_mov_b32 v36, 0 :: v_dual_cndmask_b32 v33, v2, v3
	v_cmp_eq_u32_e32 vcc_lo, 2, v35
	ds_load_b32 v36, v36 offset:136
	v_cndmask_b32_e32 v33, v33, v4, vcc_lo
	v_cmp_eq_u32_e32 vcc_lo, 3, v35
	s_delay_alu instid0(VALU_DEP_2) | instskip(SKIP_4) | instid1(VALU_DEP_2)
	v_cndmask_b32_e32 v5, v33, v5, vcc_lo
	v_cmp_eq_u32_e32 vcc_lo, 4, v35
	ds_load_b32 v33, v129 offset:4
	v_cndmask_b32_e32 v5, v5, v6, vcc_lo
	v_cmp_eq_u32_e32 vcc_lo, 5, v35
	v_cndmask_b32_e32 v5, v5, v7, vcc_lo
	v_cmp_eq_u32_e32 vcc_lo, 6, v35
	s_delay_alu instid0(VALU_DEP_2) | instskip(SKIP_1) | instid1(VALU_DEP_2)
	v_cndmask_b32_e32 v5, v5, v8, vcc_lo
	v_cmp_eq_u32_e32 vcc_lo, 7, v35
	v_cndmask_b32_e32 v5, v5, v9, vcc_lo
	v_cmp_eq_u32_e32 vcc_lo, 8, v35
	s_delay_alu instid0(VALU_DEP_2) | instskip(SKIP_1) | instid1(VALU_DEP_2)
	;; [unrolled: 5-line block ×12, first 2 shown]
	v_cndmask_b32_e32 v5, v5, v30, vcc_lo
	v_cmp_eq_u32_e32 vcc_lo, 29, v35
	v_cndmask_b32_e32 v5, v5, v31, vcc_lo
	s_wait_dscnt 0x0
	s_delay_alu instid0(VALU_DEP_1) | instskip(NEXT) | instid1(VALU_DEP_1)
	v_fmac_f32_e32 v32, v5, v33
	v_fma_f32 v5, v4, v36, v32
	s_delay_alu instid0(VALU_DEP_1)
	v_cndmask_b32_e64 v32, v32, v5, s0
.LBB93_469:
	s_or_b32 exec_lo, exec_lo, s3
	v_mov_b32_e32 v5, 0
	ds_load_b32 v5, v5 offset:12
	s_wait_dscnt 0x0
	v_mul_f32_e32 v5, v32, v5
.LBB93_470:
	s_or_b32 exec_lo, exec_lo, s2
	s_delay_alu instid0(SALU_CYCLE_1)
	s_mov_b32 s2, exec_lo
	ds_store_b32 v129, v6
	s_wait_dscnt 0x0
	s_barrier_signal -1
	s_barrier_wait -1
	v_cmpx_gt_u32_e32 4, v0
	s_cbranch_execz .LBB93_480
; %bb.471:
	v_cmp_ne_u32_e32 vcc_lo, 1, v34
	s_cbranch_vccnz .LBB93_473
; %bb.472:
	v_cmp_eq_u32_e32 vcc_lo, 1, v0
	ds_load_b32 v33, v129
	v_cndmask_b32_e32 v32, v2, v3, vcc_lo
	v_cmp_eq_u32_e32 vcc_lo, 2, v0
	s_delay_alu instid0(VALU_DEP_2) | instskip(SKIP_1) | instid1(VALU_DEP_2)
	v_cndmask_b32_e32 v32, v32, v4, vcc_lo
	v_cmp_eq_u32_e32 vcc_lo, 3, v0
	v_cndmask_b32_e32 v32, v32, v5, vcc_lo
	v_cmp_eq_u32_e32 vcc_lo, 4, v0
	s_delay_alu instid0(VALU_DEP_2) | instskip(SKIP_1) | instid1(VALU_DEP_2)
	v_cndmask_b32_e32 v32, v32, v6, vcc_lo
	v_cmp_eq_u32_e32 vcc_lo, 5, v0
	v_cndmask_b32_e32 v32, v32, v7, vcc_lo
	v_cmp_eq_u32_e32 vcc_lo, 6, v0
	s_delay_alu instid0(VALU_DEP_2) | instskip(SKIP_1) | instid1(VALU_DEP_2)
	v_cndmask_b32_e32 v32, v32, v8, vcc_lo
	v_cmp_eq_u32_e32 vcc_lo, 7, v0
	v_cndmask_b32_e32 v32, v32, v9, vcc_lo
	v_cmp_eq_u32_e32 vcc_lo, 8, v0
	s_delay_alu instid0(VALU_DEP_2) | instskip(SKIP_1) | instid1(VALU_DEP_2)
	v_cndmask_b32_e32 v32, v32, v10, vcc_lo
	v_cmp_eq_u32_e32 vcc_lo, 9, v0
	v_cndmask_b32_e32 v32, v32, v11, vcc_lo
	v_cmp_eq_u32_e32 vcc_lo, 10, v0
	s_delay_alu instid0(VALU_DEP_2) | instskip(SKIP_1) | instid1(VALU_DEP_2)
	v_cndmask_b32_e32 v32, v32, v12, vcc_lo
	v_cmp_eq_u32_e32 vcc_lo, 11, v0
	v_cndmask_b32_e32 v32, v32, v13, vcc_lo
	v_cmp_eq_u32_e32 vcc_lo, 12, v0
	s_delay_alu instid0(VALU_DEP_2) | instskip(SKIP_1) | instid1(VALU_DEP_2)
	v_cndmask_b32_e32 v32, v32, v14, vcc_lo
	v_cmp_eq_u32_e32 vcc_lo, 13, v0
	v_cndmask_b32_e32 v32, v32, v15, vcc_lo
	v_cmp_eq_u32_e32 vcc_lo, 14, v0
	s_delay_alu instid0(VALU_DEP_2) | instskip(SKIP_1) | instid1(VALU_DEP_2)
	v_cndmask_b32_e32 v32, v32, v16, vcc_lo
	v_cmp_eq_u32_e32 vcc_lo, 15, v0
	v_cndmask_b32_e32 v32, v32, v17, vcc_lo
	v_cmp_eq_u32_e32 vcc_lo, 16, v0
	s_delay_alu instid0(VALU_DEP_2) | instskip(SKIP_1) | instid1(VALU_DEP_2)
	v_cndmask_b32_e32 v32, v32, v18, vcc_lo
	v_cmp_eq_u32_e32 vcc_lo, 17, v0
	v_cndmask_b32_e32 v32, v32, v19, vcc_lo
	v_cmp_eq_u32_e32 vcc_lo, 18, v0
	s_delay_alu instid0(VALU_DEP_2) | instskip(SKIP_1) | instid1(VALU_DEP_2)
	v_cndmask_b32_e32 v32, v32, v20, vcc_lo
	v_cmp_eq_u32_e32 vcc_lo, 19, v0
	v_cndmask_b32_e32 v32, v32, v21, vcc_lo
	v_cmp_eq_u32_e32 vcc_lo, 20, v0
	s_delay_alu instid0(VALU_DEP_2) | instskip(SKIP_1) | instid1(VALU_DEP_2)
	v_cndmask_b32_e32 v32, v32, v22, vcc_lo
	v_cmp_eq_u32_e32 vcc_lo, 21, v0
	v_cndmask_b32_e32 v32, v32, v23, vcc_lo
	v_cmp_eq_u32_e32 vcc_lo, 22, v0
	s_delay_alu instid0(VALU_DEP_2) | instskip(SKIP_1) | instid1(VALU_DEP_2)
	v_cndmask_b32_e32 v32, v32, v24, vcc_lo
	v_cmp_eq_u32_e32 vcc_lo, 23, v0
	v_cndmask_b32_e32 v32, v32, v25, vcc_lo
	v_cmp_eq_u32_e32 vcc_lo, 24, v0
	s_delay_alu instid0(VALU_DEP_2) | instskip(SKIP_1) | instid1(VALU_DEP_2)
	v_cndmask_b32_e32 v32, v32, v26, vcc_lo
	v_cmp_eq_u32_e32 vcc_lo, 25, v0
	v_cndmask_b32_e32 v32, v32, v27, vcc_lo
	v_cmp_eq_u32_e32 vcc_lo, 26, v0
	s_delay_alu instid0(VALU_DEP_2) | instskip(SKIP_1) | instid1(VALU_DEP_2)
	v_cndmask_b32_e32 v32, v32, v28, vcc_lo
	v_cmp_eq_u32_e32 vcc_lo, 27, v0
	v_cndmask_b32_e32 v32, v32, v29, vcc_lo
	v_cmp_eq_u32_e32 vcc_lo, 28, v0
	s_delay_alu instid0(VALU_DEP_2) | instskip(SKIP_1) | instid1(VALU_DEP_2)
	v_cndmask_b32_e32 v32, v32, v30, vcc_lo
	v_cmp_eq_u32_e32 vcc_lo, 29, v0
	v_cndmask_b32_e32 v32, v32, v31, vcc_lo
	s_wait_dscnt 0x0
	s_delay_alu instid0(VALU_DEP_1)
	v_mul_f32_e32 v36, v32, v33
	s_cbranch_execz .LBB93_474
	s_branch .LBB93_475
.LBB93_473:
                                        ; implicit-def: $vgpr36
.LBB93_474:
	ds_load_b32 v36, v129
.LBB93_475:
	s_mov_b32 s3, exec_lo
	v_cmpx_ne_u32_e32 3, v0
	s_cbranch_execz .LBB93_479
; %bb.476:
	v_mov_b64_e32 v[32:33], v[0:1]
	v_lshl_add_u32 v37, v0, 2, 0x84
	s_mov_b32 s4, 0
.LBB93_477:                             ; =>This Inner Loop Header: Depth=1
	s_delay_alu instid0(VALU_DEP_2)
	v_add_nc_u64_e32 v[32:33], 1, v[32:33]
	ds_load_b32 v39, v37
	v_add_nc_u32_e32 v37, 4, v37
	v_cmp_eq_u32_e32 vcc_lo, 1, v32
	v_cndmask_b32_e32 v38, v2, v3, vcc_lo
	v_cmp_eq_u32_e32 vcc_lo, 2, v32
	s_delay_alu instid0(VALU_DEP_2) | instskip(SKIP_1) | instid1(VALU_DEP_2)
	v_cndmask_b32_e32 v38, v38, v4, vcc_lo
	v_cmp_eq_u32_e32 vcc_lo, 3, v32
	v_cndmask_b32_e32 v38, v38, v5, vcc_lo
	v_cmp_eq_u32_e32 vcc_lo, 4, v32
	s_delay_alu instid0(VALU_DEP_2) | instskip(SKIP_1) | instid1(VALU_DEP_2)
	v_cndmask_b32_e32 v38, v38, v6, vcc_lo
	;; [unrolled: 5-line block ×14, first 2 shown]
	v_cmp_eq_u32_e32 vcc_lo, 29, v32
	v_cndmask_b32_e32 v38, v38, v31, vcc_lo
	v_cmp_lt_u32_e32 vcc_lo, 2, v32
	s_wait_dscnt 0x0
	s_delay_alu instid0(VALU_DEP_2) | instskip(SKIP_1) | instid1(SALU_CYCLE_1)
	v_fmac_f32_e32 v36, v38, v39
	s_or_b32 s4, vcc_lo, s4
	s_and_not1_b32 exec_lo, exec_lo, s4
	s_cbranch_execnz .LBB93_477
; %bb.478:
	s_or_b32 exec_lo, exec_lo, s4
.LBB93_479:
	s_delay_alu instid0(SALU_CYCLE_1)
	s_or_b32 exec_lo, exec_lo, s3
	v_mov_b32_e32 v6, 0
	ds_load_b32 v6, v6 offset:16
	s_wait_dscnt 0x0
	v_mul_f32_e32 v6, v36, v6
.LBB93_480:
	s_or_b32 exec_lo, exec_lo, s2
	v_cmp_gt_u32_e64 s2, 5, v0
	ds_store_b32 v129, v7
	s_wait_dscnt 0x0
	s_barrier_signal -1
	s_barrier_wait -1
	s_and_saveexec_b32 s3, s2
	s_cbranch_execz .LBB93_490
; %bb.481:
	v_cmp_ne_u32_e32 vcc_lo, 1, v34
	s_cbranch_vccnz .LBB93_483
; %bb.482:
	v_cmp_eq_u32_e32 vcc_lo, 1, v0
	ds_load_b32 v33, v129
	v_cndmask_b32_e32 v32, v2, v3, vcc_lo
	v_cmp_eq_u32_e32 vcc_lo, 2, v0
	s_delay_alu instid0(VALU_DEP_2) | instskip(SKIP_1) | instid1(VALU_DEP_2)
	v_cndmask_b32_e32 v32, v32, v4, vcc_lo
	v_cmp_eq_u32_e32 vcc_lo, 3, v0
	v_cndmask_b32_e32 v32, v32, v5, vcc_lo
	v_cmp_eq_u32_e32 vcc_lo, 4, v0
	s_delay_alu instid0(VALU_DEP_2) | instskip(SKIP_1) | instid1(VALU_DEP_2)
	v_cndmask_b32_e32 v32, v32, v6, vcc_lo
	v_cmp_eq_u32_e32 vcc_lo, 5, v0
	;; [unrolled: 5-line block ×14, first 2 shown]
	v_cndmask_b32_e32 v32, v32, v31, vcc_lo
	s_wait_dscnt 0x0
	s_delay_alu instid0(VALU_DEP_1)
	v_mul_f32_e32 v36, v32, v33
	s_cbranch_execz .LBB93_484
	s_branch .LBB93_485
.LBB93_483:
                                        ; implicit-def: $vgpr36
.LBB93_484:
	ds_load_b32 v36, v129
.LBB93_485:
	s_mov_b32 s4, exec_lo
	v_cmpx_ne_u32_e32 4, v0
	s_cbranch_execz .LBB93_489
; %bb.486:
	v_mov_b64_e32 v[32:33], v[0:1]
	v_lshl_add_u32 v37, v0, 2, 0x84
	s_mov_b32 s5, 0
.LBB93_487:                             ; =>This Inner Loop Header: Depth=1
	s_delay_alu instid0(VALU_DEP_2)
	v_add_nc_u64_e32 v[32:33], 1, v[32:33]
	ds_load_b32 v39, v37
	v_add_nc_u32_e32 v37, 4, v37
	v_cmp_eq_u32_e32 vcc_lo, 1, v32
	v_cndmask_b32_e32 v38, v2, v3, vcc_lo
	v_cmp_eq_u32_e32 vcc_lo, 2, v32
	s_delay_alu instid0(VALU_DEP_2) | instskip(SKIP_1) | instid1(VALU_DEP_2)
	v_cndmask_b32_e32 v38, v38, v4, vcc_lo
	v_cmp_eq_u32_e32 vcc_lo, 3, v32
	v_cndmask_b32_e32 v38, v38, v5, vcc_lo
	v_cmp_eq_u32_e32 vcc_lo, 4, v32
	s_delay_alu instid0(VALU_DEP_2) | instskip(SKIP_1) | instid1(VALU_DEP_2)
	v_cndmask_b32_e32 v38, v38, v6, vcc_lo
	;; [unrolled: 5-line block ×14, first 2 shown]
	v_cmp_eq_u32_e32 vcc_lo, 29, v32
	v_cndmask_b32_e32 v38, v38, v31, vcc_lo
	v_cmp_lt_u32_e32 vcc_lo, 3, v32
	s_wait_dscnt 0x0
	s_delay_alu instid0(VALU_DEP_2) | instskip(SKIP_1) | instid1(SALU_CYCLE_1)
	v_fmac_f32_e32 v36, v38, v39
	s_or_b32 s5, vcc_lo, s5
	s_and_not1_b32 exec_lo, exec_lo, s5
	s_cbranch_execnz .LBB93_487
; %bb.488:
	s_or_b32 exec_lo, exec_lo, s5
.LBB93_489:
	s_delay_alu instid0(SALU_CYCLE_1)
	s_or_b32 exec_lo, exec_lo, s4
	v_mov_b32_e32 v7, 0
	ds_load_b32 v7, v7 offset:20
	s_wait_dscnt 0x0
	v_mul_f32_e32 v7, v36, v7
.LBB93_490:
	s_or_b32 exec_lo, exec_lo, s3
	s_delay_alu instid0(SALU_CYCLE_1)
	s_mov_b32 s3, exec_lo
	ds_store_b32 v129, v8
	s_wait_dscnt 0x0
	s_barrier_signal -1
	s_barrier_wait -1
	v_cmpx_gt_u32_e32 6, v0
	s_cbranch_execz .LBB93_500
; %bb.491:
	v_cmp_ne_u32_e32 vcc_lo, 1, v34
	s_cbranch_vccnz .LBB93_493
; %bb.492:
	v_cmp_eq_u32_e32 vcc_lo, 1, v0
	ds_load_b32 v33, v129
	v_cndmask_b32_e32 v32, v2, v3, vcc_lo
	v_cmp_eq_u32_e32 vcc_lo, 2, v0
	s_delay_alu instid0(VALU_DEP_2) | instskip(SKIP_1) | instid1(VALU_DEP_2)
	v_cndmask_b32_e32 v32, v32, v4, vcc_lo
	v_cmp_eq_u32_e32 vcc_lo, 3, v0
	v_cndmask_b32_e32 v32, v32, v5, vcc_lo
	v_cmp_eq_u32_e32 vcc_lo, 4, v0
	s_delay_alu instid0(VALU_DEP_2) | instskip(SKIP_1) | instid1(VALU_DEP_2)
	v_cndmask_b32_e32 v32, v32, v6, vcc_lo
	v_cmp_eq_u32_e32 vcc_lo, 5, v0
	;; [unrolled: 5-line block ×14, first 2 shown]
	v_cndmask_b32_e32 v32, v32, v31, vcc_lo
	s_wait_dscnt 0x0
	s_delay_alu instid0(VALU_DEP_1)
	v_mul_f32_e32 v36, v32, v33
	s_cbranch_execz .LBB93_494
	s_branch .LBB93_495
.LBB93_493:
                                        ; implicit-def: $vgpr36
.LBB93_494:
	ds_load_b32 v36, v129
.LBB93_495:
	s_mov_b32 s4, exec_lo
	v_cmpx_ne_u32_e32 5, v0
	s_cbranch_execz .LBB93_499
; %bb.496:
	v_mov_b64_e32 v[32:33], v[0:1]
	v_lshl_add_u32 v37, v0, 2, 0x84
	s_mov_b32 s5, 0
.LBB93_497:                             ; =>This Inner Loop Header: Depth=1
	s_delay_alu instid0(VALU_DEP_2)
	v_add_nc_u64_e32 v[32:33], 1, v[32:33]
	ds_load_b32 v39, v37
	v_add_nc_u32_e32 v37, 4, v37
	v_cmp_eq_u32_e32 vcc_lo, 1, v32
	v_cndmask_b32_e32 v38, v2, v3, vcc_lo
	v_cmp_eq_u32_e32 vcc_lo, 2, v32
	s_delay_alu instid0(VALU_DEP_2) | instskip(SKIP_1) | instid1(VALU_DEP_2)
	v_cndmask_b32_e32 v38, v38, v4, vcc_lo
	v_cmp_eq_u32_e32 vcc_lo, 3, v32
	v_cndmask_b32_e32 v38, v38, v5, vcc_lo
	v_cmp_eq_u32_e32 vcc_lo, 4, v32
	s_delay_alu instid0(VALU_DEP_2) | instskip(SKIP_1) | instid1(VALU_DEP_2)
	v_cndmask_b32_e32 v38, v38, v6, vcc_lo
	;; [unrolled: 5-line block ×14, first 2 shown]
	v_cmp_eq_u32_e32 vcc_lo, 29, v32
	v_cndmask_b32_e32 v38, v38, v31, vcc_lo
	v_cmp_lt_u32_e32 vcc_lo, 4, v32
	s_wait_dscnt 0x0
	s_delay_alu instid0(VALU_DEP_2) | instskip(SKIP_1) | instid1(SALU_CYCLE_1)
	v_fmac_f32_e32 v36, v38, v39
	s_or_b32 s5, vcc_lo, s5
	s_and_not1_b32 exec_lo, exec_lo, s5
	s_cbranch_execnz .LBB93_497
; %bb.498:
	s_or_b32 exec_lo, exec_lo, s5
.LBB93_499:
	s_delay_alu instid0(SALU_CYCLE_1)
	s_or_b32 exec_lo, exec_lo, s4
	v_mov_b32_e32 v8, 0
	ds_load_b32 v8, v8 offset:24
	s_wait_dscnt 0x0
	v_mul_f32_e32 v8, v36, v8
.LBB93_500:
	s_or_b32 exec_lo, exec_lo, s3
	v_cmp_gt_u32_e64 s3, 7, v0
	ds_store_b32 v129, v9
	s_wait_dscnt 0x0
	s_barrier_signal -1
	s_barrier_wait -1
	s_and_saveexec_b32 s4, s3
	s_cbranch_execz .LBB93_510
; %bb.501:
	v_cmp_ne_u32_e32 vcc_lo, 1, v34
	s_cbranch_vccnz .LBB93_503
; %bb.502:
	v_cmp_eq_u32_e32 vcc_lo, 1, v0
	ds_load_b32 v33, v129
	v_cndmask_b32_e32 v32, v2, v3, vcc_lo
	v_cmp_eq_u32_e32 vcc_lo, 2, v0
	s_delay_alu instid0(VALU_DEP_2) | instskip(SKIP_1) | instid1(VALU_DEP_2)
	v_cndmask_b32_e32 v32, v32, v4, vcc_lo
	v_cmp_eq_u32_e32 vcc_lo, 3, v0
	v_cndmask_b32_e32 v32, v32, v5, vcc_lo
	v_cmp_eq_u32_e32 vcc_lo, 4, v0
	s_delay_alu instid0(VALU_DEP_2) | instskip(SKIP_1) | instid1(VALU_DEP_2)
	v_cndmask_b32_e32 v32, v32, v6, vcc_lo
	v_cmp_eq_u32_e32 vcc_lo, 5, v0
	;; [unrolled: 5-line block ×14, first 2 shown]
	v_cndmask_b32_e32 v32, v32, v31, vcc_lo
	s_wait_dscnt 0x0
	s_delay_alu instid0(VALU_DEP_1)
	v_mul_f32_e32 v36, v32, v33
	s_cbranch_execz .LBB93_504
	s_branch .LBB93_505
.LBB93_503:
                                        ; implicit-def: $vgpr36
.LBB93_504:
	ds_load_b32 v36, v129
.LBB93_505:
	s_mov_b32 s5, exec_lo
	v_cmpx_ne_u32_e32 6, v0
	s_cbranch_execz .LBB93_509
; %bb.506:
	v_mov_b64_e32 v[32:33], v[0:1]
	v_lshl_add_u32 v37, v0, 2, 0x84
	s_mov_b32 s6, 0
.LBB93_507:                             ; =>This Inner Loop Header: Depth=1
	s_delay_alu instid0(VALU_DEP_2)
	v_add_nc_u64_e32 v[32:33], 1, v[32:33]
	ds_load_b32 v39, v37
	v_add_nc_u32_e32 v37, 4, v37
	v_cmp_eq_u32_e32 vcc_lo, 1, v32
	v_cndmask_b32_e32 v38, v2, v3, vcc_lo
	v_cmp_eq_u32_e32 vcc_lo, 2, v32
	s_delay_alu instid0(VALU_DEP_2) | instskip(SKIP_1) | instid1(VALU_DEP_2)
	v_cndmask_b32_e32 v38, v38, v4, vcc_lo
	v_cmp_eq_u32_e32 vcc_lo, 3, v32
	v_cndmask_b32_e32 v38, v38, v5, vcc_lo
	v_cmp_eq_u32_e32 vcc_lo, 4, v32
	s_delay_alu instid0(VALU_DEP_2) | instskip(SKIP_1) | instid1(VALU_DEP_2)
	v_cndmask_b32_e32 v38, v38, v6, vcc_lo
	;; [unrolled: 5-line block ×14, first 2 shown]
	v_cmp_eq_u32_e32 vcc_lo, 29, v32
	v_cndmask_b32_e32 v38, v38, v31, vcc_lo
	v_cmp_lt_u32_e32 vcc_lo, 5, v32
	s_wait_dscnt 0x0
	s_delay_alu instid0(VALU_DEP_2) | instskip(SKIP_1) | instid1(SALU_CYCLE_1)
	v_fmac_f32_e32 v36, v38, v39
	s_or_b32 s6, vcc_lo, s6
	s_and_not1_b32 exec_lo, exec_lo, s6
	s_cbranch_execnz .LBB93_507
; %bb.508:
	s_or_b32 exec_lo, exec_lo, s6
.LBB93_509:
	s_delay_alu instid0(SALU_CYCLE_1)
	s_or_b32 exec_lo, exec_lo, s5
	v_mov_b32_e32 v9, 0
	ds_load_b32 v9, v9 offset:28
	s_wait_dscnt 0x0
	v_mul_f32_e32 v9, v36, v9
.LBB93_510:
	s_or_b32 exec_lo, exec_lo, s4
	s_delay_alu instid0(SALU_CYCLE_1)
	s_mov_b32 s4, exec_lo
	ds_store_b32 v129, v10
	s_wait_dscnt 0x0
	s_barrier_signal -1
	s_barrier_wait -1
	v_cmpx_gt_u32_e32 8, v0
	s_cbranch_execz .LBB93_520
; %bb.511:
	v_cmp_ne_u32_e32 vcc_lo, 1, v34
	s_cbranch_vccnz .LBB93_513
; %bb.512:
	v_cmp_eq_u32_e32 vcc_lo, 1, v0
	ds_load_b32 v33, v129
	v_cndmask_b32_e32 v32, v2, v3, vcc_lo
	v_cmp_eq_u32_e32 vcc_lo, 2, v0
	s_delay_alu instid0(VALU_DEP_2) | instskip(SKIP_1) | instid1(VALU_DEP_2)
	v_cndmask_b32_e32 v32, v32, v4, vcc_lo
	v_cmp_eq_u32_e32 vcc_lo, 3, v0
	v_cndmask_b32_e32 v32, v32, v5, vcc_lo
	v_cmp_eq_u32_e32 vcc_lo, 4, v0
	s_delay_alu instid0(VALU_DEP_2) | instskip(SKIP_1) | instid1(VALU_DEP_2)
	v_cndmask_b32_e32 v32, v32, v6, vcc_lo
	v_cmp_eq_u32_e32 vcc_lo, 5, v0
	;; [unrolled: 5-line block ×14, first 2 shown]
	v_cndmask_b32_e32 v32, v32, v31, vcc_lo
	s_wait_dscnt 0x0
	s_delay_alu instid0(VALU_DEP_1)
	v_mul_f32_e32 v36, v32, v33
	s_cbranch_execz .LBB93_514
	s_branch .LBB93_515
.LBB93_513:
                                        ; implicit-def: $vgpr36
.LBB93_514:
	ds_load_b32 v36, v129
.LBB93_515:
	s_mov_b32 s5, exec_lo
	v_cmpx_ne_u32_e32 7, v0
	s_cbranch_execz .LBB93_519
; %bb.516:
	v_mov_b64_e32 v[32:33], v[0:1]
	v_lshl_add_u32 v37, v0, 2, 0x84
	s_mov_b32 s6, 0
.LBB93_517:                             ; =>This Inner Loop Header: Depth=1
	s_delay_alu instid0(VALU_DEP_2)
	v_add_nc_u64_e32 v[32:33], 1, v[32:33]
	ds_load_b32 v39, v37
	v_add_nc_u32_e32 v37, 4, v37
	v_cmp_eq_u32_e32 vcc_lo, 1, v32
	v_cndmask_b32_e32 v38, v2, v3, vcc_lo
	v_cmp_eq_u32_e32 vcc_lo, 2, v32
	s_delay_alu instid0(VALU_DEP_2) | instskip(SKIP_1) | instid1(VALU_DEP_2)
	v_cndmask_b32_e32 v38, v38, v4, vcc_lo
	v_cmp_eq_u32_e32 vcc_lo, 3, v32
	v_cndmask_b32_e32 v38, v38, v5, vcc_lo
	v_cmp_eq_u32_e32 vcc_lo, 4, v32
	s_delay_alu instid0(VALU_DEP_2) | instskip(SKIP_1) | instid1(VALU_DEP_2)
	v_cndmask_b32_e32 v38, v38, v6, vcc_lo
	;; [unrolled: 5-line block ×14, first 2 shown]
	v_cmp_eq_u32_e32 vcc_lo, 29, v32
	v_cndmask_b32_e32 v38, v38, v31, vcc_lo
	v_cmp_lt_u32_e32 vcc_lo, 6, v32
	s_wait_dscnt 0x0
	s_delay_alu instid0(VALU_DEP_2) | instskip(SKIP_1) | instid1(SALU_CYCLE_1)
	v_fmac_f32_e32 v36, v38, v39
	s_or_b32 s6, vcc_lo, s6
	s_and_not1_b32 exec_lo, exec_lo, s6
	s_cbranch_execnz .LBB93_517
; %bb.518:
	s_or_b32 exec_lo, exec_lo, s6
.LBB93_519:
	s_delay_alu instid0(SALU_CYCLE_1)
	s_or_b32 exec_lo, exec_lo, s5
	v_mov_b32_e32 v10, 0
	ds_load_b32 v10, v10 offset:32
	s_wait_dscnt 0x0
	v_mul_f32_e32 v10, v36, v10
.LBB93_520:
	s_or_b32 exec_lo, exec_lo, s4
	s_delay_alu instid0(SALU_CYCLE_1)
	s_mov_b32 s4, exec_lo
	ds_store_b32 v129, v11
	s_wait_dscnt 0x0
	s_barrier_signal -1
	s_barrier_wait -1
	v_cmpx_gt_u32_e32 9, v0
	s_cbranch_execz .LBB93_542
; %bb.521:
	v_cmp_ne_u32_e32 vcc_lo, 1, v34
	s_cbranch_vccnz .LBB93_523
; %bb.522:
	v_cmp_eq_u32_e32 vcc_lo, 1, v0
	ds_load_b32 v33, v129
	v_cndmask_b32_e32 v32, v2, v3, vcc_lo
	v_cmp_eq_u32_e32 vcc_lo, 2, v0
	s_delay_alu instid0(VALU_DEP_2) | instskip(SKIP_1) | instid1(VALU_DEP_2)
	v_cndmask_b32_e32 v32, v32, v4, vcc_lo
	v_cmp_eq_u32_e32 vcc_lo, 3, v0
	v_cndmask_b32_e32 v32, v32, v5, vcc_lo
	v_cmp_eq_u32_e32 vcc_lo, 4, v0
	s_delay_alu instid0(VALU_DEP_2) | instskip(SKIP_1) | instid1(VALU_DEP_2)
	v_cndmask_b32_e32 v32, v32, v6, vcc_lo
	v_cmp_eq_u32_e32 vcc_lo, 5, v0
	;; [unrolled: 5-line block ×14, first 2 shown]
	v_cndmask_b32_e32 v32, v32, v31, vcc_lo
	s_wait_dscnt 0x0
	s_delay_alu instid0(VALU_DEP_1)
	v_mul_f32_e32 v32, v32, v33
	s_cbranch_execz .LBB93_524
	s_branch .LBB93_525
.LBB93_523:
                                        ; implicit-def: $vgpr32
.LBB93_524:
	ds_load_b32 v32, v129
.LBB93_525:
	s_mov_b32 s5, exec_lo
	v_cmpx_ne_u32_e32 8, v0
	s_cbranch_execz .LBB93_541
; %bb.526:
	v_cmp_eq_u32_e32 vcc_lo, 1, v35
	ds_load_b32 v36, v129 offset:4
	v_cndmask_b32_e32 v33, v2, v3, vcc_lo
	v_cmp_eq_u32_e32 vcc_lo, 2, v35
	s_delay_alu instid0(VALU_DEP_2) | instskip(SKIP_1) | instid1(VALU_DEP_2)
	v_cndmask_b32_e32 v33, v33, v4, vcc_lo
	v_cmp_eq_u32_e32 vcc_lo, 3, v35
	v_cndmask_b32_e32 v33, v33, v5, vcc_lo
	v_cmp_eq_u32_e32 vcc_lo, 4, v35
	s_delay_alu instid0(VALU_DEP_2) | instskip(SKIP_1) | instid1(VALU_DEP_2)
	v_cndmask_b32_e32 v33, v33, v6, vcc_lo
	v_cmp_eq_u32_e32 vcc_lo, 5, v35
	;; [unrolled: 5-line block ×14, first 2 shown]
	v_cndmask_b32_e32 v33, v33, v31, vcc_lo
	s_wait_dscnt 0x0
	s_delay_alu instid0(VALU_DEP_1)
	v_fmac_f32_e32 v32, v33, v36
	s_and_saveexec_b32 s6, s3
	s_cbranch_execz .LBB93_540
; %bb.527:
	v_add_nc_u32_e32 v33, 2, v0
	ds_load_b32 v36, v129 offset:8
	s_mov_b32 s3, exec_lo
	v_cmp_eq_u32_e32 vcc_lo, 1, v33
	v_cndmask_b32_e32 v35, v2, v3, vcc_lo
	v_cmp_eq_u32_e32 vcc_lo, 2, v33
	s_delay_alu instid0(VALU_DEP_2) | instskip(SKIP_1) | instid1(VALU_DEP_2)
	v_cndmask_b32_e32 v35, v35, v4, vcc_lo
	v_cmp_eq_u32_e32 vcc_lo, 3, v33
	v_cndmask_b32_e32 v35, v35, v5, vcc_lo
	v_cmp_eq_u32_e32 vcc_lo, 4, v33
	s_delay_alu instid0(VALU_DEP_2) | instskip(SKIP_1) | instid1(VALU_DEP_2)
	v_cndmask_b32_e32 v35, v35, v6, vcc_lo
	;; [unrolled: 5-line block ×14, first 2 shown]
	v_cmp_eq_u32_e32 vcc_lo, 29, v33
	v_cndmask_b32_e32 v33, v35, v31, vcc_lo
	s_wait_dscnt 0x0
	s_delay_alu instid0(VALU_DEP_1)
	v_fmac_f32_e32 v32, v33, v36
	v_cmpx_ne_u32_e32 6, v0
	s_cbranch_execz .LBB93_539
; %bb.528:
	v_add_nc_u32_e32 v33, 3, v0
	ds_load_b32 v36, v129 offset:12
	v_cmp_eq_u32_e32 vcc_lo, 1, v33
	v_cndmask_b32_e32 v35, v2, v3, vcc_lo
	v_cmp_eq_u32_e32 vcc_lo, 2, v33
	s_delay_alu instid0(VALU_DEP_2) | instskip(SKIP_1) | instid1(VALU_DEP_2)
	v_cndmask_b32_e32 v35, v35, v4, vcc_lo
	v_cmp_eq_u32_e32 vcc_lo, 3, v33
	v_cndmask_b32_e32 v35, v35, v5, vcc_lo
	v_cmp_eq_u32_e32 vcc_lo, 4, v33
	s_delay_alu instid0(VALU_DEP_2) | instskip(SKIP_1) | instid1(VALU_DEP_2)
	v_cndmask_b32_e32 v35, v35, v6, vcc_lo
	;; [unrolled: 5-line block ×14, first 2 shown]
	v_cmp_eq_u32_e32 vcc_lo, 29, v33
	v_cndmask_b32_e32 v33, v35, v31, vcc_lo
	s_wait_dscnt 0x0
	s_delay_alu instid0(VALU_DEP_1)
	v_fmac_f32_e32 v32, v33, v36
	s_and_saveexec_b32 s7, s2
	s_cbranch_execz .LBB93_538
; %bb.529:
	v_add_nc_u32_e32 v33, 4, v0
	ds_load_b32 v36, v129 offset:16
	s_mov_b32 s2, exec_lo
	v_cmp_eq_u32_e32 vcc_lo, 1, v33
	v_cndmask_b32_e32 v35, v2, v3, vcc_lo
	v_cmp_eq_u32_e32 vcc_lo, 2, v33
	s_delay_alu instid0(VALU_DEP_2) | instskip(SKIP_1) | instid1(VALU_DEP_2)
	v_cndmask_b32_e32 v35, v35, v4, vcc_lo
	v_cmp_eq_u32_e32 vcc_lo, 3, v33
	v_cndmask_b32_e32 v35, v35, v5, vcc_lo
	v_cmp_eq_u32_e32 vcc_lo, 4, v33
	s_delay_alu instid0(VALU_DEP_2) | instskip(SKIP_1) | instid1(VALU_DEP_2)
	v_cndmask_b32_e32 v35, v35, v6, vcc_lo
	;; [unrolled: 5-line block ×14, first 2 shown]
	v_cmp_eq_u32_e32 vcc_lo, 29, v33
	v_cndmask_b32_e32 v33, v35, v31, vcc_lo
	s_wait_dscnt 0x0
	s_delay_alu instid0(VALU_DEP_1)
	v_fmac_f32_e32 v32, v33, v36
	v_cmpx_ne_u32_e32 4, v0
	s_cbranch_execz .LBB93_537
; %bb.530:
	v_add_nc_u32_e32 v33, 5, v0
	ds_load_b32 v36, v129 offset:20
	v_cmp_eq_u32_e32 vcc_lo, 1, v33
	v_cndmask_b32_e32 v35, v2, v3, vcc_lo
	v_cmp_eq_u32_e32 vcc_lo, 2, v33
	s_delay_alu instid0(VALU_DEP_2) | instskip(SKIP_1) | instid1(VALU_DEP_2)
	v_cndmask_b32_e32 v35, v35, v4, vcc_lo
	v_cmp_eq_u32_e32 vcc_lo, 3, v33
	v_cndmask_b32_e32 v35, v35, v5, vcc_lo
	v_cmp_eq_u32_e32 vcc_lo, 4, v33
	s_delay_alu instid0(VALU_DEP_2) | instskip(SKIP_1) | instid1(VALU_DEP_2)
	v_cndmask_b32_e32 v35, v35, v6, vcc_lo
	;; [unrolled: 5-line block ×14, first 2 shown]
	v_cmp_eq_u32_e32 vcc_lo, 29, v33
	v_cndmask_b32_e32 v33, v35, v31, vcc_lo
	s_wait_dscnt 0x0
	s_delay_alu instid0(VALU_DEP_1)
	v_fmac_f32_e32 v32, v33, v36
	s_and_saveexec_b32 s8, s1
	s_cbranch_execz .LBB93_536
; %bb.531:
	v_add_nc_u32_e32 v33, 6, v0
	ds_load_b32 v36, v129 offset:24
	s_mov_b32 s1, exec_lo
	v_cmp_eq_u32_e32 vcc_lo, 1, v33
	v_cndmask_b32_e32 v35, v2, v3, vcc_lo
	v_cmp_eq_u32_e32 vcc_lo, 2, v33
	s_delay_alu instid0(VALU_DEP_2) | instskip(SKIP_1) | instid1(VALU_DEP_2)
	v_cndmask_b32_e32 v35, v35, v4, vcc_lo
	v_cmp_eq_u32_e32 vcc_lo, 3, v33
	v_cndmask_b32_e32 v35, v35, v5, vcc_lo
	v_cmp_eq_u32_e32 vcc_lo, 4, v33
	s_delay_alu instid0(VALU_DEP_2) | instskip(SKIP_1) | instid1(VALU_DEP_2)
	v_cndmask_b32_e32 v35, v35, v6, vcc_lo
	;; [unrolled: 5-line block ×14, first 2 shown]
	v_cmp_eq_u32_e32 vcc_lo, 29, v33
	v_cndmask_b32_e32 v33, v35, v31, vcc_lo
	s_wait_dscnt 0x0
	s_delay_alu instid0(VALU_DEP_1)
	v_fmac_f32_e32 v32, v33, v36
	v_cmpx_ne_u32_e32 2, v0
	s_cbranch_execz .LBB93_535
; %bb.532:
	v_add_nc_u32_e32 v33, 7, v0
	s_delay_alu instid0(VALU_DEP_1) | instskip(SKIP_2) | instid1(VALU_DEP_2)
	v_cmp_eq_u32_e32 vcc_lo, 1, v33
	v_cndmask_b32_e32 v35, v2, v3, vcc_lo
	v_cmp_eq_u32_e32 vcc_lo, 2, v33
	v_cndmask_b32_e32 v35, v35, v4, vcc_lo
	v_cmp_eq_u32_e32 vcc_lo, 3, v33
	s_delay_alu instid0(VALU_DEP_2) | instskip(SKIP_1) | instid1(VALU_DEP_2)
	v_cndmask_b32_e32 v35, v35, v5, vcc_lo
	v_cmp_eq_u32_e32 vcc_lo, 4, v33
	v_cndmask_b32_e32 v35, v35, v6, vcc_lo
	v_cmp_eq_u32_e32 vcc_lo, 5, v33
	s_delay_alu instid0(VALU_DEP_2) | instskip(SKIP_1) | instid1(VALU_DEP_2)
	;; [unrolled: 5-line block ×3, first 2 shown]
	v_cndmask_b32_e32 v35, v35, v9, vcc_lo
	v_cmp_eq_u32_e32 vcc_lo, 8, v33
	v_cndmask_b32_e32 v35, v35, v10, vcc_lo
	v_cmp_eq_u32_e32 vcc_lo, 9, v33
	s_delay_alu instid0(VALU_DEP_2) | instskip(SKIP_4) | instid1(VALU_DEP_2)
	v_cndmask_b32_e32 v11, v35, v11, vcc_lo
	v_cmp_eq_u32_e32 vcc_lo, 10, v33
	ds_load_b32 v35, v129 offset:28
	v_cndmask_b32_e32 v11, v11, v12, vcc_lo
	v_cmp_eq_u32_e32 vcc_lo, 11, v33
	v_cndmask_b32_e32 v11, v11, v13, vcc_lo
	v_cmp_eq_u32_e32 vcc_lo, 12, v33
	s_delay_alu instid0(VALU_DEP_2) | instskip(SKIP_1) | instid1(VALU_DEP_2)
	v_cndmask_b32_e32 v11, v11, v14, vcc_lo
	v_cmp_eq_u32_e32 vcc_lo, 13, v33
	v_cndmask_b32_e32 v11, v11, v15, vcc_lo
	v_cmp_eq_u32_e32 vcc_lo, 14, v33
	s_delay_alu instid0(VALU_DEP_2) | instskip(SKIP_1) | instid1(VALU_DEP_2)
	;; [unrolled: 5-line block ×9, first 2 shown]
	v_cndmask_b32_e32 v11, v11, v30, vcc_lo
	v_cmp_eq_u32_e32 vcc_lo, 29, v33
	v_cndmask_b32_e32 v11, v11, v31, vcc_lo
	s_wait_dscnt 0x0
	s_delay_alu instid0(VALU_DEP_1)
	v_fmac_f32_e32 v32, v11, v35
	s_and_saveexec_b32 s9, s0
	s_cbranch_execz .LBB93_534
; %bb.533:
	ds_load_b32 v11, v129 offset:32
	s_wait_dscnt 0x0
	v_fmac_f32_e32 v32, v10, v11
.LBB93_534:
	s_or_b32 exec_lo, exec_lo, s9
.LBB93_535:
	s_delay_alu instid0(SALU_CYCLE_1)
	s_or_b32 exec_lo, exec_lo, s1
.LBB93_536:
	s_delay_alu instid0(SALU_CYCLE_1)
	s_or_b32 exec_lo, exec_lo, s8
.LBB93_537:
	s_delay_alu instid0(SALU_CYCLE_1)
	s_or_b32 exec_lo, exec_lo, s2
.LBB93_538:
	s_delay_alu instid0(SALU_CYCLE_1)
	s_or_b32 exec_lo, exec_lo, s7
.LBB93_539:
	s_delay_alu instid0(SALU_CYCLE_1)
	s_or_b32 exec_lo, exec_lo, s3
.LBB93_540:
	s_delay_alu instid0(SALU_CYCLE_1)
	s_or_b32 exec_lo, exec_lo, s6
.LBB93_541:
	s_delay_alu instid0(SALU_CYCLE_1)
	s_or_b32 exec_lo, exec_lo, s5
	v_mov_b32_e32 v11, 0
	ds_load_b32 v11, v11 offset:36
	s_wait_dscnt 0x0
	v_mul_f32_e32 v11, v32, v11
.LBB93_542:
	s_or_b32 exec_lo, exec_lo, s4
	s_delay_alu instid0(SALU_CYCLE_1)
	s_mov_b32 s0, exec_lo
	ds_store_b32 v129, v12
	s_wait_dscnt 0x0
	s_barrier_signal -1
	s_barrier_wait -1
	v_cmpx_gt_u32_e32 10, v0
	s_cbranch_execz .LBB93_552
; %bb.543:
	v_cmp_ne_u32_e32 vcc_lo, 1, v34
	s_cbranch_vccnz .LBB93_545
; %bb.544:
	v_cmp_eq_u32_e32 vcc_lo, 1, v0
	ds_load_b32 v33, v129
	v_cndmask_b32_e32 v32, v2, v3, vcc_lo
	v_cmp_eq_u32_e32 vcc_lo, 2, v0
	s_delay_alu instid0(VALU_DEP_2) | instskip(SKIP_1) | instid1(VALU_DEP_2)
	v_cndmask_b32_e32 v32, v32, v4, vcc_lo
	v_cmp_eq_u32_e32 vcc_lo, 3, v0
	v_cndmask_b32_e32 v32, v32, v5, vcc_lo
	v_cmp_eq_u32_e32 vcc_lo, 4, v0
	s_delay_alu instid0(VALU_DEP_2) | instskip(SKIP_1) | instid1(VALU_DEP_2)
	v_cndmask_b32_e32 v32, v32, v6, vcc_lo
	v_cmp_eq_u32_e32 vcc_lo, 5, v0
	;; [unrolled: 5-line block ×14, first 2 shown]
	v_cndmask_b32_e32 v32, v32, v31, vcc_lo
	s_wait_dscnt 0x0
	s_delay_alu instid0(VALU_DEP_1)
	v_mul_f32_e32 v35, v32, v33
	s_cbranch_execz .LBB93_546
	s_branch .LBB93_547
.LBB93_545:
                                        ; implicit-def: $vgpr35
.LBB93_546:
	ds_load_b32 v35, v129
.LBB93_547:
	s_mov_b32 s1, exec_lo
	v_cmpx_ne_u32_e32 9, v0
	s_cbranch_execz .LBB93_551
; %bb.548:
	v_mov_b64_e32 v[32:33], v[0:1]
	v_lshl_add_u32 v36, v0, 2, 0x84
	s_mov_b32 s2, 0
.LBB93_549:                             ; =>This Inner Loop Header: Depth=1
	s_delay_alu instid0(VALU_DEP_2)
	v_add_nc_u64_e32 v[32:33], 1, v[32:33]
	ds_load_b32 v38, v36
	v_add_nc_u32_e32 v36, 4, v36
	v_cmp_eq_u32_e32 vcc_lo, 1, v32
	v_cndmask_b32_e32 v37, v2, v3, vcc_lo
	v_cmp_eq_u32_e32 vcc_lo, 2, v32
	s_delay_alu instid0(VALU_DEP_2) | instskip(SKIP_1) | instid1(VALU_DEP_2)
	v_cndmask_b32_e32 v37, v37, v4, vcc_lo
	v_cmp_eq_u32_e32 vcc_lo, 3, v32
	v_cndmask_b32_e32 v37, v37, v5, vcc_lo
	v_cmp_eq_u32_e32 vcc_lo, 4, v32
	s_delay_alu instid0(VALU_DEP_2) | instskip(SKIP_1) | instid1(VALU_DEP_2)
	v_cndmask_b32_e32 v37, v37, v6, vcc_lo
	;; [unrolled: 5-line block ×14, first 2 shown]
	v_cmp_eq_u32_e32 vcc_lo, 29, v32
	v_cndmask_b32_e32 v37, v37, v31, vcc_lo
	v_cmp_lt_u32_e32 vcc_lo, 8, v32
	s_wait_dscnt 0x0
	s_delay_alu instid0(VALU_DEP_2) | instskip(SKIP_1) | instid1(SALU_CYCLE_1)
	v_fmac_f32_e32 v35, v37, v38
	s_or_b32 s2, vcc_lo, s2
	s_and_not1_b32 exec_lo, exec_lo, s2
	s_cbranch_execnz .LBB93_549
; %bb.550:
	s_or_b32 exec_lo, exec_lo, s2
.LBB93_551:
	s_delay_alu instid0(SALU_CYCLE_1)
	s_or_b32 exec_lo, exec_lo, s1
	v_mov_b32_e32 v12, 0
	ds_load_b32 v12, v12 offset:40
	s_wait_dscnt 0x0
	v_mul_f32_e32 v12, v35, v12
.LBB93_552:
	s_or_b32 exec_lo, exec_lo, s0
	s_delay_alu instid0(SALU_CYCLE_1)
	s_mov_b32 s0, exec_lo
	ds_store_b32 v129, v13
	s_wait_dscnt 0x0
	s_barrier_signal -1
	s_barrier_wait -1
	v_cmpx_gt_u32_e32 11, v0
	s_cbranch_execz .LBB93_562
; %bb.553:
	v_cmp_ne_u32_e32 vcc_lo, 1, v34
	s_cbranch_vccnz .LBB93_555
; %bb.554:
	v_cmp_eq_u32_e32 vcc_lo, 1, v0
	ds_load_b32 v33, v129
	v_cndmask_b32_e32 v32, v2, v3, vcc_lo
	v_cmp_eq_u32_e32 vcc_lo, 2, v0
	s_delay_alu instid0(VALU_DEP_2) | instskip(SKIP_1) | instid1(VALU_DEP_2)
	v_cndmask_b32_e32 v32, v32, v4, vcc_lo
	v_cmp_eq_u32_e32 vcc_lo, 3, v0
	v_cndmask_b32_e32 v32, v32, v5, vcc_lo
	v_cmp_eq_u32_e32 vcc_lo, 4, v0
	s_delay_alu instid0(VALU_DEP_2) | instskip(SKIP_1) | instid1(VALU_DEP_2)
	v_cndmask_b32_e32 v32, v32, v6, vcc_lo
	v_cmp_eq_u32_e32 vcc_lo, 5, v0
	;; [unrolled: 5-line block ×14, first 2 shown]
	v_cndmask_b32_e32 v32, v32, v31, vcc_lo
	s_wait_dscnt 0x0
	s_delay_alu instid0(VALU_DEP_1)
	v_mul_f32_e32 v35, v32, v33
	s_cbranch_execz .LBB93_556
	s_branch .LBB93_557
.LBB93_555:
                                        ; implicit-def: $vgpr35
.LBB93_556:
	ds_load_b32 v35, v129
.LBB93_557:
	s_mov_b32 s1, exec_lo
	v_cmpx_ne_u32_e32 10, v0
	s_cbranch_execz .LBB93_561
; %bb.558:
	v_mov_b64_e32 v[32:33], v[0:1]
	v_lshl_add_u32 v36, v0, 2, 0x84
	s_mov_b32 s2, 0
.LBB93_559:                             ; =>This Inner Loop Header: Depth=1
	s_delay_alu instid0(VALU_DEP_2)
	v_add_nc_u64_e32 v[32:33], 1, v[32:33]
	ds_load_b32 v38, v36
	v_add_nc_u32_e32 v36, 4, v36
	v_cmp_eq_u32_e32 vcc_lo, 1, v32
	v_cndmask_b32_e32 v37, v2, v3, vcc_lo
	v_cmp_eq_u32_e32 vcc_lo, 2, v32
	s_delay_alu instid0(VALU_DEP_2) | instskip(SKIP_1) | instid1(VALU_DEP_2)
	v_cndmask_b32_e32 v37, v37, v4, vcc_lo
	v_cmp_eq_u32_e32 vcc_lo, 3, v32
	v_cndmask_b32_e32 v37, v37, v5, vcc_lo
	v_cmp_eq_u32_e32 vcc_lo, 4, v32
	s_delay_alu instid0(VALU_DEP_2) | instskip(SKIP_1) | instid1(VALU_DEP_2)
	v_cndmask_b32_e32 v37, v37, v6, vcc_lo
	;; [unrolled: 5-line block ×14, first 2 shown]
	v_cmp_eq_u32_e32 vcc_lo, 29, v32
	v_cndmask_b32_e32 v37, v37, v31, vcc_lo
	v_cmp_lt_u32_e32 vcc_lo, 9, v32
	s_wait_dscnt 0x0
	s_delay_alu instid0(VALU_DEP_2) | instskip(SKIP_1) | instid1(SALU_CYCLE_1)
	v_fmac_f32_e32 v35, v37, v38
	s_or_b32 s2, vcc_lo, s2
	s_and_not1_b32 exec_lo, exec_lo, s2
	s_cbranch_execnz .LBB93_559
; %bb.560:
	s_or_b32 exec_lo, exec_lo, s2
.LBB93_561:
	s_delay_alu instid0(SALU_CYCLE_1)
	s_or_b32 exec_lo, exec_lo, s1
	v_mov_b32_e32 v13, 0
	ds_load_b32 v13, v13 offset:44
	s_wait_dscnt 0x0
	v_mul_f32_e32 v13, v35, v13
.LBB93_562:
	s_or_b32 exec_lo, exec_lo, s0
	s_delay_alu instid0(SALU_CYCLE_1)
	s_mov_b32 s0, exec_lo
	ds_store_b32 v129, v14
	s_wait_dscnt 0x0
	s_barrier_signal -1
	s_barrier_wait -1
	v_cmpx_gt_u32_e32 12, v0
	s_cbranch_execz .LBB93_572
; %bb.563:
	v_cmp_ne_u32_e32 vcc_lo, 1, v34
	s_cbranch_vccnz .LBB93_565
; %bb.564:
	v_cmp_eq_u32_e32 vcc_lo, 1, v0
	ds_load_b32 v33, v129
	v_cndmask_b32_e32 v32, v2, v3, vcc_lo
	v_cmp_eq_u32_e32 vcc_lo, 2, v0
	s_delay_alu instid0(VALU_DEP_2) | instskip(SKIP_1) | instid1(VALU_DEP_2)
	v_cndmask_b32_e32 v32, v32, v4, vcc_lo
	v_cmp_eq_u32_e32 vcc_lo, 3, v0
	v_cndmask_b32_e32 v32, v32, v5, vcc_lo
	v_cmp_eq_u32_e32 vcc_lo, 4, v0
	s_delay_alu instid0(VALU_DEP_2) | instskip(SKIP_1) | instid1(VALU_DEP_2)
	v_cndmask_b32_e32 v32, v32, v6, vcc_lo
	v_cmp_eq_u32_e32 vcc_lo, 5, v0
	v_cndmask_b32_e32 v32, v32, v7, vcc_lo
	v_cmp_eq_u32_e32 vcc_lo, 6, v0
	s_delay_alu instid0(VALU_DEP_2) | instskip(SKIP_1) | instid1(VALU_DEP_2)
	v_cndmask_b32_e32 v32, v32, v8, vcc_lo
	v_cmp_eq_u32_e32 vcc_lo, 7, v0
	v_cndmask_b32_e32 v32, v32, v9, vcc_lo
	v_cmp_eq_u32_e32 vcc_lo, 8, v0
	s_delay_alu instid0(VALU_DEP_2) | instskip(SKIP_1) | instid1(VALU_DEP_2)
	v_cndmask_b32_e32 v32, v32, v10, vcc_lo
	v_cmp_eq_u32_e32 vcc_lo, 9, v0
	v_cndmask_b32_e32 v32, v32, v11, vcc_lo
	v_cmp_eq_u32_e32 vcc_lo, 10, v0
	s_delay_alu instid0(VALU_DEP_2) | instskip(SKIP_1) | instid1(VALU_DEP_2)
	v_cndmask_b32_e32 v32, v32, v12, vcc_lo
	v_cmp_eq_u32_e32 vcc_lo, 11, v0
	v_cndmask_b32_e32 v32, v32, v13, vcc_lo
	v_cmp_eq_u32_e32 vcc_lo, 12, v0
	s_delay_alu instid0(VALU_DEP_2) | instskip(SKIP_1) | instid1(VALU_DEP_2)
	v_cndmask_b32_e32 v32, v32, v14, vcc_lo
	v_cmp_eq_u32_e32 vcc_lo, 13, v0
	v_cndmask_b32_e32 v32, v32, v15, vcc_lo
	v_cmp_eq_u32_e32 vcc_lo, 14, v0
	s_delay_alu instid0(VALU_DEP_2) | instskip(SKIP_1) | instid1(VALU_DEP_2)
	v_cndmask_b32_e32 v32, v32, v16, vcc_lo
	v_cmp_eq_u32_e32 vcc_lo, 15, v0
	v_cndmask_b32_e32 v32, v32, v17, vcc_lo
	v_cmp_eq_u32_e32 vcc_lo, 16, v0
	s_delay_alu instid0(VALU_DEP_2) | instskip(SKIP_1) | instid1(VALU_DEP_2)
	v_cndmask_b32_e32 v32, v32, v18, vcc_lo
	v_cmp_eq_u32_e32 vcc_lo, 17, v0
	v_cndmask_b32_e32 v32, v32, v19, vcc_lo
	v_cmp_eq_u32_e32 vcc_lo, 18, v0
	s_delay_alu instid0(VALU_DEP_2) | instskip(SKIP_1) | instid1(VALU_DEP_2)
	v_cndmask_b32_e32 v32, v32, v20, vcc_lo
	v_cmp_eq_u32_e32 vcc_lo, 19, v0
	v_cndmask_b32_e32 v32, v32, v21, vcc_lo
	v_cmp_eq_u32_e32 vcc_lo, 20, v0
	s_delay_alu instid0(VALU_DEP_2) | instskip(SKIP_1) | instid1(VALU_DEP_2)
	v_cndmask_b32_e32 v32, v32, v22, vcc_lo
	v_cmp_eq_u32_e32 vcc_lo, 21, v0
	v_cndmask_b32_e32 v32, v32, v23, vcc_lo
	v_cmp_eq_u32_e32 vcc_lo, 22, v0
	s_delay_alu instid0(VALU_DEP_2) | instskip(SKIP_1) | instid1(VALU_DEP_2)
	v_cndmask_b32_e32 v32, v32, v24, vcc_lo
	v_cmp_eq_u32_e32 vcc_lo, 23, v0
	v_cndmask_b32_e32 v32, v32, v25, vcc_lo
	v_cmp_eq_u32_e32 vcc_lo, 24, v0
	s_delay_alu instid0(VALU_DEP_2) | instskip(SKIP_1) | instid1(VALU_DEP_2)
	v_cndmask_b32_e32 v32, v32, v26, vcc_lo
	v_cmp_eq_u32_e32 vcc_lo, 25, v0
	v_cndmask_b32_e32 v32, v32, v27, vcc_lo
	v_cmp_eq_u32_e32 vcc_lo, 26, v0
	s_delay_alu instid0(VALU_DEP_2) | instskip(SKIP_1) | instid1(VALU_DEP_2)
	v_cndmask_b32_e32 v32, v32, v28, vcc_lo
	v_cmp_eq_u32_e32 vcc_lo, 27, v0
	v_cndmask_b32_e32 v32, v32, v29, vcc_lo
	v_cmp_eq_u32_e32 vcc_lo, 28, v0
	s_delay_alu instid0(VALU_DEP_2) | instskip(SKIP_1) | instid1(VALU_DEP_2)
	v_cndmask_b32_e32 v32, v32, v30, vcc_lo
	v_cmp_eq_u32_e32 vcc_lo, 29, v0
	v_cndmask_b32_e32 v32, v32, v31, vcc_lo
	s_wait_dscnt 0x0
	s_delay_alu instid0(VALU_DEP_1)
	v_mul_f32_e32 v35, v32, v33
	s_cbranch_execz .LBB93_566
	s_branch .LBB93_567
.LBB93_565:
                                        ; implicit-def: $vgpr35
.LBB93_566:
	ds_load_b32 v35, v129
.LBB93_567:
	s_mov_b32 s1, exec_lo
	v_cmpx_ne_u32_e32 11, v0
	s_cbranch_execz .LBB93_571
; %bb.568:
	v_mov_b64_e32 v[32:33], v[0:1]
	v_lshl_add_u32 v36, v0, 2, 0x84
	s_mov_b32 s2, 0
.LBB93_569:                             ; =>This Inner Loop Header: Depth=1
	s_delay_alu instid0(VALU_DEP_2)
	v_add_nc_u64_e32 v[32:33], 1, v[32:33]
	ds_load_b32 v38, v36
	v_add_nc_u32_e32 v36, 4, v36
	v_cmp_eq_u32_e32 vcc_lo, 1, v32
	v_cndmask_b32_e32 v37, v2, v3, vcc_lo
	v_cmp_eq_u32_e32 vcc_lo, 2, v32
	s_delay_alu instid0(VALU_DEP_2) | instskip(SKIP_1) | instid1(VALU_DEP_2)
	v_cndmask_b32_e32 v37, v37, v4, vcc_lo
	v_cmp_eq_u32_e32 vcc_lo, 3, v32
	v_cndmask_b32_e32 v37, v37, v5, vcc_lo
	v_cmp_eq_u32_e32 vcc_lo, 4, v32
	s_delay_alu instid0(VALU_DEP_2) | instskip(SKIP_1) | instid1(VALU_DEP_2)
	v_cndmask_b32_e32 v37, v37, v6, vcc_lo
	;; [unrolled: 5-line block ×14, first 2 shown]
	v_cmp_eq_u32_e32 vcc_lo, 29, v32
	v_cndmask_b32_e32 v37, v37, v31, vcc_lo
	v_cmp_lt_u32_e32 vcc_lo, 10, v32
	s_wait_dscnt 0x0
	s_delay_alu instid0(VALU_DEP_2) | instskip(SKIP_1) | instid1(SALU_CYCLE_1)
	v_fmac_f32_e32 v35, v37, v38
	s_or_b32 s2, vcc_lo, s2
	s_and_not1_b32 exec_lo, exec_lo, s2
	s_cbranch_execnz .LBB93_569
; %bb.570:
	s_or_b32 exec_lo, exec_lo, s2
.LBB93_571:
	s_delay_alu instid0(SALU_CYCLE_1)
	s_or_b32 exec_lo, exec_lo, s1
	v_mov_b32_e32 v14, 0
	ds_load_b32 v14, v14 offset:48
	s_wait_dscnt 0x0
	v_mul_f32_e32 v14, v35, v14
.LBB93_572:
	s_or_b32 exec_lo, exec_lo, s0
	s_delay_alu instid0(SALU_CYCLE_1)
	s_mov_b32 s0, exec_lo
	ds_store_b32 v129, v15
	s_wait_dscnt 0x0
	s_barrier_signal -1
	s_barrier_wait -1
	v_cmpx_gt_u32_e32 13, v0
	s_cbranch_execz .LBB93_582
; %bb.573:
	v_cmp_ne_u32_e32 vcc_lo, 1, v34
	s_cbranch_vccnz .LBB93_575
; %bb.574:
	v_cmp_eq_u32_e32 vcc_lo, 1, v0
	ds_load_b32 v33, v129
	v_cndmask_b32_e32 v32, v2, v3, vcc_lo
	v_cmp_eq_u32_e32 vcc_lo, 2, v0
	s_delay_alu instid0(VALU_DEP_2) | instskip(SKIP_1) | instid1(VALU_DEP_2)
	v_cndmask_b32_e32 v32, v32, v4, vcc_lo
	v_cmp_eq_u32_e32 vcc_lo, 3, v0
	v_cndmask_b32_e32 v32, v32, v5, vcc_lo
	v_cmp_eq_u32_e32 vcc_lo, 4, v0
	s_delay_alu instid0(VALU_DEP_2) | instskip(SKIP_1) | instid1(VALU_DEP_2)
	v_cndmask_b32_e32 v32, v32, v6, vcc_lo
	v_cmp_eq_u32_e32 vcc_lo, 5, v0
	;; [unrolled: 5-line block ×14, first 2 shown]
	v_cndmask_b32_e32 v32, v32, v31, vcc_lo
	s_wait_dscnt 0x0
	s_delay_alu instid0(VALU_DEP_1)
	v_mul_f32_e32 v35, v32, v33
	s_cbranch_execz .LBB93_576
	s_branch .LBB93_577
.LBB93_575:
                                        ; implicit-def: $vgpr35
.LBB93_576:
	ds_load_b32 v35, v129
.LBB93_577:
	s_mov_b32 s1, exec_lo
	v_cmpx_ne_u32_e32 12, v0
	s_cbranch_execz .LBB93_581
; %bb.578:
	v_mov_b64_e32 v[32:33], v[0:1]
	v_lshl_add_u32 v36, v0, 2, 0x84
	s_mov_b32 s2, 0
.LBB93_579:                             ; =>This Inner Loop Header: Depth=1
	s_delay_alu instid0(VALU_DEP_2)
	v_add_nc_u64_e32 v[32:33], 1, v[32:33]
	ds_load_b32 v38, v36
	v_add_nc_u32_e32 v36, 4, v36
	v_cmp_eq_u32_e32 vcc_lo, 1, v32
	v_cndmask_b32_e32 v37, v2, v3, vcc_lo
	v_cmp_eq_u32_e32 vcc_lo, 2, v32
	s_delay_alu instid0(VALU_DEP_2) | instskip(SKIP_1) | instid1(VALU_DEP_2)
	v_cndmask_b32_e32 v37, v37, v4, vcc_lo
	v_cmp_eq_u32_e32 vcc_lo, 3, v32
	v_cndmask_b32_e32 v37, v37, v5, vcc_lo
	v_cmp_eq_u32_e32 vcc_lo, 4, v32
	s_delay_alu instid0(VALU_DEP_2) | instskip(SKIP_1) | instid1(VALU_DEP_2)
	v_cndmask_b32_e32 v37, v37, v6, vcc_lo
	;; [unrolled: 5-line block ×14, first 2 shown]
	v_cmp_eq_u32_e32 vcc_lo, 29, v32
	v_cndmask_b32_e32 v37, v37, v31, vcc_lo
	v_cmp_lt_u32_e32 vcc_lo, 11, v32
	s_wait_dscnt 0x0
	s_delay_alu instid0(VALU_DEP_2) | instskip(SKIP_1) | instid1(SALU_CYCLE_1)
	v_fmac_f32_e32 v35, v37, v38
	s_or_b32 s2, vcc_lo, s2
	s_and_not1_b32 exec_lo, exec_lo, s2
	s_cbranch_execnz .LBB93_579
; %bb.580:
	s_or_b32 exec_lo, exec_lo, s2
.LBB93_581:
	s_delay_alu instid0(SALU_CYCLE_1)
	s_or_b32 exec_lo, exec_lo, s1
	v_mov_b32_e32 v15, 0
	ds_load_b32 v15, v15 offset:52
	s_wait_dscnt 0x0
	v_mul_f32_e32 v15, v35, v15
.LBB93_582:
	s_or_b32 exec_lo, exec_lo, s0
	s_delay_alu instid0(SALU_CYCLE_1)
	s_mov_b32 s0, exec_lo
	ds_store_b32 v129, v16
	s_wait_dscnt 0x0
	s_barrier_signal -1
	s_barrier_wait -1
	v_cmpx_gt_u32_e32 14, v0
	s_cbranch_execz .LBB93_592
; %bb.583:
	v_cmp_ne_u32_e32 vcc_lo, 1, v34
	s_cbranch_vccnz .LBB93_585
; %bb.584:
	v_cmp_eq_u32_e32 vcc_lo, 1, v0
	ds_load_b32 v33, v129
	v_cndmask_b32_e32 v32, v2, v3, vcc_lo
	v_cmp_eq_u32_e32 vcc_lo, 2, v0
	s_delay_alu instid0(VALU_DEP_2) | instskip(SKIP_1) | instid1(VALU_DEP_2)
	v_cndmask_b32_e32 v32, v32, v4, vcc_lo
	v_cmp_eq_u32_e32 vcc_lo, 3, v0
	v_cndmask_b32_e32 v32, v32, v5, vcc_lo
	v_cmp_eq_u32_e32 vcc_lo, 4, v0
	s_delay_alu instid0(VALU_DEP_2) | instskip(SKIP_1) | instid1(VALU_DEP_2)
	v_cndmask_b32_e32 v32, v32, v6, vcc_lo
	v_cmp_eq_u32_e32 vcc_lo, 5, v0
	;; [unrolled: 5-line block ×14, first 2 shown]
	v_cndmask_b32_e32 v32, v32, v31, vcc_lo
	s_wait_dscnt 0x0
	s_delay_alu instid0(VALU_DEP_1)
	v_mul_f32_e32 v35, v32, v33
	s_cbranch_execz .LBB93_586
	s_branch .LBB93_587
.LBB93_585:
                                        ; implicit-def: $vgpr35
.LBB93_586:
	ds_load_b32 v35, v129
.LBB93_587:
	s_mov_b32 s1, exec_lo
	v_cmpx_ne_u32_e32 13, v0
	s_cbranch_execz .LBB93_591
; %bb.588:
	v_mov_b64_e32 v[32:33], v[0:1]
	v_lshl_add_u32 v36, v0, 2, 0x84
	s_mov_b32 s2, 0
.LBB93_589:                             ; =>This Inner Loop Header: Depth=1
	s_delay_alu instid0(VALU_DEP_2)
	v_add_nc_u64_e32 v[32:33], 1, v[32:33]
	ds_load_b32 v38, v36
	v_add_nc_u32_e32 v36, 4, v36
	v_cmp_eq_u32_e32 vcc_lo, 1, v32
	v_cndmask_b32_e32 v37, v2, v3, vcc_lo
	v_cmp_eq_u32_e32 vcc_lo, 2, v32
	s_delay_alu instid0(VALU_DEP_2) | instskip(SKIP_1) | instid1(VALU_DEP_2)
	v_cndmask_b32_e32 v37, v37, v4, vcc_lo
	v_cmp_eq_u32_e32 vcc_lo, 3, v32
	v_cndmask_b32_e32 v37, v37, v5, vcc_lo
	v_cmp_eq_u32_e32 vcc_lo, 4, v32
	s_delay_alu instid0(VALU_DEP_2) | instskip(SKIP_1) | instid1(VALU_DEP_2)
	v_cndmask_b32_e32 v37, v37, v6, vcc_lo
	;; [unrolled: 5-line block ×14, first 2 shown]
	v_cmp_eq_u32_e32 vcc_lo, 29, v32
	v_cndmask_b32_e32 v37, v37, v31, vcc_lo
	v_cmp_lt_u32_e32 vcc_lo, 12, v32
	s_wait_dscnt 0x0
	s_delay_alu instid0(VALU_DEP_2) | instskip(SKIP_1) | instid1(SALU_CYCLE_1)
	v_fmac_f32_e32 v35, v37, v38
	s_or_b32 s2, vcc_lo, s2
	s_and_not1_b32 exec_lo, exec_lo, s2
	s_cbranch_execnz .LBB93_589
; %bb.590:
	s_or_b32 exec_lo, exec_lo, s2
.LBB93_591:
	s_delay_alu instid0(SALU_CYCLE_1)
	s_or_b32 exec_lo, exec_lo, s1
	v_mov_b32_e32 v16, 0
	ds_load_b32 v16, v16 offset:56
	s_wait_dscnt 0x0
	v_mul_f32_e32 v16, v35, v16
.LBB93_592:
	s_or_b32 exec_lo, exec_lo, s0
	s_delay_alu instid0(SALU_CYCLE_1)
	s_mov_b32 s0, exec_lo
	ds_store_b32 v129, v17
	s_wait_dscnt 0x0
	s_barrier_signal -1
	s_barrier_wait -1
	v_cmpx_gt_u32_e32 15, v0
	s_cbranch_execz .LBB93_602
; %bb.593:
	v_cmp_ne_u32_e32 vcc_lo, 1, v34
	s_cbranch_vccnz .LBB93_595
; %bb.594:
	v_cmp_eq_u32_e32 vcc_lo, 1, v0
	ds_load_b32 v33, v129
	v_cndmask_b32_e32 v32, v2, v3, vcc_lo
	v_cmp_eq_u32_e32 vcc_lo, 2, v0
	s_delay_alu instid0(VALU_DEP_2) | instskip(SKIP_1) | instid1(VALU_DEP_2)
	v_cndmask_b32_e32 v32, v32, v4, vcc_lo
	v_cmp_eq_u32_e32 vcc_lo, 3, v0
	v_cndmask_b32_e32 v32, v32, v5, vcc_lo
	v_cmp_eq_u32_e32 vcc_lo, 4, v0
	s_delay_alu instid0(VALU_DEP_2) | instskip(SKIP_1) | instid1(VALU_DEP_2)
	v_cndmask_b32_e32 v32, v32, v6, vcc_lo
	v_cmp_eq_u32_e32 vcc_lo, 5, v0
	;; [unrolled: 5-line block ×14, first 2 shown]
	v_cndmask_b32_e32 v32, v32, v31, vcc_lo
	s_wait_dscnt 0x0
	s_delay_alu instid0(VALU_DEP_1)
	v_mul_f32_e32 v35, v32, v33
	s_cbranch_execz .LBB93_596
	s_branch .LBB93_597
.LBB93_595:
                                        ; implicit-def: $vgpr35
.LBB93_596:
	ds_load_b32 v35, v129
.LBB93_597:
	s_mov_b32 s1, exec_lo
	v_cmpx_ne_u32_e32 14, v0
	s_cbranch_execz .LBB93_601
; %bb.598:
	v_mov_b64_e32 v[32:33], v[0:1]
	v_lshl_add_u32 v36, v0, 2, 0x84
	s_mov_b32 s2, 0
.LBB93_599:                             ; =>This Inner Loop Header: Depth=1
	s_delay_alu instid0(VALU_DEP_2)
	v_add_nc_u64_e32 v[32:33], 1, v[32:33]
	ds_load_b32 v38, v36
	v_add_nc_u32_e32 v36, 4, v36
	v_cmp_eq_u32_e32 vcc_lo, 1, v32
	v_cndmask_b32_e32 v37, v2, v3, vcc_lo
	v_cmp_eq_u32_e32 vcc_lo, 2, v32
	s_delay_alu instid0(VALU_DEP_2) | instskip(SKIP_1) | instid1(VALU_DEP_2)
	v_cndmask_b32_e32 v37, v37, v4, vcc_lo
	v_cmp_eq_u32_e32 vcc_lo, 3, v32
	v_cndmask_b32_e32 v37, v37, v5, vcc_lo
	v_cmp_eq_u32_e32 vcc_lo, 4, v32
	s_delay_alu instid0(VALU_DEP_2) | instskip(SKIP_1) | instid1(VALU_DEP_2)
	v_cndmask_b32_e32 v37, v37, v6, vcc_lo
	v_cmp_eq_u32_e32 vcc_lo, 5, v32
	v_cndmask_b32_e32 v37, v37, v7, vcc_lo
	v_cmp_eq_u32_e32 vcc_lo, 6, v32
	s_delay_alu instid0(VALU_DEP_2) | instskip(SKIP_1) | instid1(VALU_DEP_2)
	v_cndmask_b32_e32 v37, v37, v8, vcc_lo
	v_cmp_eq_u32_e32 vcc_lo, 7, v32
	v_cndmask_b32_e32 v37, v37, v9, vcc_lo
	v_cmp_eq_u32_e32 vcc_lo, 8, v32
	s_delay_alu instid0(VALU_DEP_2) | instskip(SKIP_1) | instid1(VALU_DEP_2)
	v_cndmask_b32_e32 v37, v37, v10, vcc_lo
	v_cmp_eq_u32_e32 vcc_lo, 9, v32
	v_cndmask_b32_e32 v37, v37, v11, vcc_lo
	v_cmp_eq_u32_e32 vcc_lo, 10, v32
	s_delay_alu instid0(VALU_DEP_2) | instskip(SKIP_1) | instid1(VALU_DEP_2)
	v_cndmask_b32_e32 v37, v37, v12, vcc_lo
	v_cmp_eq_u32_e32 vcc_lo, 11, v32
	v_cndmask_b32_e32 v37, v37, v13, vcc_lo
	v_cmp_eq_u32_e32 vcc_lo, 12, v32
	s_delay_alu instid0(VALU_DEP_2) | instskip(SKIP_1) | instid1(VALU_DEP_2)
	v_cndmask_b32_e32 v37, v37, v14, vcc_lo
	v_cmp_eq_u32_e32 vcc_lo, 13, v32
	v_cndmask_b32_e32 v37, v37, v15, vcc_lo
	v_cmp_eq_u32_e32 vcc_lo, 14, v32
	s_delay_alu instid0(VALU_DEP_2) | instskip(SKIP_1) | instid1(VALU_DEP_2)
	v_cndmask_b32_e32 v37, v37, v16, vcc_lo
	v_cmp_eq_u32_e32 vcc_lo, 15, v32
	v_cndmask_b32_e32 v37, v37, v17, vcc_lo
	v_cmp_eq_u32_e32 vcc_lo, 16, v32
	s_delay_alu instid0(VALU_DEP_2) | instskip(SKIP_1) | instid1(VALU_DEP_2)
	v_cndmask_b32_e32 v37, v37, v18, vcc_lo
	v_cmp_eq_u32_e32 vcc_lo, 17, v32
	v_cndmask_b32_e32 v37, v37, v19, vcc_lo
	v_cmp_eq_u32_e32 vcc_lo, 18, v32
	s_delay_alu instid0(VALU_DEP_2) | instskip(SKIP_1) | instid1(VALU_DEP_2)
	v_cndmask_b32_e32 v37, v37, v20, vcc_lo
	v_cmp_eq_u32_e32 vcc_lo, 19, v32
	v_cndmask_b32_e32 v37, v37, v21, vcc_lo
	v_cmp_eq_u32_e32 vcc_lo, 20, v32
	s_delay_alu instid0(VALU_DEP_2) | instskip(SKIP_1) | instid1(VALU_DEP_2)
	v_cndmask_b32_e32 v37, v37, v22, vcc_lo
	v_cmp_eq_u32_e32 vcc_lo, 21, v32
	v_cndmask_b32_e32 v37, v37, v23, vcc_lo
	v_cmp_eq_u32_e32 vcc_lo, 22, v32
	s_delay_alu instid0(VALU_DEP_2) | instskip(SKIP_1) | instid1(VALU_DEP_2)
	v_cndmask_b32_e32 v37, v37, v24, vcc_lo
	v_cmp_eq_u32_e32 vcc_lo, 23, v32
	v_cndmask_b32_e32 v37, v37, v25, vcc_lo
	v_cmp_eq_u32_e32 vcc_lo, 24, v32
	s_delay_alu instid0(VALU_DEP_2) | instskip(SKIP_1) | instid1(VALU_DEP_2)
	v_cndmask_b32_e32 v37, v37, v26, vcc_lo
	v_cmp_eq_u32_e32 vcc_lo, 25, v32
	v_cndmask_b32_e32 v37, v37, v27, vcc_lo
	v_cmp_eq_u32_e32 vcc_lo, 26, v32
	s_delay_alu instid0(VALU_DEP_2) | instskip(SKIP_1) | instid1(VALU_DEP_2)
	v_cndmask_b32_e32 v37, v37, v28, vcc_lo
	v_cmp_eq_u32_e32 vcc_lo, 27, v32
	v_cndmask_b32_e32 v37, v37, v29, vcc_lo
	v_cmp_eq_u32_e32 vcc_lo, 28, v32
	s_delay_alu instid0(VALU_DEP_2) | instskip(SKIP_1) | instid1(VALU_DEP_2)
	v_cndmask_b32_e32 v37, v37, v30, vcc_lo
	v_cmp_eq_u32_e32 vcc_lo, 29, v32
	v_cndmask_b32_e32 v37, v37, v31, vcc_lo
	v_cmp_lt_u32_e32 vcc_lo, 13, v32
	s_wait_dscnt 0x0
	s_delay_alu instid0(VALU_DEP_2) | instskip(SKIP_1) | instid1(SALU_CYCLE_1)
	v_fmac_f32_e32 v35, v37, v38
	s_or_b32 s2, vcc_lo, s2
	s_and_not1_b32 exec_lo, exec_lo, s2
	s_cbranch_execnz .LBB93_599
; %bb.600:
	s_or_b32 exec_lo, exec_lo, s2
.LBB93_601:
	s_delay_alu instid0(SALU_CYCLE_1)
	s_or_b32 exec_lo, exec_lo, s1
	v_mov_b32_e32 v17, 0
	ds_load_b32 v17, v17 offset:60
	s_wait_dscnt 0x0
	v_mul_f32_e32 v17, v35, v17
.LBB93_602:
	s_or_b32 exec_lo, exec_lo, s0
	s_delay_alu instid0(SALU_CYCLE_1)
	s_mov_b32 s0, exec_lo
	ds_store_b32 v129, v18
	s_wait_dscnt 0x0
	s_barrier_signal -1
	s_barrier_wait -1
	v_cmpx_gt_u32_e32 16, v0
	s_cbranch_execz .LBB93_612
; %bb.603:
	v_cmp_ne_u32_e32 vcc_lo, 1, v34
	s_cbranch_vccnz .LBB93_605
; %bb.604:
	v_cmp_eq_u32_e32 vcc_lo, 1, v0
	ds_load_b32 v33, v129
	v_cndmask_b32_e32 v32, v2, v3, vcc_lo
	v_cmp_eq_u32_e32 vcc_lo, 2, v0
	s_delay_alu instid0(VALU_DEP_2) | instskip(SKIP_1) | instid1(VALU_DEP_2)
	v_cndmask_b32_e32 v32, v32, v4, vcc_lo
	v_cmp_eq_u32_e32 vcc_lo, 3, v0
	v_cndmask_b32_e32 v32, v32, v5, vcc_lo
	v_cmp_eq_u32_e32 vcc_lo, 4, v0
	s_delay_alu instid0(VALU_DEP_2) | instskip(SKIP_1) | instid1(VALU_DEP_2)
	v_cndmask_b32_e32 v32, v32, v6, vcc_lo
	v_cmp_eq_u32_e32 vcc_lo, 5, v0
	;; [unrolled: 5-line block ×14, first 2 shown]
	v_cndmask_b32_e32 v32, v32, v31, vcc_lo
	s_wait_dscnt 0x0
	s_delay_alu instid0(VALU_DEP_1)
	v_mul_f32_e32 v35, v32, v33
	s_cbranch_execz .LBB93_606
	s_branch .LBB93_607
.LBB93_605:
                                        ; implicit-def: $vgpr35
.LBB93_606:
	ds_load_b32 v35, v129
.LBB93_607:
	s_mov_b32 s1, exec_lo
	v_cmpx_ne_u32_e32 15, v0
	s_cbranch_execz .LBB93_611
; %bb.608:
	v_mov_b64_e32 v[32:33], v[0:1]
	v_lshl_add_u32 v36, v0, 2, 0x84
	s_mov_b32 s2, 0
.LBB93_609:                             ; =>This Inner Loop Header: Depth=1
	s_delay_alu instid0(VALU_DEP_2)
	v_add_nc_u64_e32 v[32:33], 1, v[32:33]
	ds_load_b32 v38, v36
	v_add_nc_u32_e32 v36, 4, v36
	v_cmp_eq_u32_e32 vcc_lo, 1, v32
	v_cndmask_b32_e32 v37, v2, v3, vcc_lo
	v_cmp_eq_u32_e32 vcc_lo, 2, v32
	s_delay_alu instid0(VALU_DEP_2) | instskip(SKIP_1) | instid1(VALU_DEP_2)
	v_cndmask_b32_e32 v37, v37, v4, vcc_lo
	v_cmp_eq_u32_e32 vcc_lo, 3, v32
	v_cndmask_b32_e32 v37, v37, v5, vcc_lo
	v_cmp_eq_u32_e32 vcc_lo, 4, v32
	s_delay_alu instid0(VALU_DEP_2) | instskip(SKIP_1) | instid1(VALU_DEP_2)
	v_cndmask_b32_e32 v37, v37, v6, vcc_lo
	v_cmp_eq_u32_e32 vcc_lo, 5, v32
	v_cndmask_b32_e32 v37, v37, v7, vcc_lo
	v_cmp_eq_u32_e32 vcc_lo, 6, v32
	s_delay_alu instid0(VALU_DEP_2) | instskip(SKIP_1) | instid1(VALU_DEP_2)
	v_cndmask_b32_e32 v37, v37, v8, vcc_lo
	v_cmp_eq_u32_e32 vcc_lo, 7, v32
	v_cndmask_b32_e32 v37, v37, v9, vcc_lo
	v_cmp_eq_u32_e32 vcc_lo, 8, v32
	s_delay_alu instid0(VALU_DEP_2) | instskip(SKIP_1) | instid1(VALU_DEP_2)
	v_cndmask_b32_e32 v37, v37, v10, vcc_lo
	v_cmp_eq_u32_e32 vcc_lo, 9, v32
	v_cndmask_b32_e32 v37, v37, v11, vcc_lo
	v_cmp_eq_u32_e32 vcc_lo, 10, v32
	s_delay_alu instid0(VALU_DEP_2) | instskip(SKIP_1) | instid1(VALU_DEP_2)
	v_cndmask_b32_e32 v37, v37, v12, vcc_lo
	v_cmp_eq_u32_e32 vcc_lo, 11, v32
	v_cndmask_b32_e32 v37, v37, v13, vcc_lo
	v_cmp_eq_u32_e32 vcc_lo, 12, v32
	s_delay_alu instid0(VALU_DEP_2) | instskip(SKIP_1) | instid1(VALU_DEP_2)
	v_cndmask_b32_e32 v37, v37, v14, vcc_lo
	v_cmp_eq_u32_e32 vcc_lo, 13, v32
	v_cndmask_b32_e32 v37, v37, v15, vcc_lo
	v_cmp_eq_u32_e32 vcc_lo, 14, v32
	s_delay_alu instid0(VALU_DEP_2) | instskip(SKIP_1) | instid1(VALU_DEP_2)
	v_cndmask_b32_e32 v37, v37, v16, vcc_lo
	v_cmp_eq_u32_e32 vcc_lo, 15, v32
	v_cndmask_b32_e32 v37, v37, v17, vcc_lo
	v_cmp_eq_u32_e32 vcc_lo, 16, v32
	s_delay_alu instid0(VALU_DEP_2) | instskip(SKIP_1) | instid1(VALU_DEP_2)
	v_cndmask_b32_e32 v37, v37, v18, vcc_lo
	v_cmp_eq_u32_e32 vcc_lo, 17, v32
	v_cndmask_b32_e32 v37, v37, v19, vcc_lo
	v_cmp_eq_u32_e32 vcc_lo, 18, v32
	s_delay_alu instid0(VALU_DEP_2) | instskip(SKIP_1) | instid1(VALU_DEP_2)
	v_cndmask_b32_e32 v37, v37, v20, vcc_lo
	v_cmp_eq_u32_e32 vcc_lo, 19, v32
	v_cndmask_b32_e32 v37, v37, v21, vcc_lo
	v_cmp_eq_u32_e32 vcc_lo, 20, v32
	s_delay_alu instid0(VALU_DEP_2) | instskip(SKIP_1) | instid1(VALU_DEP_2)
	v_cndmask_b32_e32 v37, v37, v22, vcc_lo
	v_cmp_eq_u32_e32 vcc_lo, 21, v32
	v_cndmask_b32_e32 v37, v37, v23, vcc_lo
	v_cmp_eq_u32_e32 vcc_lo, 22, v32
	s_delay_alu instid0(VALU_DEP_2) | instskip(SKIP_1) | instid1(VALU_DEP_2)
	v_cndmask_b32_e32 v37, v37, v24, vcc_lo
	v_cmp_eq_u32_e32 vcc_lo, 23, v32
	v_cndmask_b32_e32 v37, v37, v25, vcc_lo
	v_cmp_eq_u32_e32 vcc_lo, 24, v32
	s_delay_alu instid0(VALU_DEP_2) | instskip(SKIP_1) | instid1(VALU_DEP_2)
	v_cndmask_b32_e32 v37, v37, v26, vcc_lo
	v_cmp_eq_u32_e32 vcc_lo, 25, v32
	v_cndmask_b32_e32 v37, v37, v27, vcc_lo
	v_cmp_eq_u32_e32 vcc_lo, 26, v32
	s_delay_alu instid0(VALU_DEP_2) | instskip(SKIP_1) | instid1(VALU_DEP_2)
	v_cndmask_b32_e32 v37, v37, v28, vcc_lo
	v_cmp_eq_u32_e32 vcc_lo, 27, v32
	v_cndmask_b32_e32 v37, v37, v29, vcc_lo
	v_cmp_eq_u32_e32 vcc_lo, 28, v32
	s_delay_alu instid0(VALU_DEP_2) | instskip(SKIP_1) | instid1(VALU_DEP_2)
	v_cndmask_b32_e32 v37, v37, v30, vcc_lo
	v_cmp_eq_u32_e32 vcc_lo, 29, v32
	v_cndmask_b32_e32 v37, v37, v31, vcc_lo
	v_cmp_lt_u32_e32 vcc_lo, 14, v32
	s_wait_dscnt 0x0
	s_delay_alu instid0(VALU_DEP_2) | instskip(SKIP_1) | instid1(SALU_CYCLE_1)
	v_fmac_f32_e32 v35, v37, v38
	s_or_b32 s2, vcc_lo, s2
	s_and_not1_b32 exec_lo, exec_lo, s2
	s_cbranch_execnz .LBB93_609
; %bb.610:
	s_or_b32 exec_lo, exec_lo, s2
.LBB93_611:
	s_delay_alu instid0(SALU_CYCLE_1)
	s_or_b32 exec_lo, exec_lo, s1
	v_mov_b32_e32 v18, 0
	ds_load_b32 v18, v18 offset:64
	s_wait_dscnt 0x0
	v_mul_f32_e32 v18, v35, v18
.LBB93_612:
	s_or_b32 exec_lo, exec_lo, s0
	s_delay_alu instid0(SALU_CYCLE_1)
	s_mov_b32 s0, exec_lo
	ds_store_b32 v129, v19
	s_wait_dscnt 0x0
	s_barrier_signal -1
	s_barrier_wait -1
	v_cmpx_gt_u32_e32 17, v0
	s_cbranch_execz .LBB93_622
; %bb.613:
	v_cmp_ne_u32_e32 vcc_lo, 1, v34
	s_cbranch_vccnz .LBB93_615
; %bb.614:
	v_cmp_eq_u32_e32 vcc_lo, 1, v0
	ds_load_b32 v33, v129
	v_cndmask_b32_e32 v32, v2, v3, vcc_lo
	v_cmp_eq_u32_e32 vcc_lo, 2, v0
	s_delay_alu instid0(VALU_DEP_2) | instskip(SKIP_1) | instid1(VALU_DEP_2)
	v_cndmask_b32_e32 v32, v32, v4, vcc_lo
	v_cmp_eq_u32_e32 vcc_lo, 3, v0
	v_cndmask_b32_e32 v32, v32, v5, vcc_lo
	v_cmp_eq_u32_e32 vcc_lo, 4, v0
	s_delay_alu instid0(VALU_DEP_2) | instskip(SKIP_1) | instid1(VALU_DEP_2)
	v_cndmask_b32_e32 v32, v32, v6, vcc_lo
	v_cmp_eq_u32_e32 vcc_lo, 5, v0
	;; [unrolled: 5-line block ×14, first 2 shown]
	v_cndmask_b32_e32 v32, v32, v31, vcc_lo
	s_wait_dscnt 0x0
	s_delay_alu instid0(VALU_DEP_1)
	v_mul_f32_e32 v35, v32, v33
	s_cbranch_execz .LBB93_616
	s_branch .LBB93_617
.LBB93_615:
                                        ; implicit-def: $vgpr35
.LBB93_616:
	ds_load_b32 v35, v129
.LBB93_617:
	s_mov_b32 s1, exec_lo
	v_cmpx_ne_u32_e32 16, v0
	s_cbranch_execz .LBB93_621
; %bb.618:
	v_mov_b64_e32 v[32:33], v[0:1]
	v_lshl_add_u32 v36, v0, 2, 0x84
	s_mov_b32 s2, 0
.LBB93_619:                             ; =>This Inner Loop Header: Depth=1
	s_delay_alu instid0(VALU_DEP_2)
	v_add_nc_u64_e32 v[32:33], 1, v[32:33]
	ds_load_b32 v38, v36
	v_add_nc_u32_e32 v36, 4, v36
	v_cmp_eq_u32_e32 vcc_lo, 1, v32
	v_cndmask_b32_e32 v37, v2, v3, vcc_lo
	v_cmp_eq_u32_e32 vcc_lo, 2, v32
	s_delay_alu instid0(VALU_DEP_2) | instskip(SKIP_1) | instid1(VALU_DEP_2)
	v_cndmask_b32_e32 v37, v37, v4, vcc_lo
	v_cmp_eq_u32_e32 vcc_lo, 3, v32
	v_cndmask_b32_e32 v37, v37, v5, vcc_lo
	v_cmp_eq_u32_e32 vcc_lo, 4, v32
	s_delay_alu instid0(VALU_DEP_2) | instskip(SKIP_1) | instid1(VALU_DEP_2)
	v_cndmask_b32_e32 v37, v37, v6, vcc_lo
	;; [unrolled: 5-line block ×14, first 2 shown]
	v_cmp_eq_u32_e32 vcc_lo, 29, v32
	v_cndmask_b32_e32 v37, v37, v31, vcc_lo
	v_cmp_lt_u32_e32 vcc_lo, 15, v32
	s_wait_dscnt 0x0
	s_delay_alu instid0(VALU_DEP_2) | instskip(SKIP_1) | instid1(SALU_CYCLE_1)
	v_fmac_f32_e32 v35, v37, v38
	s_or_b32 s2, vcc_lo, s2
	s_and_not1_b32 exec_lo, exec_lo, s2
	s_cbranch_execnz .LBB93_619
; %bb.620:
	s_or_b32 exec_lo, exec_lo, s2
.LBB93_621:
	s_delay_alu instid0(SALU_CYCLE_1)
	s_or_b32 exec_lo, exec_lo, s1
	v_mov_b32_e32 v19, 0
	ds_load_b32 v19, v19 offset:68
	s_wait_dscnt 0x0
	v_mul_f32_e32 v19, v35, v19
.LBB93_622:
	s_or_b32 exec_lo, exec_lo, s0
	s_delay_alu instid0(SALU_CYCLE_1)
	s_mov_b32 s0, exec_lo
	ds_store_b32 v129, v20
	s_wait_dscnt 0x0
	s_barrier_signal -1
	s_barrier_wait -1
	v_cmpx_gt_u32_e32 18, v0
	s_cbranch_execz .LBB93_632
; %bb.623:
	v_cmp_ne_u32_e32 vcc_lo, 1, v34
	s_cbranch_vccnz .LBB93_625
; %bb.624:
	v_cmp_eq_u32_e32 vcc_lo, 1, v0
	ds_load_b32 v33, v129
	v_cndmask_b32_e32 v32, v2, v3, vcc_lo
	v_cmp_eq_u32_e32 vcc_lo, 2, v0
	s_delay_alu instid0(VALU_DEP_2) | instskip(SKIP_1) | instid1(VALU_DEP_2)
	v_cndmask_b32_e32 v32, v32, v4, vcc_lo
	v_cmp_eq_u32_e32 vcc_lo, 3, v0
	v_cndmask_b32_e32 v32, v32, v5, vcc_lo
	v_cmp_eq_u32_e32 vcc_lo, 4, v0
	s_delay_alu instid0(VALU_DEP_2) | instskip(SKIP_1) | instid1(VALU_DEP_2)
	v_cndmask_b32_e32 v32, v32, v6, vcc_lo
	v_cmp_eq_u32_e32 vcc_lo, 5, v0
	;; [unrolled: 5-line block ×14, first 2 shown]
	v_cndmask_b32_e32 v32, v32, v31, vcc_lo
	s_wait_dscnt 0x0
	s_delay_alu instid0(VALU_DEP_1)
	v_mul_f32_e32 v35, v32, v33
	s_cbranch_execz .LBB93_626
	s_branch .LBB93_627
.LBB93_625:
                                        ; implicit-def: $vgpr35
.LBB93_626:
	ds_load_b32 v35, v129
.LBB93_627:
	s_mov_b32 s1, exec_lo
	v_cmpx_ne_u32_e32 17, v0
	s_cbranch_execz .LBB93_631
; %bb.628:
	v_mov_b64_e32 v[32:33], v[0:1]
	v_lshl_add_u32 v36, v0, 2, 0x84
	s_mov_b32 s2, 0
.LBB93_629:                             ; =>This Inner Loop Header: Depth=1
	s_delay_alu instid0(VALU_DEP_2)
	v_add_nc_u64_e32 v[32:33], 1, v[32:33]
	ds_load_b32 v38, v36
	v_add_nc_u32_e32 v36, 4, v36
	v_cmp_eq_u32_e32 vcc_lo, 1, v32
	v_cndmask_b32_e32 v37, v2, v3, vcc_lo
	v_cmp_eq_u32_e32 vcc_lo, 2, v32
	s_delay_alu instid0(VALU_DEP_2) | instskip(SKIP_1) | instid1(VALU_DEP_2)
	v_cndmask_b32_e32 v37, v37, v4, vcc_lo
	v_cmp_eq_u32_e32 vcc_lo, 3, v32
	v_cndmask_b32_e32 v37, v37, v5, vcc_lo
	v_cmp_eq_u32_e32 vcc_lo, 4, v32
	s_delay_alu instid0(VALU_DEP_2) | instskip(SKIP_1) | instid1(VALU_DEP_2)
	v_cndmask_b32_e32 v37, v37, v6, vcc_lo
	;; [unrolled: 5-line block ×14, first 2 shown]
	v_cmp_eq_u32_e32 vcc_lo, 29, v32
	v_cndmask_b32_e32 v37, v37, v31, vcc_lo
	v_cmp_lt_u32_e32 vcc_lo, 16, v32
	s_wait_dscnt 0x0
	s_delay_alu instid0(VALU_DEP_2) | instskip(SKIP_1) | instid1(SALU_CYCLE_1)
	v_fmac_f32_e32 v35, v37, v38
	s_or_b32 s2, vcc_lo, s2
	s_and_not1_b32 exec_lo, exec_lo, s2
	s_cbranch_execnz .LBB93_629
; %bb.630:
	s_or_b32 exec_lo, exec_lo, s2
.LBB93_631:
	s_delay_alu instid0(SALU_CYCLE_1)
	s_or_b32 exec_lo, exec_lo, s1
	v_mov_b32_e32 v20, 0
	ds_load_b32 v20, v20 offset:72
	s_wait_dscnt 0x0
	v_mul_f32_e32 v20, v35, v20
.LBB93_632:
	s_or_b32 exec_lo, exec_lo, s0
	s_delay_alu instid0(SALU_CYCLE_1)
	s_mov_b32 s0, exec_lo
	ds_store_b32 v129, v21
	s_wait_dscnt 0x0
	s_barrier_signal -1
	s_barrier_wait -1
	v_cmpx_gt_u32_e32 19, v0
	s_cbranch_execz .LBB93_642
; %bb.633:
	v_cmp_ne_u32_e32 vcc_lo, 1, v34
	s_cbranch_vccnz .LBB93_635
; %bb.634:
	v_cmp_eq_u32_e32 vcc_lo, 1, v0
	ds_load_b32 v33, v129
	v_cndmask_b32_e32 v32, v2, v3, vcc_lo
	v_cmp_eq_u32_e32 vcc_lo, 2, v0
	s_delay_alu instid0(VALU_DEP_2) | instskip(SKIP_1) | instid1(VALU_DEP_2)
	v_cndmask_b32_e32 v32, v32, v4, vcc_lo
	v_cmp_eq_u32_e32 vcc_lo, 3, v0
	v_cndmask_b32_e32 v32, v32, v5, vcc_lo
	v_cmp_eq_u32_e32 vcc_lo, 4, v0
	s_delay_alu instid0(VALU_DEP_2) | instskip(SKIP_1) | instid1(VALU_DEP_2)
	v_cndmask_b32_e32 v32, v32, v6, vcc_lo
	v_cmp_eq_u32_e32 vcc_lo, 5, v0
	;; [unrolled: 5-line block ×14, first 2 shown]
	v_cndmask_b32_e32 v32, v32, v31, vcc_lo
	s_wait_dscnt 0x0
	s_delay_alu instid0(VALU_DEP_1)
	v_mul_f32_e32 v35, v32, v33
	s_cbranch_execz .LBB93_636
	s_branch .LBB93_637
.LBB93_635:
                                        ; implicit-def: $vgpr35
.LBB93_636:
	ds_load_b32 v35, v129
.LBB93_637:
	s_mov_b32 s1, exec_lo
	v_cmpx_ne_u32_e32 18, v0
	s_cbranch_execz .LBB93_641
; %bb.638:
	v_mov_b64_e32 v[32:33], v[0:1]
	v_lshl_add_u32 v36, v0, 2, 0x84
	s_mov_b32 s2, 0
.LBB93_639:                             ; =>This Inner Loop Header: Depth=1
	s_delay_alu instid0(VALU_DEP_2)
	v_add_nc_u64_e32 v[32:33], 1, v[32:33]
	ds_load_b32 v38, v36
	v_add_nc_u32_e32 v36, 4, v36
	v_cmp_eq_u32_e32 vcc_lo, 1, v32
	v_cndmask_b32_e32 v37, v2, v3, vcc_lo
	v_cmp_eq_u32_e32 vcc_lo, 2, v32
	s_delay_alu instid0(VALU_DEP_2) | instskip(SKIP_1) | instid1(VALU_DEP_2)
	v_cndmask_b32_e32 v37, v37, v4, vcc_lo
	v_cmp_eq_u32_e32 vcc_lo, 3, v32
	v_cndmask_b32_e32 v37, v37, v5, vcc_lo
	v_cmp_eq_u32_e32 vcc_lo, 4, v32
	s_delay_alu instid0(VALU_DEP_2) | instskip(SKIP_1) | instid1(VALU_DEP_2)
	v_cndmask_b32_e32 v37, v37, v6, vcc_lo
	;; [unrolled: 5-line block ×14, first 2 shown]
	v_cmp_eq_u32_e32 vcc_lo, 29, v32
	v_cndmask_b32_e32 v37, v37, v31, vcc_lo
	v_cmp_lt_u32_e32 vcc_lo, 17, v32
	s_wait_dscnt 0x0
	s_delay_alu instid0(VALU_DEP_2) | instskip(SKIP_1) | instid1(SALU_CYCLE_1)
	v_fmac_f32_e32 v35, v37, v38
	s_or_b32 s2, vcc_lo, s2
	s_and_not1_b32 exec_lo, exec_lo, s2
	s_cbranch_execnz .LBB93_639
; %bb.640:
	s_or_b32 exec_lo, exec_lo, s2
.LBB93_641:
	s_delay_alu instid0(SALU_CYCLE_1)
	s_or_b32 exec_lo, exec_lo, s1
	v_mov_b32_e32 v21, 0
	ds_load_b32 v21, v21 offset:76
	s_wait_dscnt 0x0
	v_mul_f32_e32 v21, v35, v21
.LBB93_642:
	s_or_b32 exec_lo, exec_lo, s0
	s_delay_alu instid0(SALU_CYCLE_1)
	s_mov_b32 s0, exec_lo
	ds_store_b32 v129, v22
	s_wait_dscnt 0x0
	s_barrier_signal -1
	s_barrier_wait -1
	v_cmpx_gt_u32_e32 20, v0
	s_cbranch_execz .LBB93_652
; %bb.643:
	v_cmp_ne_u32_e32 vcc_lo, 1, v34
	s_cbranch_vccnz .LBB93_645
; %bb.644:
	v_cmp_eq_u32_e32 vcc_lo, 1, v0
	ds_load_b32 v33, v129
	v_cndmask_b32_e32 v32, v2, v3, vcc_lo
	v_cmp_eq_u32_e32 vcc_lo, 2, v0
	s_delay_alu instid0(VALU_DEP_2) | instskip(SKIP_1) | instid1(VALU_DEP_2)
	v_cndmask_b32_e32 v32, v32, v4, vcc_lo
	v_cmp_eq_u32_e32 vcc_lo, 3, v0
	v_cndmask_b32_e32 v32, v32, v5, vcc_lo
	v_cmp_eq_u32_e32 vcc_lo, 4, v0
	s_delay_alu instid0(VALU_DEP_2) | instskip(SKIP_1) | instid1(VALU_DEP_2)
	v_cndmask_b32_e32 v32, v32, v6, vcc_lo
	v_cmp_eq_u32_e32 vcc_lo, 5, v0
	;; [unrolled: 5-line block ×14, first 2 shown]
	v_cndmask_b32_e32 v32, v32, v31, vcc_lo
	s_wait_dscnt 0x0
	s_delay_alu instid0(VALU_DEP_1)
	v_mul_f32_e32 v35, v32, v33
	s_cbranch_execz .LBB93_646
	s_branch .LBB93_647
.LBB93_645:
                                        ; implicit-def: $vgpr35
.LBB93_646:
	ds_load_b32 v35, v129
.LBB93_647:
	s_mov_b32 s1, exec_lo
	v_cmpx_ne_u32_e32 19, v0
	s_cbranch_execz .LBB93_651
; %bb.648:
	v_mov_b64_e32 v[32:33], v[0:1]
	v_lshl_add_u32 v36, v0, 2, 0x84
	s_mov_b32 s2, 0
.LBB93_649:                             ; =>This Inner Loop Header: Depth=1
	s_delay_alu instid0(VALU_DEP_2)
	v_add_nc_u64_e32 v[32:33], 1, v[32:33]
	ds_load_b32 v38, v36
	v_add_nc_u32_e32 v36, 4, v36
	v_cmp_eq_u32_e32 vcc_lo, 1, v32
	v_cndmask_b32_e32 v37, v2, v3, vcc_lo
	v_cmp_eq_u32_e32 vcc_lo, 2, v32
	s_delay_alu instid0(VALU_DEP_2) | instskip(SKIP_1) | instid1(VALU_DEP_2)
	v_cndmask_b32_e32 v37, v37, v4, vcc_lo
	v_cmp_eq_u32_e32 vcc_lo, 3, v32
	v_cndmask_b32_e32 v37, v37, v5, vcc_lo
	v_cmp_eq_u32_e32 vcc_lo, 4, v32
	s_delay_alu instid0(VALU_DEP_2) | instskip(SKIP_1) | instid1(VALU_DEP_2)
	v_cndmask_b32_e32 v37, v37, v6, vcc_lo
	;; [unrolled: 5-line block ×14, first 2 shown]
	v_cmp_eq_u32_e32 vcc_lo, 29, v32
	v_cndmask_b32_e32 v37, v37, v31, vcc_lo
	v_cmp_lt_u32_e32 vcc_lo, 18, v32
	s_wait_dscnt 0x0
	s_delay_alu instid0(VALU_DEP_2) | instskip(SKIP_1) | instid1(SALU_CYCLE_1)
	v_fmac_f32_e32 v35, v37, v38
	s_or_b32 s2, vcc_lo, s2
	s_and_not1_b32 exec_lo, exec_lo, s2
	s_cbranch_execnz .LBB93_649
; %bb.650:
	s_or_b32 exec_lo, exec_lo, s2
.LBB93_651:
	s_delay_alu instid0(SALU_CYCLE_1)
	s_or_b32 exec_lo, exec_lo, s1
	v_mov_b32_e32 v22, 0
	ds_load_b32 v22, v22 offset:80
	s_wait_dscnt 0x0
	v_mul_f32_e32 v22, v35, v22
.LBB93_652:
	s_or_b32 exec_lo, exec_lo, s0
	s_delay_alu instid0(SALU_CYCLE_1)
	s_mov_b32 s0, exec_lo
	ds_store_b32 v129, v23
	s_wait_dscnt 0x0
	s_barrier_signal -1
	s_barrier_wait -1
	v_cmpx_gt_u32_e32 21, v0
	s_cbranch_execz .LBB93_662
; %bb.653:
	v_cmp_ne_u32_e32 vcc_lo, 1, v34
	s_cbranch_vccnz .LBB93_655
; %bb.654:
	v_cmp_eq_u32_e32 vcc_lo, 1, v0
	ds_load_b32 v33, v129
	v_cndmask_b32_e32 v32, v2, v3, vcc_lo
	v_cmp_eq_u32_e32 vcc_lo, 2, v0
	s_delay_alu instid0(VALU_DEP_2) | instskip(SKIP_1) | instid1(VALU_DEP_2)
	v_cndmask_b32_e32 v32, v32, v4, vcc_lo
	v_cmp_eq_u32_e32 vcc_lo, 3, v0
	v_cndmask_b32_e32 v32, v32, v5, vcc_lo
	v_cmp_eq_u32_e32 vcc_lo, 4, v0
	s_delay_alu instid0(VALU_DEP_2) | instskip(SKIP_1) | instid1(VALU_DEP_2)
	v_cndmask_b32_e32 v32, v32, v6, vcc_lo
	v_cmp_eq_u32_e32 vcc_lo, 5, v0
	;; [unrolled: 5-line block ×14, first 2 shown]
	v_cndmask_b32_e32 v32, v32, v31, vcc_lo
	s_wait_dscnt 0x0
	s_delay_alu instid0(VALU_DEP_1)
	v_mul_f32_e32 v35, v32, v33
	s_cbranch_execz .LBB93_656
	s_branch .LBB93_657
.LBB93_655:
                                        ; implicit-def: $vgpr35
.LBB93_656:
	ds_load_b32 v35, v129
.LBB93_657:
	s_mov_b32 s1, exec_lo
	v_cmpx_ne_u32_e32 20, v0
	s_cbranch_execz .LBB93_661
; %bb.658:
	v_mov_b64_e32 v[32:33], v[0:1]
	v_lshl_add_u32 v36, v0, 2, 0x84
	s_mov_b32 s2, 0
.LBB93_659:                             ; =>This Inner Loop Header: Depth=1
	s_delay_alu instid0(VALU_DEP_2)
	v_add_nc_u64_e32 v[32:33], 1, v[32:33]
	ds_load_b32 v38, v36
	v_add_nc_u32_e32 v36, 4, v36
	v_cmp_eq_u32_e32 vcc_lo, 1, v32
	v_cndmask_b32_e32 v37, v2, v3, vcc_lo
	v_cmp_eq_u32_e32 vcc_lo, 2, v32
	s_delay_alu instid0(VALU_DEP_2) | instskip(SKIP_1) | instid1(VALU_DEP_2)
	v_cndmask_b32_e32 v37, v37, v4, vcc_lo
	v_cmp_eq_u32_e32 vcc_lo, 3, v32
	v_cndmask_b32_e32 v37, v37, v5, vcc_lo
	v_cmp_eq_u32_e32 vcc_lo, 4, v32
	s_delay_alu instid0(VALU_DEP_2) | instskip(SKIP_1) | instid1(VALU_DEP_2)
	v_cndmask_b32_e32 v37, v37, v6, vcc_lo
	;; [unrolled: 5-line block ×14, first 2 shown]
	v_cmp_eq_u32_e32 vcc_lo, 29, v32
	v_cndmask_b32_e32 v37, v37, v31, vcc_lo
	v_cmp_lt_u32_e32 vcc_lo, 19, v32
	s_wait_dscnt 0x0
	s_delay_alu instid0(VALU_DEP_2) | instskip(SKIP_1) | instid1(SALU_CYCLE_1)
	v_fmac_f32_e32 v35, v37, v38
	s_or_b32 s2, vcc_lo, s2
	s_and_not1_b32 exec_lo, exec_lo, s2
	s_cbranch_execnz .LBB93_659
; %bb.660:
	s_or_b32 exec_lo, exec_lo, s2
.LBB93_661:
	s_delay_alu instid0(SALU_CYCLE_1)
	s_or_b32 exec_lo, exec_lo, s1
	v_mov_b32_e32 v23, 0
	ds_load_b32 v23, v23 offset:84
	s_wait_dscnt 0x0
	v_mul_f32_e32 v23, v35, v23
.LBB93_662:
	s_or_b32 exec_lo, exec_lo, s0
	s_delay_alu instid0(SALU_CYCLE_1)
	s_mov_b32 s0, exec_lo
	ds_store_b32 v129, v24
	s_wait_dscnt 0x0
	s_barrier_signal -1
	s_barrier_wait -1
	v_cmpx_gt_u32_e32 22, v0
	s_cbranch_execz .LBB93_672
; %bb.663:
	v_cmp_ne_u32_e32 vcc_lo, 1, v34
	s_cbranch_vccnz .LBB93_665
; %bb.664:
	v_cmp_eq_u32_e32 vcc_lo, 1, v0
	ds_load_b32 v33, v129
	v_cndmask_b32_e32 v32, v2, v3, vcc_lo
	v_cmp_eq_u32_e32 vcc_lo, 2, v0
	s_delay_alu instid0(VALU_DEP_2) | instskip(SKIP_1) | instid1(VALU_DEP_2)
	v_cndmask_b32_e32 v32, v32, v4, vcc_lo
	v_cmp_eq_u32_e32 vcc_lo, 3, v0
	v_cndmask_b32_e32 v32, v32, v5, vcc_lo
	v_cmp_eq_u32_e32 vcc_lo, 4, v0
	s_delay_alu instid0(VALU_DEP_2) | instskip(SKIP_1) | instid1(VALU_DEP_2)
	v_cndmask_b32_e32 v32, v32, v6, vcc_lo
	v_cmp_eq_u32_e32 vcc_lo, 5, v0
	;; [unrolled: 5-line block ×14, first 2 shown]
	v_cndmask_b32_e32 v32, v32, v31, vcc_lo
	s_wait_dscnt 0x0
	s_delay_alu instid0(VALU_DEP_1)
	v_mul_f32_e32 v35, v32, v33
	s_cbranch_execz .LBB93_666
	s_branch .LBB93_667
.LBB93_665:
                                        ; implicit-def: $vgpr35
.LBB93_666:
	ds_load_b32 v35, v129
.LBB93_667:
	s_mov_b32 s1, exec_lo
	v_cmpx_ne_u32_e32 21, v0
	s_cbranch_execz .LBB93_671
; %bb.668:
	v_mov_b64_e32 v[32:33], v[0:1]
	v_lshl_add_u32 v36, v0, 2, 0x84
	s_mov_b32 s2, 0
.LBB93_669:                             ; =>This Inner Loop Header: Depth=1
	s_delay_alu instid0(VALU_DEP_2)
	v_add_nc_u64_e32 v[32:33], 1, v[32:33]
	ds_load_b32 v38, v36
	v_add_nc_u32_e32 v36, 4, v36
	v_cmp_eq_u32_e32 vcc_lo, 1, v32
	v_cndmask_b32_e32 v37, v2, v3, vcc_lo
	v_cmp_eq_u32_e32 vcc_lo, 2, v32
	s_delay_alu instid0(VALU_DEP_2) | instskip(SKIP_1) | instid1(VALU_DEP_2)
	v_cndmask_b32_e32 v37, v37, v4, vcc_lo
	v_cmp_eq_u32_e32 vcc_lo, 3, v32
	v_cndmask_b32_e32 v37, v37, v5, vcc_lo
	v_cmp_eq_u32_e32 vcc_lo, 4, v32
	s_delay_alu instid0(VALU_DEP_2) | instskip(SKIP_1) | instid1(VALU_DEP_2)
	v_cndmask_b32_e32 v37, v37, v6, vcc_lo
	;; [unrolled: 5-line block ×14, first 2 shown]
	v_cmp_eq_u32_e32 vcc_lo, 29, v32
	v_cndmask_b32_e32 v37, v37, v31, vcc_lo
	v_cmp_lt_u32_e32 vcc_lo, 20, v32
	s_wait_dscnt 0x0
	s_delay_alu instid0(VALU_DEP_2) | instskip(SKIP_1) | instid1(SALU_CYCLE_1)
	v_fmac_f32_e32 v35, v37, v38
	s_or_b32 s2, vcc_lo, s2
	s_and_not1_b32 exec_lo, exec_lo, s2
	s_cbranch_execnz .LBB93_669
; %bb.670:
	s_or_b32 exec_lo, exec_lo, s2
.LBB93_671:
	s_delay_alu instid0(SALU_CYCLE_1)
	s_or_b32 exec_lo, exec_lo, s1
	v_mov_b32_e32 v24, 0
	ds_load_b32 v24, v24 offset:88
	s_wait_dscnt 0x0
	v_mul_f32_e32 v24, v35, v24
.LBB93_672:
	s_or_b32 exec_lo, exec_lo, s0
	s_delay_alu instid0(SALU_CYCLE_1)
	s_mov_b32 s0, exec_lo
	ds_store_b32 v129, v25
	s_wait_dscnt 0x0
	s_barrier_signal -1
	s_barrier_wait -1
	v_cmpx_gt_u32_e32 23, v0
	s_cbranch_execz .LBB93_682
; %bb.673:
	v_cmp_ne_u32_e32 vcc_lo, 1, v34
	s_cbranch_vccnz .LBB93_675
; %bb.674:
	v_cmp_eq_u32_e32 vcc_lo, 1, v0
	ds_load_b32 v33, v129
	v_cndmask_b32_e32 v32, v2, v3, vcc_lo
	v_cmp_eq_u32_e32 vcc_lo, 2, v0
	s_delay_alu instid0(VALU_DEP_2) | instskip(SKIP_1) | instid1(VALU_DEP_2)
	v_cndmask_b32_e32 v32, v32, v4, vcc_lo
	v_cmp_eq_u32_e32 vcc_lo, 3, v0
	v_cndmask_b32_e32 v32, v32, v5, vcc_lo
	v_cmp_eq_u32_e32 vcc_lo, 4, v0
	s_delay_alu instid0(VALU_DEP_2) | instskip(SKIP_1) | instid1(VALU_DEP_2)
	v_cndmask_b32_e32 v32, v32, v6, vcc_lo
	v_cmp_eq_u32_e32 vcc_lo, 5, v0
	;; [unrolled: 5-line block ×14, first 2 shown]
	v_cndmask_b32_e32 v32, v32, v31, vcc_lo
	s_wait_dscnt 0x0
	s_delay_alu instid0(VALU_DEP_1)
	v_mul_f32_e32 v35, v32, v33
	s_cbranch_execz .LBB93_676
	s_branch .LBB93_677
.LBB93_675:
                                        ; implicit-def: $vgpr35
.LBB93_676:
	ds_load_b32 v35, v129
.LBB93_677:
	s_mov_b32 s1, exec_lo
	v_cmpx_ne_u32_e32 22, v0
	s_cbranch_execz .LBB93_681
; %bb.678:
	v_mov_b64_e32 v[32:33], v[0:1]
	v_lshl_add_u32 v36, v0, 2, 0x84
	s_mov_b32 s2, 0
.LBB93_679:                             ; =>This Inner Loop Header: Depth=1
	s_delay_alu instid0(VALU_DEP_2)
	v_add_nc_u64_e32 v[32:33], 1, v[32:33]
	ds_load_b32 v38, v36
	v_add_nc_u32_e32 v36, 4, v36
	v_cmp_eq_u32_e32 vcc_lo, 1, v32
	v_cndmask_b32_e32 v37, v2, v3, vcc_lo
	v_cmp_eq_u32_e32 vcc_lo, 2, v32
	s_delay_alu instid0(VALU_DEP_2) | instskip(SKIP_1) | instid1(VALU_DEP_2)
	v_cndmask_b32_e32 v37, v37, v4, vcc_lo
	v_cmp_eq_u32_e32 vcc_lo, 3, v32
	v_cndmask_b32_e32 v37, v37, v5, vcc_lo
	v_cmp_eq_u32_e32 vcc_lo, 4, v32
	s_delay_alu instid0(VALU_DEP_2) | instskip(SKIP_1) | instid1(VALU_DEP_2)
	v_cndmask_b32_e32 v37, v37, v6, vcc_lo
	;; [unrolled: 5-line block ×14, first 2 shown]
	v_cmp_eq_u32_e32 vcc_lo, 29, v32
	v_cndmask_b32_e32 v37, v37, v31, vcc_lo
	v_cmp_lt_u32_e32 vcc_lo, 21, v32
	s_wait_dscnt 0x0
	s_delay_alu instid0(VALU_DEP_2) | instskip(SKIP_1) | instid1(SALU_CYCLE_1)
	v_fmac_f32_e32 v35, v37, v38
	s_or_b32 s2, vcc_lo, s2
	s_and_not1_b32 exec_lo, exec_lo, s2
	s_cbranch_execnz .LBB93_679
; %bb.680:
	s_or_b32 exec_lo, exec_lo, s2
.LBB93_681:
	s_delay_alu instid0(SALU_CYCLE_1)
	s_or_b32 exec_lo, exec_lo, s1
	v_mov_b32_e32 v25, 0
	ds_load_b32 v25, v25 offset:92
	s_wait_dscnt 0x0
	v_mul_f32_e32 v25, v35, v25
.LBB93_682:
	s_or_b32 exec_lo, exec_lo, s0
	s_delay_alu instid0(SALU_CYCLE_1)
	s_mov_b32 s0, exec_lo
	ds_store_b32 v129, v26
	s_wait_dscnt 0x0
	s_barrier_signal -1
	s_barrier_wait -1
	v_cmpx_gt_u32_e32 24, v0
	s_cbranch_execz .LBB93_692
; %bb.683:
	v_cmp_ne_u32_e32 vcc_lo, 1, v34
	s_cbranch_vccnz .LBB93_685
; %bb.684:
	v_cmp_eq_u32_e32 vcc_lo, 1, v0
	ds_load_b32 v33, v129
	v_cndmask_b32_e32 v32, v2, v3, vcc_lo
	v_cmp_eq_u32_e32 vcc_lo, 2, v0
	s_delay_alu instid0(VALU_DEP_2) | instskip(SKIP_1) | instid1(VALU_DEP_2)
	v_cndmask_b32_e32 v32, v32, v4, vcc_lo
	v_cmp_eq_u32_e32 vcc_lo, 3, v0
	v_cndmask_b32_e32 v32, v32, v5, vcc_lo
	v_cmp_eq_u32_e32 vcc_lo, 4, v0
	s_delay_alu instid0(VALU_DEP_2) | instskip(SKIP_1) | instid1(VALU_DEP_2)
	v_cndmask_b32_e32 v32, v32, v6, vcc_lo
	v_cmp_eq_u32_e32 vcc_lo, 5, v0
	;; [unrolled: 5-line block ×14, first 2 shown]
	v_cndmask_b32_e32 v32, v32, v31, vcc_lo
	s_wait_dscnt 0x0
	s_delay_alu instid0(VALU_DEP_1)
	v_mul_f32_e32 v35, v32, v33
	s_cbranch_execz .LBB93_686
	s_branch .LBB93_687
.LBB93_685:
                                        ; implicit-def: $vgpr35
.LBB93_686:
	ds_load_b32 v35, v129
.LBB93_687:
	s_mov_b32 s1, exec_lo
	v_cmpx_ne_u32_e32 23, v0
	s_cbranch_execz .LBB93_691
; %bb.688:
	v_mov_b64_e32 v[32:33], v[0:1]
	v_lshl_add_u32 v36, v0, 2, 0x84
	s_mov_b32 s2, 0
.LBB93_689:                             ; =>This Inner Loop Header: Depth=1
	s_delay_alu instid0(VALU_DEP_2)
	v_add_nc_u64_e32 v[32:33], 1, v[32:33]
	ds_load_b32 v38, v36
	v_add_nc_u32_e32 v36, 4, v36
	v_cmp_eq_u32_e32 vcc_lo, 1, v32
	v_cndmask_b32_e32 v37, v2, v3, vcc_lo
	v_cmp_eq_u32_e32 vcc_lo, 2, v32
	s_delay_alu instid0(VALU_DEP_2) | instskip(SKIP_1) | instid1(VALU_DEP_2)
	v_cndmask_b32_e32 v37, v37, v4, vcc_lo
	v_cmp_eq_u32_e32 vcc_lo, 3, v32
	v_cndmask_b32_e32 v37, v37, v5, vcc_lo
	v_cmp_eq_u32_e32 vcc_lo, 4, v32
	s_delay_alu instid0(VALU_DEP_2) | instskip(SKIP_1) | instid1(VALU_DEP_2)
	v_cndmask_b32_e32 v37, v37, v6, vcc_lo
	;; [unrolled: 5-line block ×14, first 2 shown]
	v_cmp_eq_u32_e32 vcc_lo, 29, v32
	v_cndmask_b32_e32 v37, v37, v31, vcc_lo
	v_cmp_lt_u32_e32 vcc_lo, 22, v32
	s_wait_dscnt 0x0
	s_delay_alu instid0(VALU_DEP_2) | instskip(SKIP_1) | instid1(SALU_CYCLE_1)
	v_fmac_f32_e32 v35, v37, v38
	s_or_b32 s2, vcc_lo, s2
	s_and_not1_b32 exec_lo, exec_lo, s2
	s_cbranch_execnz .LBB93_689
; %bb.690:
	s_or_b32 exec_lo, exec_lo, s2
.LBB93_691:
	s_delay_alu instid0(SALU_CYCLE_1)
	s_or_b32 exec_lo, exec_lo, s1
	v_mov_b32_e32 v26, 0
	ds_load_b32 v26, v26 offset:96
	s_wait_dscnt 0x0
	v_mul_f32_e32 v26, v35, v26
.LBB93_692:
	s_or_b32 exec_lo, exec_lo, s0
	s_delay_alu instid0(SALU_CYCLE_1)
	s_mov_b32 s0, exec_lo
	ds_store_b32 v129, v27
	s_wait_dscnt 0x0
	s_barrier_signal -1
	s_barrier_wait -1
	v_cmpx_gt_u32_e32 25, v0
	s_cbranch_execz .LBB93_702
; %bb.693:
	v_cmp_ne_u32_e32 vcc_lo, 1, v34
	s_cbranch_vccnz .LBB93_695
; %bb.694:
	v_cmp_eq_u32_e32 vcc_lo, 1, v0
	ds_load_b32 v33, v129
	v_cndmask_b32_e32 v32, v2, v3, vcc_lo
	v_cmp_eq_u32_e32 vcc_lo, 2, v0
	s_delay_alu instid0(VALU_DEP_2) | instskip(SKIP_1) | instid1(VALU_DEP_2)
	v_cndmask_b32_e32 v32, v32, v4, vcc_lo
	v_cmp_eq_u32_e32 vcc_lo, 3, v0
	v_cndmask_b32_e32 v32, v32, v5, vcc_lo
	v_cmp_eq_u32_e32 vcc_lo, 4, v0
	s_delay_alu instid0(VALU_DEP_2) | instskip(SKIP_1) | instid1(VALU_DEP_2)
	v_cndmask_b32_e32 v32, v32, v6, vcc_lo
	v_cmp_eq_u32_e32 vcc_lo, 5, v0
	;; [unrolled: 5-line block ×14, first 2 shown]
	v_cndmask_b32_e32 v32, v32, v31, vcc_lo
	s_wait_dscnt 0x0
	s_delay_alu instid0(VALU_DEP_1)
	v_mul_f32_e32 v35, v32, v33
	s_cbranch_execz .LBB93_696
	s_branch .LBB93_697
.LBB93_695:
                                        ; implicit-def: $vgpr35
.LBB93_696:
	ds_load_b32 v35, v129
.LBB93_697:
	s_mov_b32 s1, exec_lo
	v_cmpx_ne_u32_e32 24, v0
	s_cbranch_execz .LBB93_701
; %bb.698:
	v_mov_b64_e32 v[32:33], v[0:1]
	v_lshl_add_u32 v36, v0, 2, 0x84
	s_mov_b32 s2, 0
.LBB93_699:                             ; =>This Inner Loop Header: Depth=1
	s_delay_alu instid0(VALU_DEP_2)
	v_add_nc_u64_e32 v[32:33], 1, v[32:33]
	ds_load_b32 v38, v36
	v_add_nc_u32_e32 v36, 4, v36
	v_cmp_eq_u32_e32 vcc_lo, 1, v32
	v_cndmask_b32_e32 v37, v2, v3, vcc_lo
	v_cmp_eq_u32_e32 vcc_lo, 2, v32
	s_delay_alu instid0(VALU_DEP_2) | instskip(SKIP_1) | instid1(VALU_DEP_2)
	v_cndmask_b32_e32 v37, v37, v4, vcc_lo
	v_cmp_eq_u32_e32 vcc_lo, 3, v32
	v_cndmask_b32_e32 v37, v37, v5, vcc_lo
	v_cmp_eq_u32_e32 vcc_lo, 4, v32
	s_delay_alu instid0(VALU_DEP_2) | instskip(SKIP_1) | instid1(VALU_DEP_2)
	v_cndmask_b32_e32 v37, v37, v6, vcc_lo
	v_cmp_eq_u32_e32 vcc_lo, 5, v32
	v_cndmask_b32_e32 v37, v37, v7, vcc_lo
	v_cmp_eq_u32_e32 vcc_lo, 6, v32
	s_delay_alu instid0(VALU_DEP_2) | instskip(SKIP_1) | instid1(VALU_DEP_2)
	v_cndmask_b32_e32 v37, v37, v8, vcc_lo
	v_cmp_eq_u32_e32 vcc_lo, 7, v32
	v_cndmask_b32_e32 v37, v37, v9, vcc_lo
	v_cmp_eq_u32_e32 vcc_lo, 8, v32
	s_delay_alu instid0(VALU_DEP_2) | instskip(SKIP_1) | instid1(VALU_DEP_2)
	v_cndmask_b32_e32 v37, v37, v10, vcc_lo
	v_cmp_eq_u32_e32 vcc_lo, 9, v32
	v_cndmask_b32_e32 v37, v37, v11, vcc_lo
	v_cmp_eq_u32_e32 vcc_lo, 10, v32
	s_delay_alu instid0(VALU_DEP_2) | instskip(SKIP_1) | instid1(VALU_DEP_2)
	v_cndmask_b32_e32 v37, v37, v12, vcc_lo
	v_cmp_eq_u32_e32 vcc_lo, 11, v32
	v_cndmask_b32_e32 v37, v37, v13, vcc_lo
	v_cmp_eq_u32_e32 vcc_lo, 12, v32
	s_delay_alu instid0(VALU_DEP_2) | instskip(SKIP_1) | instid1(VALU_DEP_2)
	v_cndmask_b32_e32 v37, v37, v14, vcc_lo
	v_cmp_eq_u32_e32 vcc_lo, 13, v32
	v_cndmask_b32_e32 v37, v37, v15, vcc_lo
	v_cmp_eq_u32_e32 vcc_lo, 14, v32
	s_delay_alu instid0(VALU_DEP_2) | instskip(SKIP_1) | instid1(VALU_DEP_2)
	v_cndmask_b32_e32 v37, v37, v16, vcc_lo
	v_cmp_eq_u32_e32 vcc_lo, 15, v32
	v_cndmask_b32_e32 v37, v37, v17, vcc_lo
	v_cmp_eq_u32_e32 vcc_lo, 16, v32
	s_delay_alu instid0(VALU_DEP_2) | instskip(SKIP_1) | instid1(VALU_DEP_2)
	v_cndmask_b32_e32 v37, v37, v18, vcc_lo
	v_cmp_eq_u32_e32 vcc_lo, 17, v32
	v_cndmask_b32_e32 v37, v37, v19, vcc_lo
	v_cmp_eq_u32_e32 vcc_lo, 18, v32
	s_delay_alu instid0(VALU_DEP_2) | instskip(SKIP_1) | instid1(VALU_DEP_2)
	v_cndmask_b32_e32 v37, v37, v20, vcc_lo
	v_cmp_eq_u32_e32 vcc_lo, 19, v32
	v_cndmask_b32_e32 v37, v37, v21, vcc_lo
	v_cmp_eq_u32_e32 vcc_lo, 20, v32
	s_delay_alu instid0(VALU_DEP_2) | instskip(SKIP_1) | instid1(VALU_DEP_2)
	v_cndmask_b32_e32 v37, v37, v22, vcc_lo
	v_cmp_eq_u32_e32 vcc_lo, 21, v32
	v_cndmask_b32_e32 v37, v37, v23, vcc_lo
	v_cmp_eq_u32_e32 vcc_lo, 22, v32
	s_delay_alu instid0(VALU_DEP_2) | instskip(SKIP_1) | instid1(VALU_DEP_2)
	v_cndmask_b32_e32 v37, v37, v24, vcc_lo
	v_cmp_eq_u32_e32 vcc_lo, 23, v32
	v_cndmask_b32_e32 v37, v37, v25, vcc_lo
	v_cmp_eq_u32_e32 vcc_lo, 24, v32
	s_delay_alu instid0(VALU_DEP_2) | instskip(SKIP_1) | instid1(VALU_DEP_2)
	v_cndmask_b32_e32 v37, v37, v26, vcc_lo
	v_cmp_eq_u32_e32 vcc_lo, 25, v32
	v_cndmask_b32_e32 v37, v37, v27, vcc_lo
	v_cmp_eq_u32_e32 vcc_lo, 26, v32
	s_delay_alu instid0(VALU_DEP_2) | instskip(SKIP_1) | instid1(VALU_DEP_2)
	v_cndmask_b32_e32 v37, v37, v28, vcc_lo
	v_cmp_eq_u32_e32 vcc_lo, 27, v32
	v_cndmask_b32_e32 v37, v37, v29, vcc_lo
	v_cmp_eq_u32_e32 vcc_lo, 28, v32
	s_delay_alu instid0(VALU_DEP_2) | instskip(SKIP_1) | instid1(VALU_DEP_2)
	v_cndmask_b32_e32 v37, v37, v30, vcc_lo
	v_cmp_eq_u32_e32 vcc_lo, 29, v32
	v_cndmask_b32_e32 v37, v37, v31, vcc_lo
	v_cmp_lt_u32_e32 vcc_lo, 23, v32
	s_wait_dscnt 0x0
	s_delay_alu instid0(VALU_DEP_2) | instskip(SKIP_1) | instid1(SALU_CYCLE_1)
	v_fmac_f32_e32 v35, v37, v38
	s_or_b32 s2, vcc_lo, s2
	s_and_not1_b32 exec_lo, exec_lo, s2
	s_cbranch_execnz .LBB93_699
; %bb.700:
	s_or_b32 exec_lo, exec_lo, s2
.LBB93_701:
	s_delay_alu instid0(SALU_CYCLE_1)
	s_or_b32 exec_lo, exec_lo, s1
	v_mov_b32_e32 v27, 0
	ds_load_b32 v27, v27 offset:100
	s_wait_dscnt 0x0
	v_mul_f32_e32 v27, v35, v27
.LBB93_702:
	s_or_b32 exec_lo, exec_lo, s0
	s_delay_alu instid0(SALU_CYCLE_1)
	s_mov_b32 s0, exec_lo
	ds_store_b32 v129, v28
	s_wait_dscnt 0x0
	s_barrier_signal -1
	s_barrier_wait -1
	v_cmpx_gt_u32_e32 26, v0
	s_cbranch_execz .LBB93_712
; %bb.703:
	v_cmp_ne_u32_e32 vcc_lo, 1, v34
	s_cbranch_vccnz .LBB93_705
; %bb.704:
	v_cmp_eq_u32_e32 vcc_lo, 1, v0
	ds_load_b32 v33, v129
	v_cndmask_b32_e32 v32, v2, v3, vcc_lo
	v_cmp_eq_u32_e32 vcc_lo, 2, v0
	s_delay_alu instid0(VALU_DEP_2) | instskip(SKIP_1) | instid1(VALU_DEP_2)
	v_cndmask_b32_e32 v32, v32, v4, vcc_lo
	v_cmp_eq_u32_e32 vcc_lo, 3, v0
	v_cndmask_b32_e32 v32, v32, v5, vcc_lo
	v_cmp_eq_u32_e32 vcc_lo, 4, v0
	s_delay_alu instid0(VALU_DEP_2) | instskip(SKIP_1) | instid1(VALU_DEP_2)
	v_cndmask_b32_e32 v32, v32, v6, vcc_lo
	v_cmp_eq_u32_e32 vcc_lo, 5, v0
	;; [unrolled: 5-line block ×14, first 2 shown]
	v_cndmask_b32_e32 v32, v32, v31, vcc_lo
	s_wait_dscnt 0x0
	s_delay_alu instid0(VALU_DEP_1)
	v_mul_f32_e32 v35, v32, v33
	s_cbranch_execz .LBB93_706
	s_branch .LBB93_707
.LBB93_705:
                                        ; implicit-def: $vgpr35
.LBB93_706:
	ds_load_b32 v35, v129
.LBB93_707:
	s_mov_b32 s1, exec_lo
	v_cmpx_ne_u32_e32 25, v0
	s_cbranch_execz .LBB93_711
; %bb.708:
	v_mov_b64_e32 v[32:33], v[0:1]
	v_lshl_add_u32 v36, v0, 2, 0x84
	s_mov_b32 s2, 0
.LBB93_709:                             ; =>This Inner Loop Header: Depth=1
	s_delay_alu instid0(VALU_DEP_2)
	v_add_nc_u64_e32 v[32:33], 1, v[32:33]
	ds_load_b32 v38, v36
	v_add_nc_u32_e32 v36, 4, v36
	v_cmp_eq_u32_e32 vcc_lo, 1, v32
	v_cndmask_b32_e32 v37, v2, v3, vcc_lo
	v_cmp_eq_u32_e32 vcc_lo, 2, v32
	s_delay_alu instid0(VALU_DEP_2) | instskip(SKIP_1) | instid1(VALU_DEP_2)
	v_cndmask_b32_e32 v37, v37, v4, vcc_lo
	v_cmp_eq_u32_e32 vcc_lo, 3, v32
	v_cndmask_b32_e32 v37, v37, v5, vcc_lo
	v_cmp_eq_u32_e32 vcc_lo, 4, v32
	s_delay_alu instid0(VALU_DEP_2) | instskip(SKIP_1) | instid1(VALU_DEP_2)
	v_cndmask_b32_e32 v37, v37, v6, vcc_lo
	v_cmp_eq_u32_e32 vcc_lo, 5, v32
	v_cndmask_b32_e32 v37, v37, v7, vcc_lo
	v_cmp_eq_u32_e32 vcc_lo, 6, v32
	s_delay_alu instid0(VALU_DEP_2) | instskip(SKIP_1) | instid1(VALU_DEP_2)
	v_cndmask_b32_e32 v37, v37, v8, vcc_lo
	v_cmp_eq_u32_e32 vcc_lo, 7, v32
	v_cndmask_b32_e32 v37, v37, v9, vcc_lo
	v_cmp_eq_u32_e32 vcc_lo, 8, v32
	s_delay_alu instid0(VALU_DEP_2) | instskip(SKIP_1) | instid1(VALU_DEP_2)
	v_cndmask_b32_e32 v37, v37, v10, vcc_lo
	v_cmp_eq_u32_e32 vcc_lo, 9, v32
	v_cndmask_b32_e32 v37, v37, v11, vcc_lo
	v_cmp_eq_u32_e32 vcc_lo, 10, v32
	s_delay_alu instid0(VALU_DEP_2) | instskip(SKIP_1) | instid1(VALU_DEP_2)
	v_cndmask_b32_e32 v37, v37, v12, vcc_lo
	v_cmp_eq_u32_e32 vcc_lo, 11, v32
	v_cndmask_b32_e32 v37, v37, v13, vcc_lo
	v_cmp_eq_u32_e32 vcc_lo, 12, v32
	s_delay_alu instid0(VALU_DEP_2) | instskip(SKIP_1) | instid1(VALU_DEP_2)
	v_cndmask_b32_e32 v37, v37, v14, vcc_lo
	v_cmp_eq_u32_e32 vcc_lo, 13, v32
	v_cndmask_b32_e32 v37, v37, v15, vcc_lo
	v_cmp_eq_u32_e32 vcc_lo, 14, v32
	s_delay_alu instid0(VALU_DEP_2) | instskip(SKIP_1) | instid1(VALU_DEP_2)
	v_cndmask_b32_e32 v37, v37, v16, vcc_lo
	v_cmp_eq_u32_e32 vcc_lo, 15, v32
	v_cndmask_b32_e32 v37, v37, v17, vcc_lo
	v_cmp_eq_u32_e32 vcc_lo, 16, v32
	s_delay_alu instid0(VALU_DEP_2) | instskip(SKIP_1) | instid1(VALU_DEP_2)
	v_cndmask_b32_e32 v37, v37, v18, vcc_lo
	v_cmp_eq_u32_e32 vcc_lo, 17, v32
	v_cndmask_b32_e32 v37, v37, v19, vcc_lo
	v_cmp_eq_u32_e32 vcc_lo, 18, v32
	s_delay_alu instid0(VALU_DEP_2) | instskip(SKIP_1) | instid1(VALU_DEP_2)
	v_cndmask_b32_e32 v37, v37, v20, vcc_lo
	v_cmp_eq_u32_e32 vcc_lo, 19, v32
	v_cndmask_b32_e32 v37, v37, v21, vcc_lo
	v_cmp_eq_u32_e32 vcc_lo, 20, v32
	s_delay_alu instid0(VALU_DEP_2) | instskip(SKIP_1) | instid1(VALU_DEP_2)
	v_cndmask_b32_e32 v37, v37, v22, vcc_lo
	v_cmp_eq_u32_e32 vcc_lo, 21, v32
	v_cndmask_b32_e32 v37, v37, v23, vcc_lo
	v_cmp_eq_u32_e32 vcc_lo, 22, v32
	s_delay_alu instid0(VALU_DEP_2) | instskip(SKIP_1) | instid1(VALU_DEP_2)
	v_cndmask_b32_e32 v37, v37, v24, vcc_lo
	v_cmp_eq_u32_e32 vcc_lo, 23, v32
	v_cndmask_b32_e32 v37, v37, v25, vcc_lo
	v_cmp_eq_u32_e32 vcc_lo, 24, v32
	s_delay_alu instid0(VALU_DEP_2) | instskip(SKIP_1) | instid1(VALU_DEP_2)
	v_cndmask_b32_e32 v37, v37, v26, vcc_lo
	v_cmp_eq_u32_e32 vcc_lo, 25, v32
	v_cndmask_b32_e32 v37, v37, v27, vcc_lo
	v_cmp_eq_u32_e32 vcc_lo, 26, v32
	s_delay_alu instid0(VALU_DEP_2) | instskip(SKIP_1) | instid1(VALU_DEP_2)
	v_cndmask_b32_e32 v37, v37, v28, vcc_lo
	v_cmp_eq_u32_e32 vcc_lo, 27, v32
	v_cndmask_b32_e32 v37, v37, v29, vcc_lo
	v_cmp_eq_u32_e32 vcc_lo, 28, v32
	s_delay_alu instid0(VALU_DEP_2) | instskip(SKIP_1) | instid1(VALU_DEP_2)
	v_cndmask_b32_e32 v37, v37, v30, vcc_lo
	v_cmp_eq_u32_e32 vcc_lo, 29, v32
	v_cndmask_b32_e32 v37, v37, v31, vcc_lo
	v_cmp_lt_u32_e32 vcc_lo, 24, v32
	s_wait_dscnt 0x0
	s_delay_alu instid0(VALU_DEP_2) | instskip(SKIP_1) | instid1(SALU_CYCLE_1)
	v_fmac_f32_e32 v35, v37, v38
	s_or_b32 s2, vcc_lo, s2
	s_and_not1_b32 exec_lo, exec_lo, s2
	s_cbranch_execnz .LBB93_709
; %bb.710:
	s_or_b32 exec_lo, exec_lo, s2
.LBB93_711:
	s_delay_alu instid0(SALU_CYCLE_1)
	s_or_b32 exec_lo, exec_lo, s1
	v_mov_b32_e32 v28, 0
	ds_load_b32 v28, v28 offset:104
	s_wait_dscnt 0x0
	v_mul_f32_e32 v28, v35, v28
.LBB93_712:
	s_or_b32 exec_lo, exec_lo, s0
	s_delay_alu instid0(SALU_CYCLE_1)
	s_mov_b32 s0, exec_lo
	ds_store_b32 v129, v29
	s_wait_dscnt 0x0
	s_barrier_signal -1
	s_barrier_wait -1
	v_cmpx_gt_u32_e32 27, v0
	s_cbranch_execz .LBB93_722
; %bb.713:
	v_cmp_ne_u32_e32 vcc_lo, 1, v34
	s_cbranch_vccnz .LBB93_715
; %bb.714:
	v_cmp_eq_u32_e32 vcc_lo, 1, v0
	ds_load_b32 v33, v129
	v_cndmask_b32_e32 v32, v2, v3, vcc_lo
	v_cmp_eq_u32_e32 vcc_lo, 2, v0
	s_delay_alu instid0(VALU_DEP_2) | instskip(SKIP_1) | instid1(VALU_DEP_2)
	v_cndmask_b32_e32 v32, v32, v4, vcc_lo
	v_cmp_eq_u32_e32 vcc_lo, 3, v0
	v_cndmask_b32_e32 v32, v32, v5, vcc_lo
	v_cmp_eq_u32_e32 vcc_lo, 4, v0
	s_delay_alu instid0(VALU_DEP_2) | instskip(SKIP_1) | instid1(VALU_DEP_2)
	v_cndmask_b32_e32 v32, v32, v6, vcc_lo
	v_cmp_eq_u32_e32 vcc_lo, 5, v0
	;; [unrolled: 5-line block ×14, first 2 shown]
	v_cndmask_b32_e32 v32, v32, v31, vcc_lo
	s_wait_dscnt 0x0
	s_delay_alu instid0(VALU_DEP_1)
	v_mul_f32_e32 v35, v32, v33
	s_cbranch_execz .LBB93_716
	s_branch .LBB93_717
.LBB93_715:
                                        ; implicit-def: $vgpr35
.LBB93_716:
	ds_load_b32 v35, v129
.LBB93_717:
	s_mov_b32 s1, exec_lo
	v_cmpx_ne_u32_e32 26, v0
	s_cbranch_execz .LBB93_721
; %bb.718:
	v_mov_b64_e32 v[32:33], v[0:1]
	v_lshl_add_u32 v36, v0, 2, 0x84
	s_mov_b32 s2, 0
.LBB93_719:                             ; =>This Inner Loop Header: Depth=1
	s_delay_alu instid0(VALU_DEP_2)
	v_add_nc_u64_e32 v[32:33], 1, v[32:33]
	ds_load_b32 v38, v36
	v_add_nc_u32_e32 v36, 4, v36
	v_cmp_eq_u32_e32 vcc_lo, 1, v32
	v_cndmask_b32_e32 v37, v2, v3, vcc_lo
	v_cmp_eq_u32_e32 vcc_lo, 2, v32
	s_delay_alu instid0(VALU_DEP_2) | instskip(SKIP_1) | instid1(VALU_DEP_2)
	v_cndmask_b32_e32 v37, v37, v4, vcc_lo
	v_cmp_eq_u32_e32 vcc_lo, 3, v32
	v_cndmask_b32_e32 v37, v37, v5, vcc_lo
	v_cmp_eq_u32_e32 vcc_lo, 4, v32
	s_delay_alu instid0(VALU_DEP_2) | instskip(SKIP_1) | instid1(VALU_DEP_2)
	v_cndmask_b32_e32 v37, v37, v6, vcc_lo
	;; [unrolled: 5-line block ×14, first 2 shown]
	v_cmp_eq_u32_e32 vcc_lo, 29, v32
	v_cndmask_b32_e32 v37, v37, v31, vcc_lo
	v_cmp_lt_u32_e32 vcc_lo, 25, v32
	s_wait_dscnt 0x0
	s_delay_alu instid0(VALU_DEP_2) | instskip(SKIP_1) | instid1(SALU_CYCLE_1)
	v_fmac_f32_e32 v35, v37, v38
	s_or_b32 s2, vcc_lo, s2
	s_and_not1_b32 exec_lo, exec_lo, s2
	s_cbranch_execnz .LBB93_719
; %bb.720:
	s_or_b32 exec_lo, exec_lo, s2
.LBB93_721:
	s_delay_alu instid0(SALU_CYCLE_1)
	s_or_b32 exec_lo, exec_lo, s1
	v_mov_b32_e32 v29, 0
	ds_load_b32 v29, v29 offset:108
	s_wait_dscnt 0x0
	v_mul_f32_e32 v29, v35, v29
.LBB93_722:
	s_or_b32 exec_lo, exec_lo, s0
	v_cmp_gt_u32_e64 s0, 28, v0
	ds_store_b32 v129, v30
	s_wait_dscnt 0x0
	s_barrier_signal -1
	s_barrier_wait -1
	s_and_saveexec_b32 s1, s0
	s_cbranch_execz .LBB93_732
; %bb.723:
	v_cmp_ne_u32_e32 vcc_lo, 1, v34
	s_cbranch_vccnz .LBB93_725
; %bb.724:
	v_cmp_eq_u32_e32 vcc_lo, 1, v0
	ds_load_b32 v33, v129
	v_cndmask_b32_e32 v32, v2, v3, vcc_lo
	v_cmp_eq_u32_e32 vcc_lo, 2, v0
	s_delay_alu instid0(VALU_DEP_2) | instskip(SKIP_1) | instid1(VALU_DEP_2)
	v_cndmask_b32_e32 v32, v32, v4, vcc_lo
	v_cmp_eq_u32_e32 vcc_lo, 3, v0
	v_cndmask_b32_e32 v32, v32, v5, vcc_lo
	v_cmp_eq_u32_e32 vcc_lo, 4, v0
	s_delay_alu instid0(VALU_DEP_2) | instskip(SKIP_1) | instid1(VALU_DEP_2)
	v_cndmask_b32_e32 v32, v32, v6, vcc_lo
	v_cmp_eq_u32_e32 vcc_lo, 5, v0
	v_cndmask_b32_e32 v32, v32, v7, vcc_lo
	v_cmp_eq_u32_e32 vcc_lo, 6, v0
	s_delay_alu instid0(VALU_DEP_2) | instskip(SKIP_1) | instid1(VALU_DEP_2)
	v_cndmask_b32_e32 v32, v32, v8, vcc_lo
	v_cmp_eq_u32_e32 vcc_lo, 7, v0
	v_cndmask_b32_e32 v32, v32, v9, vcc_lo
	v_cmp_eq_u32_e32 vcc_lo, 8, v0
	s_delay_alu instid0(VALU_DEP_2) | instskip(SKIP_1) | instid1(VALU_DEP_2)
	v_cndmask_b32_e32 v32, v32, v10, vcc_lo
	v_cmp_eq_u32_e32 vcc_lo, 9, v0
	v_cndmask_b32_e32 v32, v32, v11, vcc_lo
	v_cmp_eq_u32_e32 vcc_lo, 10, v0
	s_delay_alu instid0(VALU_DEP_2) | instskip(SKIP_1) | instid1(VALU_DEP_2)
	v_cndmask_b32_e32 v32, v32, v12, vcc_lo
	v_cmp_eq_u32_e32 vcc_lo, 11, v0
	v_cndmask_b32_e32 v32, v32, v13, vcc_lo
	v_cmp_eq_u32_e32 vcc_lo, 12, v0
	s_delay_alu instid0(VALU_DEP_2) | instskip(SKIP_1) | instid1(VALU_DEP_2)
	v_cndmask_b32_e32 v32, v32, v14, vcc_lo
	v_cmp_eq_u32_e32 vcc_lo, 13, v0
	v_cndmask_b32_e32 v32, v32, v15, vcc_lo
	v_cmp_eq_u32_e32 vcc_lo, 14, v0
	s_delay_alu instid0(VALU_DEP_2) | instskip(SKIP_1) | instid1(VALU_DEP_2)
	v_cndmask_b32_e32 v32, v32, v16, vcc_lo
	v_cmp_eq_u32_e32 vcc_lo, 15, v0
	v_cndmask_b32_e32 v32, v32, v17, vcc_lo
	v_cmp_eq_u32_e32 vcc_lo, 16, v0
	s_delay_alu instid0(VALU_DEP_2) | instskip(SKIP_1) | instid1(VALU_DEP_2)
	v_cndmask_b32_e32 v32, v32, v18, vcc_lo
	v_cmp_eq_u32_e32 vcc_lo, 17, v0
	v_cndmask_b32_e32 v32, v32, v19, vcc_lo
	v_cmp_eq_u32_e32 vcc_lo, 18, v0
	s_delay_alu instid0(VALU_DEP_2) | instskip(SKIP_1) | instid1(VALU_DEP_2)
	v_cndmask_b32_e32 v32, v32, v20, vcc_lo
	v_cmp_eq_u32_e32 vcc_lo, 19, v0
	v_cndmask_b32_e32 v32, v32, v21, vcc_lo
	v_cmp_eq_u32_e32 vcc_lo, 20, v0
	s_delay_alu instid0(VALU_DEP_2) | instskip(SKIP_1) | instid1(VALU_DEP_2)
	v_cndmask_b32_e32 v32, v32, v22, vcc_lo
	v_cmp_eq_u32_e32 vcc_lo, 21, v0
	v_cndmask_b32_e32 v32, v32, v23, vcc_lo
	v_cmp_eq_u32_e32 vcc_lo, 22, v0
	s_delay_alu instid0(VALU_DEP_2) | instskip(SKIP_1) | instid1(VALU_DEP_2)
	v_cndmask_b32_e32 v32, v32, v24, vcc_lo
	v_cmp_eq_u32_e32 vcc_lo, 23, v0
	v_cndmask_b32_e32 v32, v32, v25, vcc_lo
	v_cmp_eq_u32_e32 vcc_lo, 24, v0
	s_delay_alu instid0(VALU_DEP_2) | instskip(SKIP_1) | instid1(VALU_DEP_2)
	v_cndmask_b32_e32 v32, v32, v26, vcc_lo
	v_cmp_eq_u32_e32 vcc_lo, 25, v0
	v_cndmask_b32_e32 v32, v32, v27, vcc_lo
	v_cmp_eq_u32_e32 vcc_lo, 26, v0
	s_delay_alu instid0(VALU_DEP_2) | instskip(SKIP_1) | instid1(VALU_DEP_2)
	v_cndmask_b32_e32 v32, v32, v28, vcc_lo
	v_cmp_eq_u32_e32 vcc_lo, 27, v0
	v_cndmask_b32_e32 v32, v32, v29, vcc_lo
	v_cmp_eq_u32_e32 vcc_lo, 28, v0
	s_delay_alu instid0(VALU_DEP_2) | instskip(SKIP_1) | instid1(VALU_DEP_2)
	v_cndmask_b32_e32 v32, v32, v30, vcc_lo
	v_cmp_eq_u32_e32 vcc_lo, 29, v0
	v_cndmask_b32_e32 v32, v32, v31, vcc_lo
	s_wait_dscnt 0x0
	s_delay_alu instid0(VALU_DEP_1)
	v_mul_f32_e32 v35, v32, v33
	s_cbranch_execz .LBB93_726
	s_branch .LBB93_727
.LBB93_725:
                                        ; implicit-def: $vgpr35
.LBB93_726:
	ds_load_b32 v35, v129
.LBB93_727:
	s_mov_b32 s2, exec_lo
	v_cmpx_ne_u32_e32 27, v0
	s_cbranch_execz .LBB93_731
; %bb.728:
	v_mov_b64_e32 v[32:33], v[0:1]
	v_lshl_add_u32 v36, v0, 2, 0x84
	s_mov_b32 s3, 0
.LBB93_729:                             ; =>This Inner Loop Header: Depth=1
	s_delay_alu instid0(VALU_DEP_2)
	v_add_nc_u64_e32 v[32:33], 1, v[32:33]
	ds_load_b32 v38, v36
	v_add_nc_u32_e32 v36, 4, v36
	v_cmp_eq_u32_e32 vcc_lo, 1, v32
	v_cndmask_b32_e32 v37, v2, v3, vcc_lo
	v_cmp_eq_u32_e32 vcc_lo, 2, v32
	s_delay_alu instid0(VALU_DEP_2) | instskip(SKIP_1) | instid1(VALU_DEP_2)
	v_cndmask_b32_e32 v37, v37, v4, vcc_lo
	v_cmp_eq_u32_e32 vcc_lo, 3, v32
	v_cndmask_b32_e32 v37, v37, v5, vcc_lo
	v_cmp_eq_u32_e32 vcc_lo, 4, v32
	s_delay_alu instid0(VALU_DEP_2) | instskip(SKIP_1) | instid1(VALU_DEP_2)
	v_cndmask_b32_e32 v37, v37, v6, vcc_lo
	v_cmp_eq_u32_e32 vcc_lo, 5, v32
	v_cndmask_b32_e32 v37, v37, v7, vcc_lo
	v_cmp_eq_u32_e32 vcc_lo, 6, v32
	s_delay_alu instid0(VALU_DEP_2) | instskip(SKIP_1) | instid1(VALU_DEP_2)
	v_cndmask_b32_e32 v37, v37, v8, vcc_lo
	v_cmp_eq_u32_e32 vcc_lo, 7, v32
	v_cndmask_b32_e32 v37, v37, v9, vcc_lo
	v_cmp_eq_u32_e32 vcc_lo, 8, v32
	s_delay_alu instid0(VALU_DEP_2) | instskip(SKIP_1) | instid1(VALU_DEP_2)
	v_cndmask_b32_e32 v37, v37, v10, vcc_lo
	v_cmp_eq_u32_e32 vcc_lo, 9, v32
	v_cndmask_b32_e32 v37, v37, v11, vcc_lo
	v_cmp_eq_u32_e32 vcc_lo, 10, v32
	s_delay_alu instid0(VALU_DEP_2) | instskip(SKIP_1) | instid1(VALU_DEP_2)
	v_cndmask_b32_e32 v37, v37, v12, vcc_lo
	v_cmp_eq_u32_e32 vcc_lo, 11, v32
	v_cndmask_b32_e32 v37, v37, v13, vcc_lo
	v_cmp_eq_u32_e32 vcc_lo, 12, v32
	s_delay_alu instid0(VALU_DEP_2) | instskip(SKIP_1) | instid1(VALU_DEP_2)
	v_cndmask_b32_e32 v37, v37, v14, vcc_lo
	v_cmp_eq_u32_e32 vcc_lo, 13, v32
	v_cndmask_b32_e32 v37, v37, v15, vcc_lo
	v_cmp_eq_u32_e32 vcc_lo, 14, v32
	s_delay_alu instid0(VALU_DEP_2) | instskip(SKIP_1) | instid1(VALU_DEP_2)
	v_cndmask_b32_e32 v37, v37, v16, vcc_lo
	v_cmp_eq_u32_e32 vcc_lo, 15, v32
	v_cndmask_b32_e32 v37, v37, v17, vcc_lo
	v_cmp_eq_u32_e32 vcc_lo, 16, v32
	s_delay_alu instid0(VALU_DEP_2) | instskip(SKIP_1) | instid1(VALU_DEP_2)
	v_cndmask_b32_e32 v37, v37, v18, vcc_lo
	v_cmp_eq_u32_e32 vcc_lo, 17, v32
	v_cndmask_b32_e32 v37, v37, v19, vcc_lo
	v_cmp_eq_u32_e32 vcc_lo, 18, v32
	s_delay_alu instid0(VALU_DEP_2) | instskip(SKIP_1) | instid1(VALU_DEP_2)
	v_cndmask_b32_e32 v37, v37, v20, vcc_lo
	v_cmp_eq_u32_e32 vcc_lo, 19, v32
	v_cndmask_b32_e32 v37, v37, v21, vcc_lo
	v_cmp_eq_u32_e32 vcc_lo, 20, v32
	s_delay_alu instid0(VALU_DEP_2) | instskip(SKIP_1) | instid1(VALU_DEP_2)
	v_cndmask_b32_e32 v37, v37, v22, vcc_lo
	v_cmp_eq_u32_e32 vcc_lo, 21, v32
	v_cndmask_b32_e32 v37, v37, v23, vcc_lo
	v_cmp_eq_u32_e32 vcc_lo, 22, v32
	s_delay_alu instid0(VALU_DEP_2) | instskip(SKIP_1) | instid1(VALU_DEP_2)
	v_cndmask_b32_e32 v37, v37, v24, vcc_lo
	v_cmp_eq_u32_e32 vcc_lo, 23, v32
	v_cndmask_b32_e32 v37, v37, v25, vcc_lo
	v_cmp_eq_u32_e32 vcc_lo, 24, v32
	s_delay_alu instid0(VALU_DEP_2) | instskip(SKIP_1) | instid1(VALU_DEP_2)
	v_cndmask_b32_e32 v37, v37, v26, vcc_lo
	v_cmp_eq_u32_e32 vcc_lo, 25, v32
	v_cndmask_b32_e32 v37, v37, v27, vcc_lo
	v_cmp_eq_u32_e32 vcc_lo, 26, v32
	s_delay_alu instid0(VALU_DEP_2) | instskip(SKIP_1) | instid1(VALU_DEP_2)
	v_cndmask_b32_e32 v37, v37, v28, vcc_lo
	v_cmp_eq_u32_e32 vcc_lo, 27, v32
	v_cndmask_b32_e32 v37, v37, v29, vcc_lo
	v_cmp_eq_u32_e32 vcc_lo, 28, v32
	s_delay_alu instid0(VALU_DEP_2) | instskip(SKIP_1) | instid1(VALU_DEP_2)
	v_cndmask_b32_e32 v37, v37, v30, vcc_lo
	v_cmp_eq_u32_e32 vcc_lo, 29, v32
	v_cndmask_b32_e32 v37, v37, v31, vcc_lo
	v_cmp_lt_u32_e32 vcc_lo, 26, v32
	s_wait_dscnt 0x0
	s_delay_alu instid0(VALU_DEP_2) | instskip(SKIP_1) | instid1(SALU_CYCLE_1)
	v_fmac_f32_e32 v35, v37, v38
	s_or_b32 s3, vcc_lo, s3
	s_and_not1_b32 exec_lo, exec_lo, s3
	s_cbranch_execnz .LBB93_729
; %bb.730:
	s_or_b32 exec_lo, exec_lo, s3
.LBB93_731:
	s_delay_alu instid0(SALU_CYCLE_1)
	s_or_b32 exec_lo, exec_lo, s2
	v_mov_b32_e32 v30, 0
	ds_load_b32 v30, v30 offset:112
	s_wait_dscnt 0x0
	v_mul_f32_e32 v30, v35, v30
.LBB93_732:
	s_or_b32 exec_lo, exec_lo, s1
	s_delay_alu instid0(SALU_CYCLE_1)
	s_mov_b32 s1, exec_lo
	ds_store_b32 v129, v31
	s_wait_dscnt 0x0
	s_barrier_signal -1
	s_barrier_wait -1
	v_cmpx_ne_u32_e32 29, v0
	s_cbranch_execz .LBB93_742
; %bb.733:
	v_cmp_ne_u32_e32 vcc_lo, 1, v34
	s_cbranch_vccnz .LBB93_735
; %bb.734:
	v_cmp_eq_u32_e32 vcc_lo, 1, v0
	ds_load_b32 v33, v129
	v_cndmask_b32_e32 v32, v2, v3, vcc_lo
	v_cmp_eq_u32_e32 vcc_lo, 2, v0
	s_delay_alu instid0(VALU_DEP_2) | instskip(SKIP_1) | instid1(VALU_DEP_2)
	v_cndmask_b32_e32 v32, v32, v4, vcc_lo
	v_cmp_eq_u32_e32 vcc_lo, 3, v0
	v_cndmask_b32_e32 v32, v32, v5, vcc_lo
	v_cmp_eq_u32_e32 vcc_lo, 4, v0
	s_delay_alu instid0(VALU_DEP_2) | instskip(SKIP_1) | instid1(VALU_DEP_2)
	v_cndmask_b32_e32 v32, v32, v6, vcc_lo
	v_cmp_eq_u32_e32 vcc_lo, 5, v0
	;; [unrolled: 5-line block ×14, first 2 shown]
	v_cndmask_b32_e32 v32, v32, v31, vcc_lo
	s_wait_dscnt 0x0
	s_delay_alu instid0(VALU_DEP_1)
	v_mul_f32_e32 v32, v32, v33
	s_cbranch_execz .LBB93_736
	s_branch .LBB93_737
.LBB93_735:
                                        ; implicit-def: $vgpr32
.LBB93_736:
	ds_load_b32 v32, v129
.LBB93_737:
	s_and_saveexec_b32 s2, s0
	s_cbranch_execz .LBB93_741
; %bb.738:
	v_lshl_add_u32 v33, v0, 2, 0x84
	s_mov_b32 s0, 0
.LBB93_739:                             ; =>This Inner Loop Header: Depth=1
	v_add_nc_u64_e32 v[0:1], 1, v[0:1]
	ds_load_b32 v35, v33
	v_add_nc_u32_e32 v33, 4, v33
	v_cmp_eq_u32_e32 vcc_lo, 1, v0
	v_cndmask_b32_e32 v34, v2, v3, vcc_lo
	v_cmp_eq_u32_e32 vcc_lo, 2, v0
	s_delay_alu instid0(VALU_DEP_2) | instskip(SKIP_1) | instid1(VALU_DEP_2)
	v_cndmask_b32_e32 v34, v34, v4, vcc_lo
	v_cmp_eq_u32_e32 vcc_lo, 3, v0
	v_cndmask_b32_e32 v34, v34, v5, vcc_lo
	v_cmp_eq_u32_e32 vcc_lo, 4, v0
	s_delay_alu instid0(VALU_DEP_2) | instskip(SKIP_1) | instid1(VALU_DEP_2)
	v_cndmask_b32_e32 v34, v34, v6, vcc_lo
	;; [unrolled: 5-line block ×14, first 2 shown]
	v_cmp_eq_u32_e32 vcc_lo, 29, v0
	v_cndmask_b32_e32 v34, v34, v31, vcc_lo
	v_cmp_lt_u32_e32 vcc_lo, 27, v0
	s_wait_dscnt 0x0
	s_delay_alu instid0(VALU_DEP_2) | instskip(SKIP_1) | instid1(SALU_CYCLE_1)
	v_fmac_f32_e32 v32, v34, v35
	s_or_b32 s0, vcc_lo, s0
	s_and_not1_b32 exec_lo, exec_lo, s0
	s_cbranch_execnz .LBB93_739
; %bb.740:
	s_or_b32 exec_lo, exec_lo, s0
.LBB93_741:
	s_delay_alu instid0(SALU_CYCLE_1)
	s_or_b32 exec_lo, exec_lo, s2
	v_mov_b32_e32 v0, 0
	ds_load_b32 v0, v0 offset:116
	s_wait_dscnt 0x0
	v_mul_f32_e32 v31, v32, v0
.LBB93_742:
	s_or_b32 exec_lo, exec_lo, s1
	v_mov_b64_e32 v[64:65], v[32:33]
	s_delay_alu instid0(VALU_DEP_2)
	v_mov_b64_e32 v[62:63], v[30:31]
	v_mov_b64_e32 v[60:61], v[28:29]
	;; [unrolled: 1-line block ×15, first 2 shown]
.LBB93_743:
	s_wait_xcnt 0x5
	v_lshl_add_u64 v[0:1], v[66:67], 2, s[30:31]
	s_wait_loadcnt_dscnt 0x506
	v_lshl_add_u64 v[2:3], v[68:69], 2, s[30:31]
	v_lshl_add_u64 v[4:5], v[70:71], 2, s[30:31]
	;; [unrolled: 1-line block ×12, first 2 shown]
	s_wait_loadcnt_dscnt 0x405
	v_lshl_add_u64 v[26:27], v[92:93], 2, s[30:31]
	s_wait_loadcnt_dscnt 0x203
	v_lshl_add_u64 v[28:29], v[94:95], 2, s[30:31]
	;; [unrolled: 2-line block ×3, first 2 shown]
	v_lshl_add_u64 v[32:33], v[98:99], 2, s[30:31]
	v_lshl_add_u64 v[64:65], v[100:101], 2, s[30:31]
	;; [unrolled: 1-line block ×12, first 2 shown]
	s_clause 0x1d
	flat_store_b32 v[104:105], v34
	flat_store_b32 v[110:111], v35
	;; [unrolled: 1-line block ×30, first 2 shown]
.LBB93_744:
	s_sendmsg sendmsg(MSG_DEALLOC_VGPRS)
	s_endpgm
	.section	.rodata,"a",@progbits
	.p2align	6, 0x0
	.amdhsa_kernel _ZN9rocsolver6v33100L18trti2_kernel_smallILi30EfPKPfEEv13rocblas_fill_17rocblas_diagonal_T1_iil
		.amdhsa_group_segment_fixed_size 248
		.amdhsa_private_segment_fixed_size 0
		.amdhsa_kernarg_size 32
		.amdhsa_user_sgpr_count 2
		.amdhsa_user_sgpr_dispatch_ptr 0
		.amdhsa_user_sgpr_queue_ptr 0
		.amdhsa_user_sgpr_kernarg_segment_ptr 1
		.amdhsa_user_sgpr_dispatch_id 0
		.amdhsa_user_sgpr_kernarg_preload_length 0
		.amdhsa_user_sgpr_kernarg_preload_offset 0
		.amdhsa_user_sgpr_private_segment_size 0
		.amdhsa_wavefront_size32 1
		.amdhsa_uses_dynamic_stack 0
		.amdhsa_enable_private_segment 0
		.amdhsa_system_sgpr_workgroup_id_x 1
		.amdhsa_system_sgpr_workgroup_id_y 0
		.amdhsa_system_sgpr_workgroup_id_z 0
		.amdhsa_system_sgpr_workgroup_info 0
		.amdhsa_system_vgpr_workitem_id 0
		.amdhsa_next_free_vgpr 141
		.amdhsa_next_free_sgpr 40
		.amdhsa_named_barrier_count 0
		.amdhsa_reserve_vcc 1
		.amdhsa_float_round_mode_32 0
		.amdhsa_float_round_mode_16_64 0
		.amdhsa_float_denorm_mode_32 3
		.amdhsa_float_denorm_mode_16_64 3
		.amdhsa_fp16_overflow 0
		.amdhsa_memory_ordered 1
		.amdhsa_forward_progress 1
		.amdhsa_inst_pref_size 255
		.amdhsa_round_robin_scheduling 0
		.amdhsa_exception_fp_ieee_invalid_op 0
		.amdhsa_exception_fp_denorm_src 0
		.amdhsa_exception_fp_ieee_div_zero 0
		.amdhsa_exception_fp_ieee_overflow 0
		.amdhsa_exception_fp_ieee_underflow 0
		.amdhsa_exception_fp_ieee_inexact 0
		.amdhsa_exception_int_div_zero 0
	.end_amdhsa_kernel
	.section	.text._ZN9rocsolver6v33100L18trti2_kernel_smallILi30EfPKPfEEv13rocblas_fill_17rocblas_diagonal_T1_iil,"axG",@progbits,_ZN9rocsolver6v33100L18trti2_kernel_smallILi30EfPKPfEEv13rocblas_fill_17rocblas_diagonal_T1_iil,comdat
.Lfunc_end93:
	.size	_ZN9rocsolver6v33100L18trti2_kernel_smallILi30EfPKPfEEv13rocblas_fill_17rocblas_diagonal_T1_iil, .Lfunc_end93-_ZN9rocsolver6v33100L18trti2_kernel_smallILi30EfPKPfEEv13rocblas_fill_17rocblas_diagonal_T1_iil
                                        ; -- End function
	.set _ZN9rocsolver6v33100L18trti2_kernel_smallILi30EfPKPfEEv13rocblas_fill_17rocblas_diagonal_T1_iil.num_vgpr, 141
	.set _ZN9rocsolver6v33100L18trti2_kernel_smallILi30EfPKPfEEv13rocblas_fill_17rocblas_diagonal_T1_iil.num_agpr, 0
	.set _ZN9rocsolver6v33100L18trti2_kernel_smallILi30EfPKPfEEv13rocblas_fill_17rocblas_diagonal_T1_iil.numbered_sgpr, 40
	.set _ZN9rocsolver6v33100L18trti2_kernel_smallILi30EfPKPfEEv13rocblas_fill_17rocblas_diagonal_T1_iil.num_named_barrier, 0
	.set _ZN9rocsolver6v33100L18trti2_kernel_smallILi30EfPKPfEEv13rocblas_fill_17rocblas_diagonal_T1_iil.private_seg_size, 0
	.set _ZN9rocsolver6v33100L18trti2_kernel_smallILi30EfPKPfEEv13rocblas_fill_17rocblas_diagonal_T1_iil.uses_vcc, 1
	.set _ZN9rocsolver6v33100L18trti2_kernel_smallILi30EfPKPfEEv13rocblas_fill_17rocblas_diagonal_T1_iil.uses_flat_scratch, 1
	.set _ZN9rocsolver6v33100L18trti2_kernel_smallILi30EfPKPfEEv13rocblas_fill_17rocblas_diagonal_T1_iil.has_dyn_sized_stack, 0
	.set _ZN9rocsolver6v33100L18trti2_kernel_smallILi30EfPKPfEEv13rocblas_fill_17rocblas_diagonal_T1_iil.has_recursion, 0
	.set _ZN9rocsolver6v33100L18trti2_kernel_smallILi30EfPKPfEEv13rocblas_fill_17rocblas_diagonal_T1_iil.has_indirect_call, 0
	.section	.AMDGPU.csdata,"",@progbits
; Kernel info:
; codeLenInByte = 55596
; TotalNumSgprs: 42
; NumVgprs: 141
; ScratchSize: 0
; MemoryBound: 0
; FloatMode: 240
; IeeeMode: 1
; LDSByteSize: 248 bytes/workgroup (compile time only)
; SGPRBlocks: 0
; VGPRBlocks: 8
; NumSGPRsForWavesPerEU: 42
; NumVGPRsForWavesPerEU: 141
; NamedBarCnt: 0
; Occupancy: 7
; WaveLimiterHint : 1
; COMPUTE_PGM_RSRC2:SCRATCH_EN: 0
; COMPUTE_PGM_RSRC2:USER_SGPR: 2
; COMPUTE_PGM_RSRC2:TRAP_HANDLER: 0
; COMPUTE_PGM_RSRC2:TGID_X_EN: 1
; COMPUTE_PGM_RSRC2:TGID_Y_EN: 0
; COMPUTE_PGM_RSRC2:TGID_Z_EN: 0
; COMPUTE_PGM_RSRC2:TIDIG_COMP_CNT: 0
	.section	.text._ZN9rocsolver6v33100L18trti2_kernel_smallILi31EfPKPfEEv13rocblas_fill_17rocblas_diagonal_T1_iil,"axG",@progbits,_ZN9rocsolver6v33100L18trti2_kernel_smallILi31EfPKPfEEv13rocblas_fill_17rocblas_diagonal_T1_iil,comdat
	.globl	_ZN9rocsolver6v33100L18trti2_kernel_smallILi31EfPKPfEEv13rocblas_fill_17rocblas_diagonal_T1_iil ; -- Begin function _ZN9rocsolver6v33100L18trti2_kernel_smallILi31EfPKPfEEv13rocblas_fill_17rocblas_diagonal_T1_iil
	.p2align	8
	.type	_ZN9rocsolver6v33100L18trti2_kernel_smallILi31EfPKPfEEv13rocblas_fill_17rocblas_diagonal_T1_iil,@function
_ZN9rocsolver6v33100L18trti2_kernel_smallILi31EfPKPfEEv13rocblas_fill_17rocblas_diagonal_T1_iil: ; @_ZN9rocsolver6v33100L18trti2_kernel_smallILi31EfPKPfEEv13rocblas_fill_17rocblas_diagonal_T1_iil
; %bb.0:
	s_mov_b32 s2, exec_lo
	v_cmpx_gt_u32_e32 31, v0
	s_cbranch_execz .LBB94_770
; %bb.1:
	s_clause 0x1
	s_load_b64 s[2:3], s[0:1], 0x10
	s_load_b128 s[36:39], s[0:1], 0x0
	s_wait_xcnt 0x0
	s_bfe_u32 s0, ttmp6, 0x4000c
	s_and_b32 s1, ttmp6, 15
	s_add_co_i32 s0, s0, 1
	s_getreg_b32 s4, hwreg(HW_REG_IB_STS2, 6, 4)
	s_mul_i32 s0, ttmp9, s0
	v_mov_b32_e32 v1, 0
	s_add_co_i32 s0, s1, s0
	s_delay_alu instid0(VALU_DEP_1)
	v_mov_b32_e32 v35, v1
	s_wait_kmcnt 0x0
	v_add3_u32 v66, s3, s3, v0
	s_ashr_i32 s1, s2, 31
	s_cmp_eq_u32 s4, 0
	s_cselect_b32 s4, ttmp9, s0
	s_delay_alu instid0(VALU_DEP_1)
	v_add_nc_u32_e32 v68, s3, v66
	s_ashr_i32 s5, s4, 31
	s_mov_b32 s0, s2
	s_lshl_b64 s[4:5], s[4:5], 3
	s_lshl_b64 s[0:1], s[0:1], 2
	v_add_nc_u32_e32 v70, s3, v68
	s_add_nc_u64 s[4:5], s[38:39], s[4:5]
	s_load_b64 s[4:5], s[4:5], 0x0
	s_delay_alu instid0(VALU_DEP_1) | instskip(NEXT) | instid1(VALU_DEP_1)
	v_add_nc_u32_e32 v72, s3, v70
	v_add_nc_u32_e32 v74, s3, v72
	s_delay_alu instid0(VALU_DEP_1) | instskip(NEXT) | instid1(VALU_DEP_1)
	v_add_nc_u32_e32 v76, s3, v74
	v_add_nc_u32_e32 v78, s3, v76
	s_wait_kmcnt 0x0
	s_add_nc_u64 s[34:35], s[4:5], s[0:1]
	s_mov_b32 s0, s3
	s_delay_alu instid0(VALU_DEP_1) | instskip(SKIP_3) | instid1(VALU_DEP_1)
	v_add_nc_u32_e32 v80, s3, v78
	s_ashr_i32 s1, s3, 31
	s_cmp_lg_u32 s37, 0x84
	s_cselect_b32 s31, -1, 0
	v_add_nc_u32_e32 v82, s3, v80
	s_cmp_eq_u32 s37, 0x84
	s_delay_alu instid0(VALU_DEP_1) | instskip(NEXT) | instid1(VALU_DEP_1)
	v_add_nc_u32_e32 v84, s3, v82
	v_add_nc_u32_e32 v86, s3, v84
	s_delay_alu instid0(VALU_DEP_1) | instskip(NEXT) | instid1(VALU_DEP_1)
	v_add_nc_u32_e32 v88, s3, v86
	v_add_nc_u32_e32 v90, s3, v88
	;; [unrolled: 3-line block ×6, first 2 shown]
	s_delay_alu instid0(VALU_DEP_1) | instskip(NEXT) | instid1(VALU_DEP_1)
	v_add_nc_u32_e32 v110, s3, v108
	v_dual_lshlrev_b32 v34, 2, v0 :: v_dual_add_nc_u32 v114, s3, v110
	s_delay_alu instid0(VALU_DEP_1) | instskip(NEXT) | instid1(VALU_DEP_2)
	v_add_nc_u64_e32 v[106:107], s[34:35], v[34:35]
	v_dual_mov_b32 v35, -1.0 :: v_dual_add_nc_u32 v116, s3, v114
	s_delay_alu instid0(VALU_DEP_2)
	v_lshl_add_u64 v[112:113], s[0:1], 2, v[106:107]
	s_clause 0x7
	flat_load_b32 v3, v[112:113]
	flat_load_b32 v4, v66, s[34:35] scale_offset
	flat_load_b32 v5, v68, s[34:35] scale_offset
	;; [unrolled: 1-line block ×7, first 2 shown]
	v_add_nc_u32_e32 v118, s3, v116
	s_clause 0xf
	flat_load_b32 v11, v80, s[34:35] scale_offset
	flat_load_b32 v12, v82, s[34:35] scale_offset
	;; [unrolled: 1-line block ×16, first 2 shown]
	v_cmp_eq_u32_e64 s0, 0, v0
	v_add_nc_u32_e32 v120, s3, v118
	s_delay_alu instid0(VALU_DEP_1) | instskip(NEXT) | instid1(VALU_DEP_1)
	v_add_nc_u32_e32 v122, s3, v120
	v_add_nc_u32_e32 v124, s3, v122
	s_delay_alu instid0(VALU_DEP_1)
	v_add_nc_u32_e32 v126, s3, v124
	s_clause 0x6
	flat_load_b32 v2, v0, s[34:35] scale_offset
	flat_load_b32 v27, v116, s[34:35] scale_offset
	;; [unrolled: 1-line block ×7, first 2 shown]
	s_cbranch_scc1 .LBB94_3
; %bb.2:
	v_cmp_eq_u32_e64 s1, 1, v0
	v_cmp_eq_u32_e64 s2, 2, v0
	;; [unrolled: 1-line block ×5, first 2 shown]
	s_wait_loadcnt_dscnt 0x606
	v_cndmask_b32_e64 v33, v2, v3, s1
	v_cmp_eq_u32_e64 s6, 6, v0
	v_cmp_eq_u32_e64 s7, 7, v0
	v_cmp_eq_u32_e64 s8, 8, v0
	v_cmp_eq_u32_e64 s9, 9, v0
	v_cndmask_b32_e64 v33, v33, v4, s2
	v_cmp_eq_u32_e64 s10, 10, v0
	v_cmp_eq_u32_e64 s11, 11, v0
	v_cmp_eq_u32_e64 s12, 12, v0
	v_cmp_eq_u32_e64 s13, 13, v0
	;; [unrolled: 5-line block ×6, first 2 shown]
	v_cndmask_b32_e64 v33, v33, v9, s7
	v_cmp_eq_u32_e64 s30, 30, v0
	s_delay_alu instid0(VALU_DEP_2) | instskip(NEXT) | instid1(VALU_DEP_1)
	v_cndmask_b32_e64 v33, v33, v10, s8
	v_cndmask_b32_e64 v33, v33, v11, s9
	s_delay_alu instid0(VALU_DEP_1) | instskip(NEXT) | instid1(VALU_DEP_1)
	v_cndmask_b32_e64 v33, v33, v12, s10
	v_cndmask_b32_e64 v33, v33, v13, s11
	s_delay_alu instid0(VALU_DEP_1) | instskip(NEXT) | instid1(VALU_DEP_1)
	;; [unrolled: 3-line block ×7, first 2 shown]
	v_cndmask_b32_e64 v33, v33, v24, s22
	v_cndmask_b32_e64 v33, v33, v25, s23
	s_delay_alu instid0(VALU_DEP_1) | instskip(SKIP_1) | instid1(VALU_DEP_1)
	v_cndmask_b32_e64 v33, v33, v26, s24
	s_wait_loadcnt_dscnt 0x505
	v_cndmask_b32_e64 v33, v33, v27, s25
	s_wait_loadcnt_dscnt 0x404
	s_delay_alu instid0(VALU_DEP_1) | instskip(SKIP_1) | instid1(VALU_DEP_1)
	v_cndmask_b32_e64 v33, v33, v28, s26
	s_wait_loadcnt_dscnt 0x303
	v_cndmask_b32_e64 v33, v33, v29, s27
	s_wait_loadcnt_dscnt 0x202
	;; [unrolled: 5-line block ×3, first 2 shown]
	s_delay_alu instid0(VALU_DEP_1) | instskip(NEXT) | instid1(VALU_DEP_1)
	v_cndmask_b32_e64 v33, v33, v32, s30
	v_div_scale_f32 v35, null, v33, v33, 1.0
	v_div_scale_f32 v38, vcc_lo, 1.0, v33, 1.0
	s_delay_alu instid0(VALU_DEP_2) | instskip(SKIP_1) | instid1(TRANS32_DEP_1)
	v_rcp_f32_e32 v36, v35
	v_nop
	v_fma_f32 v37, -v35, v36, 1.0
	s_delay_alu instid0(VALU_DEP_1) | instskip(NEXT) | instid1(VALU_DEP_1)
	v_fmac_f32_e32 v36, v37, v36
	v_mul_f32_e32 v37, v38, v36
	s_delay_alu instid0(VALU_DEP_1) | instskip(NEXT) | instid1(VALU_DEP_1)
	v_fma_f32 v39, -v35, v37, v38
	v_fmac_f32_e32 v37, v39, v36
	s_delay_alu instid0(VALU_DEP_1) | instskip(NEXT) | instid1(VALU_DEP_1)
	v_fma_f32 v35, -v35, v37, v38
	v_div_fmas_f32 v35, v35, v36, v37
	s_delay_alu instid0(VALU_DEP_1) | instskip(NEXT) | instid1(VALU_DEP_1)
	v_div_fixup_f32 v33, v35, v33, 1.0
	v_dual_cndmask_b32 v32, v32, v33, s30 :: v_dual_cndmask_b32 v31, v31, v33, s29
	v_dual_cndmask_b32 v30, v30, v33, s28 :: v_dual_cndmask_b32 v29, v29, v33, s27
	;; [unrolled: 1-line block ×15, first 2 shown]
	v_cndmask_b32_e64 v2, v2, v33, s0
	v_xor_b32_e32 v35, 0x80000000, v33
.LBB94_3:
	v_dual_ashrrev_i32 v67, 31, v66 :: v_dual_ashrrev_i32 v69, 31, v68
	v_dual_ashrrev_i32 v71, 31, v70 :: v_dual_ashrrev_i32 v73, 31, v72
	;; [unrolled: 1-line block ×14, first 2 shown]
	v_ashrrev_i32_e32 v127, 31, v126
	v_add_nc_u32_e32 v131, 0x80, v34
	s_cmp_eq_u32 s36, 0x79
	ds_store_b32 v34, v35
	s_cbranch_scc1 .LBB94_7
; %bb.4:
	s_wait_loadcnt_dscnt 0x1
	v_mov_b64_e32 v[64:65], v[32:33]
	v_mov_b64_e32 v[62:63], v[30:31]
	;; [unrolled: 1-line block ×16, first 2 shown]
	v_cmp_eq_u32_e64 s1, 30, v0
	ds_store_b32 v131, v31
	s_wait_dscnt 0x0
	s_barrier_signal -1
	s_barrier_wait -1
	s_and_saveexec_b32 s0, s1
	s_cbranch_execz .LBB94_11
; %bb.5:
	s_and_b32 vcc_lo, exec_lo, s31
	s_cbranch_vccz .LBB94_8
; %bb.6:
	v_cmp_eq_u32_e32 vcc_lo, 1, v0
	ds_load_b32 v35, v131
	v_cndmask_b32_e32 v34, v2, v3, vcc_lo
	v_cmp_eq_u32_e32 vcc_lo, 2, v0
	s_delay_alu instid0(VALU_DEP_2) | instskip(SKIP_1) | instid1(VALU_DEP_2)
	v_cndmask_b32_e32 v34, v34, v4, vcc_lo
	v_cmp_eq_u32_e32 vcc_lo, 3, v0
	v_cndmask_b32_e32 v34, v34, v5, vcc_lo
	v_cmp_eq_u32_e32 vcc_lo, 4, v0
	s_delay_alu instid0(VALU_DEP_2) | instskip(SKIP_1) | instid1(VALU_DEP_2)
	v_cndmask_b32_e32 v34, v34, v6, vcc_lo
	v_cmp_eq_u32_e32 vcc_lo, 5, v0
	;; [unrolled: 5-line block ×14, first 2 shown]
	v_cndmask_b32_e32 v34, v34, v31, vcc_lo
	v_cmp_eq_u32_e32 vcc_lo, 30, v0
	s_delay_alu instid0(VALU_DEP_2) | instskip(SKIP_1) | instid1(VALU_DEP_1)
	v_cndmask_b32_e32 v34, v34, v32, vcc_lo
	s_wait_dscnt 0x0
	v_mul_f32_e32 v57, v34, v35
	s_cbranch_execz .LBB94_9
	s_branch .LBB94_10
.LBB94_7:
                                        ; implicit-def: $vgpr34_vgpr35_vgpr36_vgpr37_vgpr38_vgpr39_vgpr40_vgpr41_vgpr42_vgpr43_vgpr44_vgpr45_vgpr46_vgpr47_vgpr48_vgpr49_vgpr50_vgpr51_vgpr52_vgpr53_vgpr54_vgpr55_vgpr56_vgpr57_vgpr58_vgpr59_vgpr60_vgpr61_vgpr62_vgpr63_vgpr64_vgpr65
	s_cbranch_execnz .LBB94_466
	s_branch .LBB94_769
.LBB94_8:
                                        ; implicit-def: $vgpr57
.LBB94_9:
	ds_load_b32 v57, v131
.LBB94_10:
	v_dual_mov_b32 v38, 0 :: v_dual_mov_b32 v34, v2
	v_dual_mov_b32 v35, v3 :: v_dual_mov_b32 v36, v4
	v_mov_b32_e32 v37, v5
	ds_load_b32 v58, v38 offset:116
	v_dual_mov_b32 v38, v6 :: v_dual_mov_b32 v39, v7
	v_dual_mov_b32 v40, v8 :: v_dual_mov_b32 v41, v9
	;; [unrolled: 1-line block ×9, first 2 shown]
	s_wait_dscnt 0x0
	v_dual_mov_b32 v56, v24 :: v_dual_mul_f32 v63, v57, v58
	v_dual_mov_b32 v58, v26 :: v_dual_mov_b32 v57, v25
	v_dual_mov_b32 v59, v27 :: v_dual_mov_b32 v60, v28
	;; [unrolled: 1-line block ×3, first 2 shown]
	v_mov_b32_e32 v64, v32
.LBB94_11:
	s_or_b32 exec_lo, exec_lo, s0
	v_cmp_lt_u32_e64 s0, 28, v0
	ds_store_b32 v131, v62
	s_wait_dscnt 0x0
	s_barrier_signal -1
	s_barrier_wait -1
	s_and_saveexec_b32 s2, s0
	s_cbranch_execz .LBB94_17
; %bb.12:
	s_and_not1_b32 vcc_lo, exec_lo, s31
	s_cbranch_vccnz .LBB94_14
; %bb.13:
	v_cmp_eq_u32_e32 vcc_lo, 1, v0
	ds_load_b32 v128, v131
	v_cndmask_b32_e32 v65, v34, v35, vcc_lo
	v_cmp_eq_u32_e32 vcc_lo, 2, v0
	s_delay_alu instid0(VALU_DEP_2) | instskip(SKIP_1) | instid1(VALU_DEP_2)
	v_cndmask_b32_e32 v65, v65, v36, vcc_lo
	v_cmp_eq_u32_e32 vcc_lo, 3, v0
	v_cndmask_b32_e32 v65, v65, v37, vcc_lo
	v_cmp_eq_u32_e32 vcc_lo, 4, v0
	s_delay_alu instid0(VALU_DEP_2) | instskip(SKIP_1) | instid1(VALU_DEP_2)
	v_cndmask_b32_e32 v65, v65, v38, vcc_lo
	v_cmp_eq_u32_e32 vcc_lo, 5, v0
	;; [unrolled: 5-line block ×14, first 2 shown]
	v_cndmask_b32_e32 v62, v62, v63, vcc_lo
	v_cmp_eq_u32_e32 vcc_lo, 30, v0
	s_delay_alu instid0(VALU_DEP_2) | instskip(SKIP_1) | instid1(VALU_DEP_1)
	v_cndmask_b32_e32 v62, v62, v64, vcc_lo
	s_wait_dscnt 0x0
	v_mul_f32_e32 v62, v62, v128
	s_cbranch_execz .LBB94_15
	s_branch .LBB94_16
.LBB94_14:
                                        ; implicit-def: $vgpr62
.LBB94_15:
	ds_load_b32 v62, v131
.LBB94_16:
	v_mov_b32_e32 v65, 0
	ds_load_2addr_b32 v[128:129], v65 offset0:28 offset1:61
	s_wait_dscnt 0x0
	v_fma_f32 v65, v63, v129, v62
	s_delay_alu instid0(VALU_DEP_1) | instskip(NEXT) | instid1(VALU_DEP_1)
	v_cndmask_b32_e64 v62, v62, v65, s1
	v_mul_f32_e32 v62, v62, v128
.LBB94_17:
	s_or_b32 exec_lo, exec_lo, s2
	v_cmp_lt_u32_e64 s1, 27, v0
	ds_store_b32 v131, v61
	s_wait_dscnt 0x0
	s_barrier_signal -1
	s_barrier_wait -1
	s_and_saveexec_b32 s4, s1
	s_cbranch_execz .LBB94_33
; %bb.18:
	s_and_not1_b32 vcc_lo, exec_lo, s31
	s_cbranch_vccnz .LBB94_20
; %bb.19:
	v_cmp_eq_u32_e32 vcc_lo, 1, v0
	ds_load_b32 v129, v131
	v_cndmask_b32_e32 v128, v34, v35, vcc_lo
	v_cmp_eq_u32_e32 vcc_lo, 2, v0
	s_delay_alu instid0(VALU_DEP_2) | instskip(SKIP_1) | instid1(VALU_DEP_2)
	v_cndmask_b32_e32 v128, v128, v36, vcc_lo
	v_cmp_eq_u32_e32 vcc_lo, 3, v0
	v_cndmask_b32_e32 v128, v128, v37, vcc_lo
	v_cmp_eq_u32_e32 vcc_lo, 4, v0
	s_delay_alu instid0(VALU_DEP_2) | instskip(SKIP_1) | instid1(VALU_DEP_2)
	v_cndmask_b32_e32 v128, v128, v38, vcc_lo
	v_cmp_eq_u32_e32 vcc_lo, 5, v0
	;; [unrolled: 5-line block ×14, first 2 shown]
	v_cndmask_b32_e32 v128, v128, v63, vcc_lo
	v_cmp_eq_u32_e32 vcc_lo, 30, v0
	s_delay_alu instid0(VALU_DEP_2) | instskip(SKIP_1) | instid1(VALU_DEP_1)
	v_cndmask_b32_e32 v128, v128, v64, vcc_lo
	s_wait_dscnt 0x0
	v_mul_f32_e32 v132, v128, v129
	s_cbranch_execz .LBB94_21
	s_branch .LBB94_22
.LBB94_20:
                                        ; implicit-def: $vgpr132
.LBB94_21:
	ds_load_b32 v132, v131
.LBB94_22:
	s_and_saveexec_b32 s5, s0
	s_cbranch_execz .LBB94_32
; %bb.23:
	v_subrev_nc_u32_e32 v130, 29, v0
	v_mov_b32_e32 v128, 28
	v_subrev_nc_u32_e32 v129, 28, v0
	s_mov_b32 s0, exec_lo
	s_delay_alu instid0(VALU_DEP_3)
	v_cmpx_lt_u32_e32 6, v130
	s_cbranch_execz .LBB94_27
; %bb.24:
	s_delay_alu instid0(VALU_DEP_2) | instskip(SKIP_3) | instid1(VALU_DEP_1)
	v_and_b32_e32 v128, -8, v129
	s_mov_b32 s6, 0
	s_mov_b64 s[2:3], 35
	s_movk_i32 s7, 0xf0
	v_sub_nc_u32_e32 v130, 0, v128
.LBB94_25:                              ; =>This Inner Loop Header: Depth=1
	s_add_co_i32 m0, s2, -7
	v_movrels_b32_e32 v133, v34
	v_mov_b32_e32 v128, s7
	s_add_co_i32 m0, s2, -6
	s_add_co_i32 s7, s7, 32
	v_movrels_b32_e32 v142, v34
	s_add_co_i32 m0, s2, -5
	ds_load_b128 v[134:137], v128
	ds_load_b128 v[138:141], v128 offset:16
	v_movrels_b32_e32 v128, v34
	s_add_co_i32 m0, s2, -4
	s_wait_dscnt 0x1
	v_fmac_f32_e32 v132, v133, v134
	v_movrels_b32_e32 v133, v34
	s_add_co_i32 m0, s2, -3
	s_delay_alu instid0(VALU_DEP_2) | instskip(NEXT) | instid1(VALU_DEP_1)
	v_fmac_f32_e32 v132, v142, v135
	v_fmac_f32_e32 v132, v128, v136
	v_movrels_b32_e32 v128, v34
	s_add_co_i32 m0, s2, -2
	s_delay_alu instid0(VALU_DEP_2) | instskip(SKIP_3) | instid1(VALU_DEP_2)
	v_fmac_f32_e32 v132, v133, v137
	v_movrels_b32_e32 v133, v34
	s_add_co_i32 m0, s2, -1
	s_wait_dscnt 0x0
	v_fmac_f32_e32 v132, v128, v138
	v_movrels_b32_e32 v128, v34
	s_mov_b32 m0, s2
	s_add_nc_u64 s[2:3], s[2:3], 8
	v_movrels_b32_e32 v134, v34
	v_dual_fmac_f32 v132, v133, v139 :: v_dual_add_nc_u32 v133, s2, v130
	s_add_co_i32 s8, s2, -7
	s_delay_alu instid0(VALU_DEP_1) | instskip(NEXT) | instid1(VALU_DEP_2)
	v_fmac_f32_e32 v132, v128, v140
	v_cmp_eq_u32_e32 vcc_lo, 35, v133
	s_delay_alu instid0(VALU_DEP_2) | instskip(SKIP_1) | instid1(SALU_CYCLE_1)
	v_dual_mov_b32 v128, s8 :: v_dual_fmac_f32 v132, v134, v141
	s_or_b32 s6, vcc_lo, s6
	s_and_not1_b32 exec_lo, exec_lo, s6
	s_cbranch_execnz .LBB94_25
; %bb.26:
	s_or_b32 exec_lo, exec_lo, s6
.LBB94_27:
	s_delay_alu instid0(SALU_CYCLE_1) | instskip(SKIP_3) | instid1(VALU_DEP_1)
	s_or_b32 exec_lo, exec_lo, s0
	v_and_b32_e32 v65, 7, v129
	s_mov_b32 s2, 0
	s_mov_b32 s0, exec_lo
	v_cmpx_ne_u32_e32 0, v65
	s_cbranch_execz .LBB94_31
; %bb.28:
	v_lshl_add_u32 v130, v128, 2, 0x80
	v_mov_b32_e32 v129, 0
.LBB94_29:                              ; =>This Inner Loop Header: Depth=1
	v_cmp_eq_u32_e32 vcc_lo, 1, v128
	ds_load_b32 v134, v130
	v_dual_add_nc_u32 v65, -1, v65 :: v_dual_add_nc_u32 v130, 4, v130
	v_cndmask_b32_e32 v133, v34, v35, vcc_lo
	v_cmp_eq_u32_e32 vcc_lo, 2, v128
	s_delay_alu instid0(VALU_DEP_2) | instskip(SKIP_1) | instid1(VALU_DEP_2)
	v_cndmask_b32_e32 v133, v133, v36, vcc_lo
	v_cmp_eq_u32_e32 vcc_lo, 3, v128
	v_cndmask_b32_e32 v133, v133, v37, vcc_lo
	v_cmp_eq_u32_e32 vcc_lo, 4, v128
	s_delay_alu instid0(VALU_DEP_2) | instskip(SKIP_1) | instid1(VALU_DEP_2)
	v_cndmask_b32_e32 v133, v133, v38, vcc_lo
	v_cmp_eq_u32_e32 vcc_lo, 5, v128
	;; [unrolled: 5-line block ×14, first 2 shown]
	v_cndmask_b32_e32 v133, v133, v63, vcc_lo
	v_cmp_eq_u32_e32 vcc_lo, 30, v128
	v_add_nc_u64_e32 v[128:129], 1, v[128:129]
	s_delay_alu instid0(VALU_DEP_3) | instskip(SKIP_2) | instid1(VALU_DEP_2)
	v_cndmask_b32_e32 v133, v133, v64, vcc_lo
	v_cmp_eq_u32_e32 vcc_lo, 0, v65
	s_wait_dscnt 0x0
	v_fmac_f32_e32 v132, v133, v134
	s_or_b32 s2, vcc_lo, s2
	s_delay_alu instid0(SALU_CYCLE_1)
	s_and_not1_b32 exec_lo, exec_lo, s2
	s_cbranch_execnz .LBB94_29
; %bb.30:
	s_or_b32 exec_lo, exec_lo, s2
.LBB94_31:
	s_delay_alu instid0(SALU_CYCLE_1)
	s_or_b32 exec_lo, exec_lo, s0
.LBB94_32:
	s_delay_alu instid0(SALU_CYCLE_1)
	s_or_b32 exec_lo, exec_lo, s5
	v_mov_b32_e32 v61, 0
	ds_load_b32 v61, v61 offset:108
	s_wait_dscnt 0x0
	v_mul_f32_e32 v61, v132, v61
.LBB94_33:
	s_or_b32 exec_lo, exec_lo, s4
	v_cmp_lt_u32_e64 s0, 26, v0
	ds_store_b32 v131, v60
	s_wait_dscnt 0x0
	s_barrier_signal -1
	s_barrier_wait -1
	s_and_saveexec_b32 s4, s0
	s_cbranch_execz .LBB94_49
; %bb.34:
	s_and_not1_b32 vcc_lo, exec_lo, s31
	s_cbranch_vccnz .LBB94_36
; %bb.35:
	v_cmp_eq_u32_e32 vcc_lo, 1, v0
	ds_load_b32 v129, v131
	v_cndmask_b32_e32 v128, v34, v35, vcc_lo
	v_cmp_eq_u32_e32 vcc_lo, 2, v0
	s_delay_alu instid0(VALU_DEP_2) | instskip(SKIP_1) | instid1(VALU_DEP_2)
	v_cndmask_b32_e32 v128, v128, v36, vcc_lo
	v_cmp_eq_u32_e32 vcc_lo, 3, v0
	v_cndmask_b32_e32 v128, v128, v37, vcc_lo
	v_cmp_eq_u32_e32 vcc_lo, 4, v0
	s_delay_alu instid0(VALU_DEP_2) | instskip(SKIP_1) | instid1(VALU_DEP_2)
	v_cndmask_b32_e32 v128, v128, v38, vcc_lo
	v_cmp_eq_u32_e32 vcc_lo, 5, v0
	;; [unrolled: 5-line block ×14, first 2 shown]
	v_cndmask_b32_e32 v128, v128, v63, vcc_lo
	v_cmp_eq_u32_e32 vcc_lo, 30, v0
	s_delay_alu instid0(VALU_DEP_2) | instskip(SKIP_1) | instid1(VALU_DEP_1)
	v_cndmask_b32_e32 v128, v128, v64, vcc_lo
	s_wait_dscnt 0x0
	v_mul_f32_e32 v132, v128, v129
	s_cbranch_execz .LBB94_37
	s_branch .LBB94_38
.LBB94_36:
                                        ; implicit-def: $vgpr132
.LBB94_37:
	ds_load_b32 v132, v131
.LBB94_38:
	s_and_saveexec_b32 s5, s1
	s_cbranch_execz .LBB94_48
; %bb.39:
	v_subrev_nc_u32_e32 v130, 28, v0
	v_mov_b32_e32 v128, 27
	v_subrev_nc_u32_e32 v129, 27, v0
	s_mov_b32 s1, exec_lo
	s_delay_alu instid0(VALU_DEP_3)
	v_cmpx_lt_u32_e32 6, v130
	s_cbranch_execz .LBB94_43
; %bb.40:
	s_delay_alu instid0(VALU_DEP_2) | instskip(SKIP_3) | instid1(VALU_DEP_1)
	v_and_b32_e32 v128, -8, v129
	s_mov_b32 s6, 0
	s_mov_b64 s[2:3], 34
	s_movk_i32 s7, 0xec
	v_sub_nc_u32_e32 v130, 0, v128
.LBB94_41:                              ; =>This Inner Loop Header: Depth=1
	s_add_co_i32 m0, s2, -7
	v_movrels_b32_e32 v133, v34
	v_mov_b32_e32 v128, s7
	s_add_co_i32 m0, s2, -6
	s_add_co_i32 s7, s7, 32
	v_movrels_b32_e32 v142, v34
	ds_load_2addr_b32 v[134:135], v128 offset1:1
	ds_load_2addr_b32 v[136:137], v128 offset0:2 offset1:3
	s_add_co_i32 m0, s2, -5
	s_wait_dscnt 0x1
	v_fmac_f32_e32 v132, v133, v134
	ds_load_2addr_b32 v[138:139], v128 offset0:4 offset1:5
	ds_load_2addr_b32 v[140:141], v128 offset0:6 offset1:7
	v_movrels_b32_e32 v128, v34
	s_add_co_i32 m0, s2, -4
	v_fmac_f32_e32 v132, v142, v135
	v_movrels_b32_e32 v133, v34
	s_add_co_i32 m0, s2, -3
	s_wait_dscnt 0x2
	s_delay_alu instid0(VALU_DEP_2) | instskip(SKIP_2) | instid1(VALU_DEP_2)
	v_fmac_f32_e32 v132, v128, v136
	v_movrels_b32_e32 v128, v34
	s_add_co_i32 m0, s2, -2
	v_fmac_f32_e32 v132, v133, v137
	v_movrels_b32_e32 v133, v34
	s_add_co_i32 m0, s2, -1
	s_wait_dscnt 0x1
	s_delay_alu instid0(VALU_DEP_2)
	v_fmac_f32_e32 v132, v128, v138
	v_movrels_b32_e32 v128, v34
	s_mov_b32 m0, s2
	s_add_nc_u64 s[2:3], s[2:3], 8
	v_movrels_b32_e32 v134, v34
	v_dual_fmac_f32 v132, v133, v139 :: v_dual_add_nc_u32 v133, s2, v130
	s_add_co_i32 s8, s2, -7
	s_wait_dscnt 0x0
	s_delay_alu instid0(VALU_DEP_1) | instskip(NEXT) | instid1(VALU_DEP_2)
	v_fmac_f32_e32 v132, v128, v140
	v_cmp_eq_u32_e32 vcc_lo, 34, v133
	s_delay_alu instid0(VALU_DEP_2) | instskip(SKIP_1) | instid1(SALU_CYCLE_1)
	v_dual_mov_b32 v128, s8 :: v_dual_fmac_f32 v132, v134, v141
	s_or_b32 s6, vcc_lo, s6
	s_and_not1_b32 exec_lo, exec_lo, s6
	s_cbranch_execnz .LBB94_41
; %bb.42:
	s_or_b32 exec_lo, exec_lo, s6
.LBB94_43:
	s_delay_alu instid0(SALU_CYCLE_1) | instskip(SKIP_3) | instid1(VALU_DEP_1)
	s_or_b32 exec_lo, exec_lo, s1
	v_and_b32_e32 v65, 7, v129
	s_mov_b32 s2, 0
	s_mov_b32 s1, exec_lo
	v_cmpx_ne_u32_e32 0, v65
	s_cbranch_execz .LBB94_47
; %bb.44:
	v_lshl_add_u32 v130, v128, 2, 0x80
	v_mov_b32_e32 v129, 0
.LBB94_45:                              ; =>This Inner Loop Header: Depth=1
	v_cmp_eq_u32_e32 vcc_lo, 1, v128
	ds_load_b32 v134, v130
	v_dual_add_nc_u32 v65, -1, v65 :: v_dual_add_nc_u32 v130, 4, v130
	v_cndmask_b32_e32 v133, v34, v35, vcc_lo
	v_cmp_eq_u32_e32 vcc_lo, 2, v128
	s_delay_alu instid0(VALU_DEP_2) | instskip(SKIP_1) | instid1(VALU_DEP_2)
	v_cndmask_b32_e32 v133, v133, v36, vcc_lo
	v_cmp_eq_u32_e32 vcc_lo, 3, v128
	v_cndmask_b32_e32 v133, v133, v37, vcc_lo
	v_cmp_eq_u32_e32 vcc_lo, 4, v128
	s_delay_alu instid0(VALU_DEP_2) | instskip(SKIP_1) | instid1(VALU_DEP_2)
	v_cndmask_b32_e32 v133, v133, v38, vcc_lo
	v_cmp_eq_u32_e32 vcc_lo, 5, v128
	v_cndmask_b32_e32 v133, v133, v39, vcc_lo
	v_cmp_eq_u32_e32 vcc_lo, 6, v128
	s_delay_alu instid0(VALU_DEP_2) | instskip(SKIP_1) | instid1(VALU_DEP_2)
	v_cndmask_b32_e32 v133, v133, v40, vcc_lo
	v_cmp_eq_u32_e32 vcc_lo, 7, v128
	v_cndmask_b32_e32 v133, v133, v41, vcc_lo
	v_cmp_eq_u32_e32 vcc_lo, 8, v128
	s_delay_alu instid0(VALU_DEP_2) | instskip(SKIP_1) | instid1(VALU_DEP_2)
	v_cndmask_b32_e32 v133, v133, v42, vcc_lo
	v_cmp_eq_u32_e32 vcc_lo, 9, v128
	v_cndmask_b32_e32 v133, v133, v43, vcc_lo
	v_cmp_eq_u32_e32 vcc_lo, 10, v128
	s_delay_alu instid0(VALU_DEP_2) | instskip(SKIP_1) | instid1(VALU_DEP_2)
	v_cndmask_b32_e32 v133, v133, v44, vcc_lo
	v_cmp_eq_u32_e32 vcc_lo, 11, v128
	v_cndmask_b32_e32 v133, v133, v45, vcc_lo
	v_cmp_eq_u32_e32 vcc_lo, 12, v128
	s_delay_alu instid0(VALU_DEP_2) | instskip(SKIP_1) | instid1(VALU_DEP_2)
	v_cndmask_b32_e32 v133, v133, v46, vcc_lo
	v_cmp_eq_u32_e32 vcc_lo, 13, v128
	v_cndmask_b32_e32 v133, v133, v47, vcc_lo
	v_cmp_eq_u32_e32 vcc_lo, 14, v128
	s_delay_alu instid0(VALU_DEP_2) | instskip(SKIP_1) | instid1(VALU_DEP_2)
	v_cndmask_b32_e32 v133, v133, v48, vcc_lo
	v_cmp_eq_u32_e32 vcc_lo, 15, v128
	v_cndmask_b32_e32 v133, v133, v49, vcc_lo
	v_cmp_eq_u32_e32 vcc_lo, 16, v128
	s_delay_alu instid0(VALU_DEP_2) | instskip(SKIP_1) | instid1(VALU_DEP_2)
	v_cndmask_b32_e32 v133, v133, v50, vcc_lo
	v_cmp_eq_u32_e32 vcc_lo, 17, v128
	v_cndmask_b32_e32 v133, v133, v51, vcc_lo
	v_cmp_eq_u32_e32 vcc_lo, 18, v128
	s_delay_alu instid0(VALU_DEP_2) | instskip(SKIP_1) | instid1(VALU_DEP_2)
	v_cndmask_b32_e32 v133, v133, v52, vcc_lo
	v_cmp_eq_u32_e32 vcc_lo, 19, v128
	v_cndmask_b32_e32 v133, v133, v53, vcc_lo
	v_cmp_eq_u32_e32 vcc_lo, 20, v128
	s_delay_alu instid0(VALU_DEP_2) | instskip(SKIP_1) | instid1(VALU_DEP_2)
	v_cndmask_b32_e32 v133, v133, v54, vcc_lo
	v_cmp_eq_u32_e32 vcc_lo, 21, v128
	v_cndmask_b32_e32 v133, v133, v55, vcc_lo
	v_cmp_eq_u32_e32 vcc_lo, 22, v128
	s_delay_alu instid0(VALU_DEP_2) | instskip(SKIP_1) | instid1(VALU_DEP_2)
	v_cndmask_b32_e32 v133, v133, v56, vcc_lo
	v_cmp_eq_u32_e32 vcc_lo, 23, v128
	v_cndmask_b32_e32 v133, v133, v57, vcc_lo
	v_cmp_eq_u32_e32 vcc_lo, 24, v128
	s_delay_alu instid0(VALU_DEP_2) | instskip(SKIP_1) | instid1(VALU_DEP_2)
	v_cndmask_b32_e32 v133, v133, v58, vcc_lo
	v_cmp_eq_u32_e32 vcc_lo, 25, v128
	v_cndmask_b32_e32 v133, v133, v59, vcc_lo
	v_cmp_eq_u32_e32 vcc_lo, 26, v128
	s_delay_alu instid0(VALU_DEP_2) | instskip(SKIP_1) | instid1(VALU_DEP_2)
	v_cndmask_b32_e32 v133, v133, v60, vcc_lo
	v_cmp_eq_u32_e32 vcc_lo, 27, v128
	v_cndmask_b32_e32 v133, v133, v61, vcc_lo
	v_cmp_eq_u32_e32 vcc_lo, 28, v128
	s_delay_alu instid0(VALU_DEP_2) | instskip(SKIP_1) | instid1(VALU_DEP_2)
	v_cndmask_b32_e32 v133, v133, v62, vcc_lo
	v_cmp_eq_u32_e32 vcc_lo, 29, v128
	v_cndmask_b32_e32 v133, v133, v63, vcc_lo
	v_cmp_eq_u32_e32 vcc_lo, 30, v128
	v_add_nc_u64_e32 v[128:129], 1, v[128:129]
	s_delay_alu instid0(VALU_DEP_3) | instskip(SKIP_2) | instid1(VALU_DEP_2)
	v_cndmask_b32_e32 v133, v133, v64, vcc_lo
	v_cmp_eq_u32_e32 vcc_lo, 0, v65
	s_wait_dscnt 0x0
	v_fmac_f32_e32 v132, v133, v134
	s_or_b32 s2, vcc_lo, s2
	s_delay_alu instid0(SALU_CYCLE_1)
	s_and_not1_b32 exec_lo, exec_lo, s2
	s_cbranch_execnz .LBB94_45
; %bb.46:
	s_or_b32 exec_lo, exec_lo, s2
.LBB94_47:
	s_delay_alu instid0(SALU_CYCLE_1)
	s_or_b32 exec_lo, exec_lo, s1
.LBB94_48:
	s_delay_alu instid0(SALU_CYCLE_1)
	s_or_b32 exec_lo, exec_lo, s5
	v_mov_b32_e32 v60, 0
	ds_load_b32 v60, v60 offset:104
	s_wait_dscnt 0x0
	v_mul_f32_e32 v60, v132, v60
.LBB94_49:
	s_or_b32 exec_lo, exec_lo, s4
	v_cmp_lt_u32_e64 s1, 25, v0
	ds_store_b32 v131, v59
	s_wait_dscnt 0x0
	s_barrier_signal -1
	s_barrier_wait -1
	s_and_saveexec_b32 s4, s1
	s_cbranch_execz .LBB94_65
; %bb.50:
	s_and_not1_b32 vcc_lo, exec_lo, s31
	s_cbranch_vccnz .LBB94_52
; %bb.51:
	v_cmp_eq_u32_e32 vcc_lo, 1, v0
	ds_load_b32 v129, v131
	v_cndmask_b32_e32 v128, v34, v35, vcc_lo
	v_cmp_eq_u32_e32 vcc_lo, 2, v0
	s_delay_alu instid0(VALU_DEP_2) | instskip(SKIP_1) | instid1(VALU_DEP_2)
	v_cndmask_b32_e32 v128, v128, v36, vcc_lo
	v_cmp_eq_u32_e32 vcc_lo, 3, v0
	v_cndmask_b32_e32 v128, v128, v37, vcc_lo
	v_cmp_eq_u32_e32 vcc_lo, 4, v0
	s_delay_alu instid0(VALU_DEP_2) | instskip(SKIP_1) | instid1(VALU_DEP_2)
	v_cndmask_b32_e32 v128, v128, v38, vcc_lo
	v_cmp_eq_u32_e32 vcc_lo, 5, v0
	;; [unrolled: 5-line block ×14, first 2 shown]
	v_cndmask_b32_e32 v128, v128, v63, vcc_lo
	v_cmp_eq_u32_e32 vcc_lo, 30, v0
	s_delay_alu instid0(VALU_DEP_2) | instskip(SKIP_1) | instid1(VALU_DEP_1)
	v_cndmask_b32_e32 v128, v128, v64, vcc_lo
	s_wait_dscnt 0x0
	v_mul_f32_e32 v132, v128, v129
	s_cbranch_execz .LBB94_53
	s_branch .LBB94_54
.LBB94_52:
                                        ; implicit-def: $vgpr132
.LBB94_53:
	ds_load_b32 v132, v131
.LBB94_54:
	s_and_saveexec_b32 s5, s0
	s_cbranch_execz .LBB94_64
; %bb.55:
	v_subrev_nc_u32_e32 v130, 27, v0
	v_mov_b32_e32 v128, 26
	v_subrev_nc_u32_e32 v129, 26, v0
	s_mov_b32 s0, exec_lo
	s_delay_alu instid0(VALU_DEP_3)
	v_cmpx_lt_u32_e32 6, v130
	s_cbranch_execz .LBB94_59
; %bb.56:
	s_delay_alu instid0(VALU_DEP_2) | instskip(SKIP_3) | instid1(VALU_DEP_1)
	v_and_b32_e32 v128, -8, v129
	s_mov_b32 s6, 0
	s_mov_b64 s[2:3], 33
	s_movk_i32 s7, 0xe8
	v_sub_nc_u32_e32 v130, 0, v128
.LBB94_57:                              ; =>This Inner Loop Header: Depth=1
	s_add_co_i32 m0, s2, -7
	v_movrels_b32_e32 v133, v34
	v_mov_b32_e32 v128, s7
	s_add_co_i32 m0, s2, -6
	s_add_co_i32 s7, s7, 32
	v_movrels_b32_e32 v142, v34
	s_add_co_i32 m0, s2, -5
	ds_load_2addr_b64 v[134:137], v128 offset1:1
	ds_load_2addr_b64 v[138:141], v128 offset0:2 offset1:3
	v_movrels_b32_e32 v128, v34
	s_add_co_i32 m0, s2, -4
	s_wait_dscnt 0x1
	v_fmac_f32_e32 v132, v133, v134
	v_movrels_b32_e32 v133, v34
	s_add_co_i32 m0, s2, -3
	s_delay_alu instid0(VALU_DEP_2) | instskip(NEXT) | instid1(VALU_DEP_1)
	v_fmac_f32_e32 v132, v142, v135
	v_fmac_f32_e32 v132, v128, v136
	v_movrels_b32_e32 v128, v34
	s_add_co_i32 m0, s2, -2
	s_delay_alu instid0(VALU_DEP_2) | instskip(SKIP_3) | instid1(VALU_DEP_2)
	v_fmac_f32_e32 v132, v133, v137
	v_movrels_b32_e32 v133, v34
	s_add_co_i32 m0, s2, -1
	s_wait_dscnt 0x0
	v_fmac_f32_e32 v132, v128, v138
	v_movrels_b32_e32 v128, v34
	s_mov_b32 m0, s2
	s_add_nc_u64 s[2:3], s[2:3], 8
	v_movrels_b32_e32 v134, v34
	v_dual_fmac_f32 v132, v133, v139 :: v_dual_add_nc_u32 v133, s2, v130
	s_add_co_i32 s8, s2, -7
	s_delay_alu instid0(VALU_DEP_1) | instskip(NEXT) | instid1(VALU_DEP_2)
	v_fmac_f32_e32 v132, v128, v140
	v_cmp_eq_u32_e32 vcc_lo, 33, v133
	s_delay_alu instid0(VALU_DEP_2) | instskip(SKIP_1) | instid1(SALU_CYCLE_1)
	v_dual_mov_b32 v128, s8 :: v_dual_fmac_f32 v132, v134, v141
	s_or_b32 s6, vcc_lo, s6
	s_and_not1_b32 exec_lo, exec_lo, s6
	s_cbranch_execnz .LBB94_57
; %bb.58:
	s_or_b32 exec_lo, exec_lo, s6
.LBB94_59:
	s_delay_alu instid0(SALU_CYCLE_1) | instskip(SKIP_3) | instid1(VALU_DEP_1)
	s_or_b32 exec_lo, exec_lo, s0
	v_and_b32_e32 v65, 7, v129
	s_mov_b32 s2, 0
	s_mov_b32 s0, exec_lo
	v_cmpx_ne_u32_e32 0, v65
	s_cbranch_execz .LBB94_63
; %bb.60:
	v_lshl_add_u32 v130, v128, 2, 0x80
	v_mov_b32_e32 v129, 0
.LBB94_61:                              ; =>This Inner Loop Header: Depth=1
	v_cmp_eq_u32_e32 vcc_lo, 1, v128
	ds_load_b32 v134, v130
	v_dual_add_nc_u32 v65, -1, v65 :: v_dual_add_nc_u32 v130, 4, v130
	v_cndmask_b32_e32 v133, v34, v35, vcc_lo
	v_cmp_eq_u32_e32 vcc_lo, 2, v128
	s_delay_alu instid0(VALU_DEP_2) | instskip(SKIP_1) | instid1(VALU_DEP_2)
	v_cndmask_b32_e32 v133, v133, v36, vcc_lo
	v_cmp_eq_u32_e32 vcc_lo, 3, v128
	v_cndmask_b32_e32 v133, v133, v37, vcc_lo
	v_cmp_eq_u32_e32 vcc_lo, 4, v128
	s_delay_alu instid0(VALU_DEP_2) | instskip(SKIP_1) | instid1(VALU_DEP_2)
	v_cndmask_b32_e32 v133, v133, v38, vcc_lo
	v_cmp_eq_u32_e32 vcc_lo, 5, v128
	;; [unrolled: 5-line block ×14, first 2 shown]
	v_cndmask_b32_e32 v133, v133, v63, vcc_lo
	v_cmp_eq_u32_e32 vcc_lo, 30, v128
	v_add_nc_u64_e32 v[128:129], 1, v[128:129]
	s_delay_alu instid0(VALU_DEP_3) | instskip(SKIP_2) | instid1(VALU_DEP_2)
	v_cndmask_b32_e32 v133, v133, v64, vcc_lo
	v_cmp_eq_u32_e32 vcc_lo, 0, v65
	s_wait_dscnt 0x0
	v_fmac_f32_e32 v132, v133, v134
	s_or_b32 s2, vcc_lo, s2
	s_delay_alu instid0(SALU_CYCLE_1)
	s_and_not1_b32 exec_lo, exec_lo, s2
	s_cbranch_execnz .LBB94_61
; %bb.62:
	s_or_b32 exec_lo, exec_lo, s2
.LBB94_63:
	s_delay_alu instid0(SALU_CYCLE_1)
	s_or_b32 exec_lo, exec_lo, s0
.LBB94_64:
	s_delay_alu instid0(SALU_CYCLE_1)
	s_or_b32 exec_lo, exec_lo, s5
	v_mov_b32_e32 v59, 0
	ds_load_b32 v59, v59 offset:100
	s_wait_dscnt 0x0
	v_mul_f32_e32 v59, v132, v59
.LBB94_65:
	s_or_b32 exec_lo, exec_lo, s4
	v_cmp_lt_u32_e64 s0, 24, v0
	ds_store_b32 v131, v58
	s_wait_dscnt 0x0
	s_barrier_signal -1
	s_barrier_wait -1
	s_and_saveexec_b32 s4, s0
	s_cbranch_execz .LBB94_81
; %bb.66:
	s_and_not1_b32 vcc_lo, exec_lo, s31
	s_cbranch_vccnz .LBB94_68
; %bb.67:
	v_cmp_eq_u32_e32 vcc_lo, 1, v0
	ds_load_b32 v129, v131
	v_cndmask_b32_e32 v128, v34, v35, vcc_lo
	v_cmp_eq_u32_e32 vcc_lo, 2, v0
	s_delay_alu instid0(VALU_DEP_2) | instskip(SKIP_1) | instid1(VALU_DEP_2)
	v_cndmask_b32_e32 v128, v128, v36, vcc_lo
	v_cmp_eq_u32_e32 vcc_lo, 3, v0
	v_cndmask_b32_e32 v128, v128, v37, vcc_lo
	v_cmp_eq_u32_e32 vcc_lo, 4, v0
	s_delay_alu instid0(VALU_DEP_2) | instskip(SKIP_1) | instid1(VALU_DEP_2)
	v_cndmask_b32_e32 v128, v128, v38, vcc_lo
	v_cmp_eq_u32_e32 vcc_lo, 5, v0
	;; [unrolled: 5-line block ×14, first 2 shown]
	v_cndmask_b32_e32 v128, v128, v63, vcc_lo
	v_cmp_eq_u32_e32 vcc_lo, 30, v0
	s_delay_alu instid0(VALU_DEP_2) | instskip(SKIP_1) | instid1(VALU_DEP_1)
	v_cndmask_b32_e32 v128, v128, v64, vcc_lo
	s_wait_dscnt 0x0
	v_mul_f32_e32 v132, v128, v129
	s_cbranch_execz .LBB94_69
	s_branch .LBB94_70
.LBB94_68:
                                        ; implicit-def: $vgpr132
.LBB94_69:
	ds_load_b32 v132, v131
.LBB94_70:
	s_and_saveexec_b32 s5, s1
	s_cbranch_execz .LBB94_80
; %bb.71:
	v_subrev_nc_u32_e32 v130, 26, v0
	v_mov_b32_e32 v128, 25
	v_subrev_nc_u32_e32 v129, 25, v0
	s_mov_b32 s1, exec_lo
	s_delay_alu instid0(VALU_DEP_3)
	v_cmpx_lt_u32_e32 6, v130
	s_cbranch_execz .LBB94_75
; %bb.72:
	s_delay_alu instid0(VALU_DEP_2) | instskip(SKIP_3) | instid1(VALU_DEP_1)
	v_and_b32_e32 v128, -8, v129
	s_mov_b32 s6, 0
	s_mov_b64 s[2:3], 32
	s_movk_i32 s7, 0xe4
	v_sub_nc_u32_e32 v130, 0, v128
.LBB94_73:                              ; =>This Inner Loop Header: Depth=1
	s_add_co_i32 m0, s2, -7
	v_movrels_b32_e32 v133, v34
	v_mov_b32_e32 v128, s7
	s_add_co_i32 m0, s2, -6
	s_add_co_i32 s7, s7, 32
	v_movrels_b32_e32 v142, v34
	ds_load_2addr_b32 v[134:135], v128 offset1:1
	ds_load_2addr_b32 v[136:137], v128 offset0:2 offset1:3
	s_add_co_i32 m0, s2, -5
	s_wait_dscnt 0x1
	v_fmac_f32_e32 v132, v133, v134
	ds_load_2addr_b32 v[138:139], v128 offset0:4 offset1:5
	ds_load_2addr_b32 v[140:141], v128 offset0:6 offset1:7
	v_movrels_b32_e32 v128, v34
	s_add_co_i32 m0, s2, -4
	v_fmac_f32_e32 v132, v142, v135
	v_movrels_b32_e32 v133, v34
	s_add_co_i32 m0, s2, -3
	s_wait_dscnt 0x2
	s_delay_alu instid0(VALU_DEP_2) | instskip(SKIP_2) | instid1(VALU_DEP_2)
	v_fmac_f32_e32 v132, v128, v136
	v_movrels_b32_e32 v128, v34
	s_add_co_i32 m0, s2, -2
	v_fmac_f32_e32 v132, v133, v137
	v_movrels_b32_e32 v133, v34
	s_add_co_i32 m0, s2, -1
	s_wait_dscnt 0x1
	s_delay_alu instid0(VALU_DEP_2)
	v_fmac_f32_e32 v132, v128, v138
	v_movrels_b32_e32 v128, v34
	s_mov_b32 m0, s2
	s_add_nc_u64 s[2:3], s[2:3], 8
	v_movrels_b32_e32 v134, v34
	v_dual_fmac_f32 v132, v133, v139 :: v_dual_add_nc_u32 v133, s2, v130
	s_add_co_i32 s8, s2, -7
	s_wait_dscnt 0x0
	s_delay_alu instid0(VALU_DEP_1) | instskip(NEXT) | instid1(VALU_DEP_2)
	v_fmac_f32_e32 v132, v128, v140
	v_cmp_eq_u32_e32 vcc_lo, 32, v133
	s_delay_alu instid0(VALU_DEP_2) | instskip(SKIP_1) | instid1(SALU_CYCLE_1)
	v_dual_mov_b32 v128, s8 :: v_dual_fmac_f32 v132, v134, v141
	s_or_b32 s6, vcc_lo, s6
	s_and_not1_b32 exec_lo, exec_lo, s6
	s_cbranch_execnz .LBB94_73
; %bb.74:
	s_or_b32 exec_lo, exec_lo, s6
.LBB94_75:
	s_delay_alu instid0(SALU_CYCLE_1) | instskip(SKIP_3) | instid1(VALU_DEP_1)
	s_or_b32 exec_lo, exec_lo, s1
	v_and_b32_e32 v65, 7, v129
	s_mov_b32 s2, 0
	s_mov_b32 s1, exec_lo
	v_cmpx_ne_u32_e32 0, v65
	s_cbranch_execz .LBB94_79
; %bb.76:
	v_lshl_add_u32 v130, v128, 2, 0x80
	v_mov_b32_e32 v129, 0
.LBB94_77:                              ; =>This Inner Loop Header: Depth=1
	v_cmp_eq_u32_e32 vcc_lo, 1, v128
	ds_load_b32 v134, v130
	v_dual_add_nc_u32 v65, -1, v65 :: v_dual_add_nc_u32 v130, 4, v130
	v_cndmask_b32_e32 v133, v34, v35, vcc_lo
	v_cmp_eq_u32_e32 vcc_lo, 2, v128
	s_delay_alu instid0(VALU_DEP_2) | instskip(SKIP_1) | instid1(VALU_DEP_2)
	v_cndmask_b32_e32 v133, v133, v36, vcc_lo
	v_cmp_eq_u32_e32 vcc_lo, 3, v128
	v_cndmask_b32_e32 v133, v133, v37, vcc_lo
	v_cmp_eq_u32_e32 vcc_lo, 4, v128
	s_delay_alu instid0(VALU_DEP_2) | instskip(SKIP_1) | instid1(VALU_DEP_2)
	v_cndmask_b32_e32 v133, v133, v38, vcc_lo
	v_cmp_eq_u32_e32 vcc_lo, 5, v128
	;; [unrolled: 5-line block ×14, first 2 shown]
	v_cndmask_b32_e32 v133, v133, v63, vcc_lo
	v_cmp_eq_u32_e32 vcc_lo, 30, v128
	v_add_nc_u64_e32 v[128:129], 1, v[128:129]
	s_delay_alu instid0(VALU_DEP_3) | instskip(SKIP_2) | instid1(VALU_DEP_2)
	v_cndmask_b32_e32 v133, v133, v64, vcc_lo
	v_cmp_eq_u32_e32 vcc_lo, 0, v65
	s_wait_dscnt 0x0
	v_fmac_f32_e32 v132, v133, v134
	s_or_b32 s2, vcc_lo, s2
	s_delay_alu instid0(SALU_CYCLE_1)
	s_and_not1_b32 exec_lo, exec_lo, s2
	s_cbranch_execnz .LBB94_77
; %bb.78:
	s_or_b32 exec_lo, exec_lo, s2
.LBB94_79:
	s_delay_alu instid0(SALU_CYCLE_1)
	s_or_b32 exec_lo, exec_lo, s1
.LBB94_80:
	s_delay_alu instid0(SALU_CYCLE_1)
	s_or_b32 exec_lo, exec_lo, s5
	v_mov_b32_e32 v58, 0
	ds_load_b32 v58, v58 offset:96
	s_wait_dscnt 0x0
	v_mul_f32_e32 v58, v132, v58
.LBB94_81:
	s_or_b32 exec_lo, exec_lo, s4
	v_cmp_lt_u32_e64 s1, 23, v0
	ds_store_b32 v131, v57
	s_wait_dscnt 0x0
	s_barrier_signal -1
	s_barrier_wait -1
	s_and_saveexec_b32 s4, s1
	s_cbranch_execz .LBB94_97
; %bb.82:
	s_and_not1_b32 vcc_lo, exec_lo, s31
	s_cbranch_vccnz .LBB94_84
; %bb.83:
	v_cmp_eq_u32_e32 vcc_lo, 1, v0
	ds_load_b32 v129, v131
	v_cndmask_b32_e32 v128, v34, v35, vcc_lo
	v_cmp_eq_u32_e32 vcc_lo, 2, v0
	s_delay_alu instid0(VALU_DEP_2) | instskip(SKIP_1) | instid1(VALU_DEP_2)
	v_cndmask_b32_e32 v128, v128, v36, vcc_lo
	v_cmp_eq_u32_e32 vcc_lo, 3, v0
	v_cndmask_b32_e32 v128, v128, v37, vcc_lo
	v_cmp_eq_u32_e32 vcc_lo, 4, v0
	s_delay_alu instid0(VALU_DEP_2) | instskip(SKIP_1) | instid1(VALU_DEP_2)
	v_cndmask_b32_e32 v128, v128, v38, vcc_lo
	v_cmp_eq_u32_e32 vcc_lo, 5, v0
	;; [unrolled: 5-line block ×14, first 2 shown]
	v_cndmask_b32_e32 v128, v128, v63, vcc_lo
	v_cmp_eq_u32_e32 vcc_lo, 30, v0
	s_delay_alu instid0(VALU_DEP_2) | instskip(SKIP_1) | instid1(VALU_DEP_1)
	v_cndmask_b32_e32 v128, v128, v64, vcc_lo
	s_wait_dscnt 0x0
	v_mul_f32_e32 v132, v128, v129
	s_cbranch_execz .LBB94_85
	s_branch .LBB94_86
.LBB94_84:
                                        ; implicit-def: $vgpr132
.LBB94_85:
	ds_load_b32 v132, v131
.LBB94_86:
	s_and_saveexec_b32 s5, s0
	s_cbranch_execz .LBB94_96
; %bb.87:
	v_subrev_nc_u32_e32 v128, 25, v0
	s_delay_alu instid0(VALU_DEP_1)
	v_cmp_lt_u32_e32 vcc_lo, 6, v128
	v_mov_b32_e32 v128, 24
	s_and_saveexec_b32 s0, vcc_lo
	s_cbranch_execz .LBB94_91
; %bb.88:
	v_and_b32_e32 v128, 24, v0
	s_mov_b32 s6, 0
	s_mov_b64 s[2:3], 31
	s_movk_i32 s7, 0xe0
	s_delay_alu instid0(VALU_DEP_1)
	v_sub_nc_u32_e32 v130, 0, v128
.LBB94_89:                              ; =>This Inner Loop Header: Depth=1
	s_add_co_i32 m0, s2, -7
	v_movrels_b32_e32 v129, v34
	v_mov_b32_e32 v128, s7
	s_add_co_i32 m0, s2, -6
	s_add_co_i32 s7, s7, 32
	v_movrels_b32_e32 v133, v34
	s_add_co_i32 m0, s2, -5
	ds_load_b128 v[134:137], v128
	ds_load_b128 v[138:141], v128 offset:16
	v_movrels_b32_e32 v128, v34
	s_add_co_i32 m0, s2, -4
	s_wait_dscnt 0x1
	v_fmac_f32_e32 v132, v129, v134
	v_movrels_b32_e32 v129, v34
	s_add_co_i32 m0, s2, -3
	s_delay_alu instid0(VALU_DEP_2) | instskip(NEXT) | instid1(VALU_DEP_1)
	v_fmac_f32_e32 v132, v133, v135
	v_fmac_f32_e32 v132, v128, v136
	v_movrels_b32_e32 v128, v34
	s_add_co_i32 m0, s2, -2
	s_delay_alu instid0(VALU_DEP_2) | instskip(SKIP_3) | instid1(VALU_DEP_2)
	v_fmac_f32_e32 v132, v129, v137
	v_movrels_b32_e32 v129, v34
	s_add_co_i32 m0, s2, -1
	s_wait_dscnt 0x0
	v_fmac_f32_e32 v132, v128, v138
	v_movrels_b32_e32 v128, v34
	s_mov_b32 m0, s2
	s_add_nc_u64 s[2:3], s[2:3], 8
	v_movrels_b32_e32 v133, v34
	v_dual_fmac_f32 v132, v129, v139 :: v_dual_add_nc_u32 v129, s2, v130
	s_add_co_i32 s8, s2, -7
	s_delay_alu instid0(VALU_DEP_1) | instskip(NEXT) | instid1(VALU_DEP_2)
	v_fmac_f32_e32 v132, v128, v140
	v_cmp_eq_u32_e32 vcc_lo, 7, v129
	s_delay_alu instid0(VALU_DEP_2) | instskip(SKIP_1) | instid1(SALU_CYCLE_1)
	v_dual_mov_b32 v128, s8 :: v_dual_fmac_f32 v132, v133, v141
	s_or_b32 s6, vcc_lo, s6
	s_and_not1_b32 exec_lo, exec_lo, s6
	s_cbranch_execnz .LBB94_89
; %bb.90:
	s_or_b32 exec_lo, exec_lo, s6
.LBB94_91:
	s_delay_alu instid0(SALU_CYCLE_1) | instskip(SKIP_3) | instid1(VALU_DEP_1)
	s_or_b32 exec_lo, exec_lo, s0
	v_and_b32_e32 v65, 7, v0
	s_mov_b32 s2, 0
	s_mov_b32 s0, exec_lo
	v_cmpx_ne_u32_e32 0, v65
	s_cbranch_execz .LBB94_95
; %bb.92:
	v_lshl_add_u32 v130, v128, 2, 0x80
	v_mov_b32_e32 v129, 0
.LBB94_93:                              ; =>This Inner Loop Header: Depth=1
	v_cmp_eq_u32_e32 vcc_lo, 1, v128
	ds_load_b32 v134, v130
	v_dual_add_nc_u32 v65, -1, v65 :: v_dual_add_nc_u32 v130, 4, v130
	v_cndmask_b32_e32 v133, v34, v35, vcc_lo
	v_cmp_eq_u32_e32 vcc_lo, 2, v128
	s_delay_alu instid0(VALU_DEP_2) | instskip(SKIP_1) | instid1(VALU_DEP_2)
	v_cndmask_b32_e32 v133, v133, v36, vcc_lo
	v_cmp_eq_u32_e32 vcc_lo, 3, v128
	v_cndmask_b32_e32 v133, v133, v37, vcc_lo
	v_cmp_eq_u32_e32 vcc_lo, 4, v128
	s_delay_alu instid0(VALU_DEP_2) | instskip(SKIP_1) | instid1(VALU_DEP_2)
	v_cndmask_b32_e32 v133, v133, v38, vcc_lo
	v_cmp_eq_u32_e32 vcc_lo, 5, v128
	;; [unrolled: 5-line block ×14, first 2 shown]
	v_cndmask_b32_e32 v133, v133, v63, vcc_lo
	v_cmp_eq_u32_e32 vcc_lo, 30, v128
	v_add_nc_u64_e32 v[128:129], 1, v[128:129]
	s_delay_alu instid0(VALU_DEP_3) | instskip(SKIP_2) | instid1(VALU_DEP_2)
	v_cndmask_b32_e32 v133, v133, v64, vcc_lo
	v_cmp_eq_u32_e32 vcc_lo, 0, v65
	s_wait_dscnt 0x0
	v_fmac_f32_e32 v132, v133, v134
	s_or_b32 s2, vcc_lo, s2
	s_delay_alu instid0(SALU_CYCLE_1)
	s_and_not1_b32 exec_lo, exec_lo, s2
	s_cbranch_execnz .LBB94_93
; %bb.94:
	s_or_b32 exec_lo, exec_lo, s2
.LBB94_95:
	s_delay_alu instid0(SALU_CYCLE_1)
	s_or_b32 exec_lo, exec_lo, s0
.LBB94_96:
	s_delay_alu instid0(SALU_CYCLE_1)
	s_or_b32 exec_lo, exec_lo, s5
	v_mov_b32_e32 v57, 0
	ds_load_b32 v57, v57 offset:92
	s_wait_dscnt 0x0
	v_mul_f32_e32 v57, v132, v57
.LBB94_97:
	s_or_b32 exec_lo, exec_lo, s4
	v_cmp_lt_u32_e64 s0, 22, v0
	ds_store_b32 v131, v56
	s_wait_dscnt 0x0
	s_barrier_signal -1
	s_barrier_wait -1
	s_and_saveexec_b32 s4, s0
	s_cbranch_execz .LBB94_113
; %bb.98:
	s_and_not1_b32 vcc_lo, exec_lo, s31
	s_cbranch_vccnz .LBB94_100
; %bb.99:
	v_cmp_eq_u32_e32 vcc_lo, 1, v0
	ds_load_b32 v129, v131
	v_cndmask_b32_e32 v128, v34, v35, vcc_lo
	v_cmp_eq_u32_e32 vcc_lo, 2, v0
	s_delay_alu instid0(VALU_DEP_2) | instskip(SKIP_1) | instid1(VALU_DEP_2)
	v_cndmask_b32_e32 v128, v128, v36, vcc_lo
	v_cmp_eq_u32_e32 vcc_lo, 3, v0
	v_cndmask_b32_e32 v128, v128, v37, vcc_lo
	v_cmp_eq_u32_e32 vcc_lo, 4, v0
	s_delay_alu instid0(VALU_DEP_2) | instskip(SKIP_1) | instid1(VALU_DEP_2)
	v_cndmask_b32_e32 v128, v128, v38, vcc_lo
	v_cmp_eq_u32_e32 vcc_lo, 5, v0
	;; [unrolled: 5-line block ×14, first 2 shown]
	v_cndmask_b32_e32 v128, v128, v63, vcc_lo
	v_cmp_eq_u32_e32 vcc_lo, 30, v0
	s_delay_alu instid0(VALU_DEP_2) | instskip(SKIP_1) | instid1(VALU_DEP_1)
	v_cndmask_b32_e32 v128, v128, v64, vcc_lo
	s_wait_dscnt 0x0
	v_mul_f32_e32 v132, v128, v129
	s_cbranch_execz .LBB94_101
	s_branch .LBB94_102
.LBB94_100:
                                        ; implicit-def: $vgpr132
.LBB94_101:
	ds_load_b32 v132, v131
.LBB94_102:
	s_and_saveexec_b32 s5, s1
	s_cbranch_execz .LBB94_112
; %bb.103:
	v_subrev_nc_u32_e32 v130, 24, v0
	v_mov_b32_e32 v128, 23
	v_subrev_nc_u32_e32 v129, 23, v0
	s_mov_b32 s1, exec_lo
	s_delay_alu instid0(VALU_DEP_3)
	v_cmpx_lt_u32_e32 6, v130
	s_cbranch_execz .LBB94_107
; %bb.104:
	s_delay_alu instid0(VALU_DEP_2) | instskip(SKIP_3) | instid1(VALU_DEP_1)
	v_and_b32_e32 v128, -8, v129
	s_mov_b32 s6, 0
	s_mov_b64 s[2:3], 30
	s_movk_i32 s7, 0xdc
	v_sub_nc_u32_e32 v130, 0, v128
.LBB94_105:                             ; =>This Inner Loop Header: Depth=1
	s_add_co_i32 m0, s2, -7
	v_movrels_b32_e32 v133, v34
	v_mov_b32_e32 v128, s7
	s_add_co_i32 m0, s2, -6
	s_add_co_i32 s7, s7, 32
	v_movrels_b32_e32 v142, v34
	ds_load_2addr_b32 v[134:135], v128 offset1:1
	ds_load_2addr_b32 v[136:137], v128 offset0:2 offset1:3
	s_add_co_i32 m0, s2, -5
	s_wait_dscnt 0x1
	v_fmac_f32_e32 v132, v133, v134
	ds_load_2addr_b32 v[138:139], v128 offset0:4 offset1:5
	ds_load_2addr_b32 v[140:141], v128 offset0:6 offset1:7
	v_movrels_b32_e32 v128, v34
	s_add_co_i32 m0, s2, -4
	v_fmac_f32_e32 v132, v142, v135
	v_movrels_b32_e32 v133, v34
	s_add_co_i32 m0, s2, -3
	s_wait_dscnt 0x2
	s_delay_alu instid0(VALU_DEP_2) | instskip(SKIP_2) | instid1(VALU_DEP_2)
	v_fmac_f32_e32 v132, v128, v136
	v_movrels_b32_e32 v128, v34
	s_add_co_i32 m0, s2, -2
	v_fmac_f32_e32 v132, v133, v137
	v_movrels_b32_e32 v133, v34
	s_add_co_i32 m0, s2, -1
	s_wait_dscnt 0x1
	s_delay_alu instid0(VALU_DEP_2)
	v_fmac_f32_e32 v132, v128, v138
	v_movrels_b32_e32 v128, v34
	s_mov_b32 m0, s2
	s_add_nc_u64 s[2:3], s[2:3], 8
	v_movrels_b32_e32 v134, v34
	v_dual_fmac_f32 v132, v133, v139 :: v_dual_add_nc_u32 v133, s2, v130
	s_add_co_i32 s8, s2, -7
	s_wait_dscnt 0x0
	s_delay_alu instid0(VALU_DEP_1) | instskip(NEXT) | instid1(VALU_DEP_2)
	v_fmac_f32_e32 v132, v128, v140
	v_cmp_eq_u32_e32 vcc_lo, 30, v133
	s_delay_alu instid0(VALU_DEP_2) | instskip(SKIP_1) | instid1(SALU_CYCLE_1)
	v_dual_mov_b32 v128, s8 :: v_dual_fmac_f32 v132, v134, v141
	s_or_b32 s6, vcc_lo, s6
	s_and_not1_b32 exec_lo, exec_lo, s6
	s_cbranch_execnz .LBB94_105
; %bb.106:
	s_or_b32 exec_lo, exec_lo, s6
.LBB94_107:
	s_delay_alu instid0(SALU_CYCLE_1) | instskip(SKIP_3) | instid1(VALU_DEP_1)
	s_or_b32 exec_lo, exec_lo, s1
	v_and_b32_e32 v65, 7, v129
	s_mov_b32 s2, 0
	s_mov_b32 s1, exec_lo
	v_cmpx_ne_u32_e32 0, v65
	s_cbranch_execz .LBB94_111
; %bb.108:
	v_lshl_add_u32 v130, v128, 2, 0x80
	v_mov_b32_e32 v129, 0
.LBB94_109:                             ; =>This Inner Loop Header: Depth=1
	v_cmp_eq_u32_e32 vcc_lo, 1, v128
	ds_load_b32 v134, v130
	v_dual_add_nc_u32 v65, -1, v65 :: v_dual_add_nc_u32 v130, 4, v130
	v_cndmask_b32_e32 v133, v34, v35, vcc_lo
	v_cmp_eq_u32_e32 vcc_lo, 2, v128
	s_delay_alu instid0(VALU_DEP_2) | instskip(SKIP_1) | instid1(VALU_DEP_2)
	v_cndmask_b32_e32 v133, v133, v36, vcc_lo
	v_cmp_eq_u32_e32 vcc_lo, 3, v128
	v_cndmask_b32_e32 v133, v133, v37, vcc_lo
	v_cmp_eq_u32_e32 vcc_lo, 4, v128
	s_delay_alu instid0(VALU_DEP_2) | instskip(SKIP_1) | instid1(VALU_DEP_2)
	v_cndmask_b32_e32 v133, v133, v38, vcc_lo
	v_cmp_eq_u32_e32 vcc_lo, 5, v128
	;; [unrolled: 5-line block ×14, first 2 shown]
	v_cndmask_b32_e32 v133, v133, v63, vcc_lo
	v_cmp_eq_u32_e32 vcc_lo, 30, v128
	v_add_nc_u64_e32 v[128:129], 1, v[128:129]
	s_delay_alu instid0(VALU_DEP_3) | instskip(SKIP_2) | instid1(VALU_DEP_2)
	v_cndmask_b32_e32 v133, v133, v64, vcc_lo
	v_cmp_eq_u32_e32 vcc_lo, 0, v65
	s_wait_dscnt 0x0
	v_fmac_f32_e32 v132, v133, v134
	s_or_b32 s2, vcc_lo, s2
	s_delay_alu instid0(SALU_CYCLE_1)
	s_and_not1_b32 exec_lo, exec_lo, s2
	s_cbranch_execnz .LBB94_109
; %bb.110:
	s_or_b32 exec_lo, exec_lo, s2
.LBB94_111:
	s_delay_alu instid0(SALU_CYCLE_1)
	s_or_b32 exec_lo, exec_lo, s1
.LBB94_112:
	s_delay_alu instid0(SALU_CYCLE_1)
	s_or_b32 exec_lo, exec_lo, s5
	v_mov_b32_e32 v56, 0
	ds_load_b32 v56, v56 offset:88
	s_wait_dscnt 0x0
	v_mul_f32_e32 v56, v132, v56
.LBB94_113:
	s_or_b32 exec_lo, exec_lo, s4
	v_cmp_lt_u32_e64 s1, 21, v0
	ds_store_b32 v131, v55
	s_wait_dscnt 0x0
	s_barrier_signal -1
	s_barrier_wait -1
	s_and_saveexec_b32 s4, s1
	s_cbranch_execz .LBB94_129
; %bb.114:
	s_and_not1_b32 vcc_lo, exec_lo, s31
	s_cbranch_vccnz .LBB94_116
; %bb.115:
	v_cmp_eq_u32_e32 vcc_lo, 1, v0
	ds_load_b32 v129, v131
	v_cndmask_b32_e32 v128, v34, v35, vcc_lo
	v_cmp_eq_u32_e32 vcc_lo, 2, v0
	s_delay_alu instid0(VALU_DEP_2) | instskip(SKIP_1) | instid1(VALU_DEP_2)
	v_cndmask_b32_e32 v128, v128, v36, vcc_lo
	v_cmp_eq_u32_e32 vcc_lo, 3, v0
	v_cndmask_b32_e32 v128, v128, v37, vcc_lo
	v_cmp_eq_u32_e32 vcc_lo, 4, v0
	s_delay_alu instid0(VALU_DEP_2) | instskip(SKIP_1) | instid1(VALU_DEP_2)
	v_cndmask_b32_e32 v128, v128, v38, vcc_lo
	v_cmp_eq_u32_e32 vcc_lo, 5, v0
	v_cndmask_b32_e32 v128, v128, v39, vcc_lo
	v_cmp_eq_u32_e32 vcc_lo, 6, v0
	s_delay_alu instid0(VALU_DEP_2) | instskip(SKIP_1) | instid1(VALU_DEP_2)
	v_cndmask_b32_e32 v128, v128, v40, vcc_lo
	v_cmp_eq_u32_e32 vcc_lo, 7, v0
	v_cndmask_b32_e32 v128, v128, v41, vcc_lo
	v_cmp_eq_u32_e32 vcc_lo, 8, v0
	s_delay_alu instid0(VALU_DEP_2) | instskip(SKIP_1) | instid1(VALU_DEP_2)
	v_cndmask_b32_e32 v128, v128, v42, vcc_lo
	v_cmp_eq_u32_e32 vcc_lo, 9, v0
	v_cndmask_b32_e32 v128, v128, v43, vcc_lo
	v_cmp_eq_u32_e32 vcc_lo, 10, v0
	s_delay_alu instid0(VALU_DEP_2) | instskip(SKIP_1) | instid1(VALU_DEP_2)
	v_cndmask_b32_e32 v128, v128, v44, vcc_lo
	v_cmp_eq_u32_e32 vcc_lo, 11, v0
	v_cndmask_b32_e32 v128, v128, v45, vcc_lo
	v_cmp_eq_u32_e32 vcc_lo, 12, v0
	s_delay_alu instid0(VALU_DEP_2) | instskip(SKIP_1) | instid1(VALU_DEP_2)
	v_cndmask_b32_e32 v128, v128, v46, vcc_lo
	v_cmp_eq_u32_e32 vcc_lo, 13, v0
	v_cndmask_b32_e32 v128, v128, v47, vcc_lo
	v_cmp_eq_u32_e32 vcc_lo, 14, v0
	s_delay_alu instid0(VALU_DEP_2) | instskip(SKIP_1) | instid1(VALU_DEP_2)
	v_cndmask_b32_e32 v128, v128, v48, vcc_lo
	v_cmp_eq_u32_e32 vcc_lo, 15, v0
	v_cndmask_b32_e32 v128, v128, v49, vcc_lo
	v_cmp_eq_u32_e32 vcc_lo, 16, v0
	s_delay_alu instid0(VALU_DEP_2) | instskip(SKIP_1) | instid1(VALU_DEP_2)
	v_cndmask_b32_e32 v128, v128, v50, vcc_lo
	v_cmp_eq_u32_e32 vcc_lo, 17, v0
	v_cndmask_b32_e32 v128, v128, v51, vcc_lo
	v_cmp_eq_u32_e32 vcc_lo, 18, v0
	s_delay_alu instid0(VALU_DEP_2) | instskip(SKIP_1) | instid1(VALU_DEP_2)
	v_cndmask_b32_e32 v128, v128, v52, vcc_lo
	v_cmp_eq_u32_e32 vcc_lo, 19, v0
	v_cndmask_b32_e32 v128, v128, v53, vcc_lo
	v_cmp_eq_u32_e32 vcc_lo, 20, v0
	s_delay_alu instid0(VALU_DEP_2) | instskip(SKIP_1) | instid1(VALU_DEP_2)
	v_cndmask_b32_e32 v128, v128, v54, vcc_lo
	v_cmp_eq_u32_e32 vcc_lo, 21, v0
	v_cndmask_b32_e32 v128, v128, v55, vcc_lo
	v_cmp_eq_u32_e32 vcc_lo, 22, v0
	s_delay_alu instid0(VALU_DEP_2) | instskip(SKIP_1) | instid1(VALU_DEP_2)
	v_cndmask_b32_e32 v128, v128, v56, vcc_lo
	v_cmp_eq_u32_e32 vcc_lo, 23, v0
	v_cndmask_b32_e32 v128, v128, v57, vcc_lo
	v_cmp_eq_u32_e32 vcc_lo, 24, v0
	s_delay_alu instid0(VALU_DEP_2) | instskip(SKIP_1) | instid1(VALU_DEP_2)
	v_cndmask_b32_e32 v128, v128, v58, vcc_lo
	v_cmp_eq_u32_e32 vcc_lo, 25, v0
	v_cndmask_b32_e32 v128, v128, v59, vcc_lo
	v_cmp_eq_u32_e32 vcc_lo, 26, v0
	s_delay_alu instid0(VALU_DEP_2) | instskip(SKIP_1) | instid1(VALU_DEP_2)
	v_cndmask_b32_e32 v128, v128, v60, vcc_lo
	v_cmp_eq_u32_e32 vcc_lo, 27, v0
	v_cndmask_b32_e32 v128, v128, v61, vcc_lo
	v_cmp_eq_u32_e32 vcc_lo, 28, v0
	s_delay_alu instid0(VALU_DEP_2) | instskip(SKIP_1) | instid1(VALU_DEP_2)
	v_cndmask_b32_e32 v128, v128, v62, vcc_lo
	v_cmp_eq_u32_e32 vcc_lo, 29, v0
	v_cndmask_b32_e32 v128, v128, v63, vcc_lo
	v_cmp_eq_u32_e32 vcc_lo, 30, v0
	s_delay_alu instid0(VALU_DEP_2) | instskip(SKIP_1) | instid1(VALU_DEP_1)
	v_cndmask_b32_e32 v128, v128, v64, vcc_lo
	s_wait_dscnt 0x0
	v_mul_f32_e32 v132, v128, v129
	s_cbranch_execz .LBB94_117
	s_branch .LBB94_118
.LBB94_116:
                                        ; implicit-def: $vgpr132
.LBB94_117:
	ds_load_b32 v132, v131
.LBB94_118:
	s_and_saveexec_b32 s5, s0
	s_cbranch_execz .LBB94_128
; %bb.119:
	v_subrev_nc_u32_e32 v130, 23, v0
	v_mov_b32_e32 v128, 22
	v_subrev_nc_u32_e32 v129, 22, v0
	s_mov_b32 s0, exec_lo
	s_delay_alu instid0(VALU_DEP_3)
	v_cmpx_lt_u32_e32 6, v130
	s_cbranch_execz .LBB94_123
; %bb.120:
	s_delay_alu instid0(VALU_DEP_2) | instskip(SKIP_3) | instid1(VALU_DEP_1)
	v_and_b32_e32 v128, -8, v129
	s_mov_b32 s6, 0
	s_mov_b64 s[2:3], 29
	s_movk_i32 s7, 0xd8
	v_sub_nc_u32_e32 v130, 0, v128
.LBB94_121:                             ; =>This Inner Loop Header: Depth=1
	s_add_co_i32 m0, s2, -7
	v_movrels_b32_e32 v133, v34
	v_mov_b32_e32 v128, s7
	s_add_co_i32 m0, s2, -6
	s_add_co_i32 s7, s7, 32
	v_movrels_b32_e32 v142, v34
	s_add_co_i32 m0, s2, -5
	ds_load_2addr_b64 v[134:137], v128 offset1:1
	ds_load_2addr_b64 v[138:141], v128 offset0:2 offset1:3
	v_movrels_b32_e32 v128, v34
	s_add_co_i32 m0, s2, -4
	s_wait_dscnt 0x1
	v_fmac_f32_e32 v132, v133, v134
	v_movrels_b32_e32 v133, v34
	s_add_co_i32 m0, s2, -3
	s_delay_alu instid0(VALU_DEP_2) | instskip(NEXT) | instid1(VALU_DEP_1)
	v_fmac_f32_e32 v132, v142, v135
	v_fmac_f32_e32 v132, v128, v136
	v_movrels_b32_e32 v128, v34
	s_add_co_i32 m0, s2, -2
	s_delay_alu instid0(VALU_DEP_2) | instskip(SKIP_3) | instid1(VALU_DEP_2)
	v_fmac_f32_e32 v132, v133, v137
	v_movrels_b32_e32 v133, v34
	s_add_co_i32 m0, s2, -1
	s_wait_dscnt 0x0
	v_fmac_f32_e32 v132, v128, v138
	v_movrels_b32_e32 v128, v34
	s_mov_b32 m0, s2
	s_add_nc_u64 s[2:3], s[2:3], 8
	v_movrels_b32_e32 v134, v34
	v_dual_fmac_f32 v132, v133, v139 :: v_dual_add_nc_u32 v133, s2, v130
	s_add_co_i32 s8, s2, -7
	s_delay_alu instid0(VALU_DEP_1) | instskip(NEXT) | instid1(VALU_DEP_2)
	v_fmac_f32_e32 v132, v128, v140
	v_cmp_eq_u32_e32 vcc_lo, 29, v133
	s_delay_alu instid0(VALU_DEP_2) | instskip(SKIP_1) | instid1(SALU_CYCLE_1)
	v_dual_mov_b32 v128, s8 :: v_dual_fmac_f32 v132, v134, v141
	s_or_b32 s6, vcc_lo, s6
	s_and_not1_b32 exec_lo, exec_lo, s6
	s_cbranch_execnz .LBB94_121
; %bb.122:
	s_or_b32 exec_lo, exec_lo, s6
.LBB94_123:
	s_delay_alu instid0(SALU_CYCLE_1) | instskip(SKIP_3) | instid1(VALU_DEP_1)
	s_or_b32 exec_lo, exec_lo, s0
	v_and_b32_e32 v65, 7, v129
	s_mov_b32 s2, 0
	s_mov_b32 s0, exec_lo
	v_cmpx_ne_u32_e32 0, v65
	s_cbranch_execz .LBB94_127
; %bb.124:
	v_lshl_add_u32 v130, v128, 2, 0x80
	v_mov_b32_e32 v129, 0
.LBB94_125:                             ; =>This Inner Loop Header: Depth=1
	v_cmp_eq_u32_e32 vcc_lo, 1, v128
	ds_load_b32 v134, v130
	v_dual_add_nc_u32 v65, -1, v65 :: v_dual_add_nc_u32 v130, 4, v130
	v_cndmask_b32_e32 v133, v34, v35, vcc_lo
	v_cmp_eq_u32_e32 vcc_lo, 2, v128
	s_delay_alu instid0(VALU_DEP_2) | instskip(SKIP_1) | instid1(VALU_DEP_2)
	v_cndmask_b32_e32 v133, v133, v36, vcc_lo
	v_cmp_eq_u32_e32 vcc_lo, 3, v128
	v_cndmask_b32_e32 v133, v133, v37, vcc_lo
	v_cmp_eq_u32_e32 vcc_lo, 4, v128
	s_delay_alu instid0(VALU_DEP_2) | instskip(SKIP_1) | instid1(VALU_DEP_2)
	v_cndmask_b32_e32 v133, v133, v38, vcc_lo
	v_cmp_eq_u32_e32 vcc_lo, 5, v128
	;; [unrolled: 5-line block ×14, first 2 shown]
	v_cndmask_b32_e32 v133, v133, v63, vcc_lo
	v_cmp_eq_u32_e32 vcc_lo, 30, v128
	v_add_nc_u64_e32 v[128:129], 1, v[128:129]
	s_delay_alu instid0(VALU_DEP_3) | instskip(SKIP_2) | instid1(VALU_DEP_2)
	v_cndmask_b32_e32 v133, v133, v64, vcc_lo
	v_cmp_eq_u32_e32 vcc_lo, 0, v65
	s_wait_dscnt 0x0
	v_fmac_f32_e32 v132, v133, v134
	s_or_b32 s2, vcc_lo, s2
	s_delay_alu instid0(SALU_CYCLE_1)
	s_and_not1_b32 exec_lo, exec_lo, s2
	s_cbranch_execnz .LBB94_125
; %bb.126:
	s_or_b32 exec_lo, exec_lo, s2
.LBB94_127:
	s_delay_alu instid0(SALU_CYCLE_1)
	s_or_b32 exec_lo, exec_lo, s0
.LBB94_128:
	s_delay_alu instid0(SALU_CYCLE_1)
	s_or_b32 exec_lo, exec_lo, s5
	v_mov_b32_e32 v55, 0
	ds_load_b32 v55, v55 offset:84
	s_wait_dscnt 0x0
	v_mul_f32_e32 v55, v132, v55
.LBB94_129:
	s_or_b32 exec_lo, exec_lo, s4
	v_cmp_lt_u32_e64 s0, 20, v0
	ds_store_b32 v131, v54
	s_wait_dscnt 0x0
	s_barrier_signal -1
	s_barrier_wait -1
	s_and_saveexec_b32 s4, s0
	s_cbranch_execz .LBB94_145
; %bb.130:
	s_and_not1_b32 vcc_lo, exec_lo, s31
	s_cbranch_vccnz .LBB94_132
; %bb.131:
	v_cmp_eq_u32_e32 vcc_lo, 1, v0
	ds_load_b32 v129, v131
	v_cndmask_b32_e32 v128, v34, v35, vcc_lo
	v_cmp_eq_u32_e32 vcc_lo, 2, v0
	s_delay_alu instid0(VALU_DEP_2) | instskip(SKIP_1) | instid1(VALU_DEP_2)
	v_cndmask_b32_e32 v128, v128, v36, vcc_lo
	v_cmp_eq_u32_e32 vcc_lo, 3, v0
	v_cndmask_b32_e32 v128, v128, v37, vcc_lo
	v_cmp_eq_u32_e32 vcc_lo, 4, v0
	s_delay_alu instid0(VALU_DEP_2) | instskip(SKIP_1) | instid1(VALU_DEP_2)
	v_cndmask_b32_e32 v128, v128, v38, vcc_lo
	v_cmp_eq_u32_e32 vcc_lo, 5, v0
	;; [unrolled: 5-line block ×14, first 2 shown]
	v_cndmask_b32_e32 v128, v128, v63, vcc_lo
	v_cmp_eq_u32_e32 vcc_lo, 30, v0
	s_delay_alu instid0(VALU_DEP_2) | instskip(SKIP_1) | instid1(VALU_DEP_1)
	v_cndmask_b32_e32 v128, v128, v64, vcc_lo
	s_wait_dscnt 0x0
	v_mul_f32_e32 v132, v128, v129
	s_cbranch_execz .LBB94_133
	s_branch .LBB94_134
.LBB94_132:
                                        ; implicit-def: $vgpr132
.LBB94_133:
	ds_load_b32 v132, v131
.LBB94_134:
	s_and_saveexec_b32 s5, s1
	s_cbranch_execz .LBB94_144
; %bb.135:
	v_subrev_nc_u32_e32 v130, 22, v0
	v_mov_b32_e32 v128, 21
	v_subrev_nc_u32_e32 v129, 21, v0
	s_mov_b32 s1, exec_lo
	s_delay_alu instid0(VALU_DEP_3)
	v_cmpx_lt_u32_e32 6, v130
	s_cbranch_execz .LBB94_139
; %bb.136:
	s_delay_alu instid0(VALU_DEP_2) | instskip(SKIP_3) | instid1(VALU_DEP_1)
	v_and_b32_e32 v128, -8, v129
	s_mov_b32 s6, 0
	s_mov_b64 s[2:3], 28
	s_movk_i32 s7, 0xd4
	v_sub_nc_u32_e32 v130, 0, v128
.LBB94_137:                             ; =>This Inner Loop Header: Depth=1
	s_add_co_i32 m0, s2, -7
	v_movrels_b32_e32 v133, v34
	v_mov_b32_e32 v128, s7
	s_add_co_i32 m0, s2, -6
	s_add_co_i32 s7, s7, 32
	v_movrels_b32_e32 v142, v34
	ds_load_2addr_b32 v[134:135], v128 offset1:1
	ds_load_2addr_b32 v[136:137], v128 offset0:2 offset1:3
	s_add_co_i32 m0, s2, -5
	s_wait_dscnt 0x1
	v_fmac_f32_e32 v132, v133, v134
	ds_load_2addr_b32 v[138:139], v128 offset0:4 offset1:5
	ds_load_2addr_b32 v[140:141], v128 offset0:6 offset1:7
	v_movrels_b32_e32 v128, v34
	s_add_co_i32 m0, s2, -4
	v_fmac_f32_e32 v132, v142, v135
	v_movrels_b32_e32 v133, v34
	s_add_co_i32 m0, s2, -3
	s_wait_dscnt 0x2
	s_delay_alu instid0(VALU_DEP_2) | instskip(SKIP_2) | instid1(VALU_DEP_2)
	v_fmac_f32_e32 v132, v128, v136
	v_movrels_b32_e32 v128, v34
	s_add_co_i32 m0, s2, -2
	v_fmac_f32_e32 v132, v133, v137
	v_movrels_b32_e32 v133, v34
	s_add_co_i32 m0, s2, -1
	s_wait_dscnt 0x1
	s_delay_alu instid0(VALU_DEP_2)
	v_fmac_f32_e32 v132, v128, v138
	v_movrels_b32_e32 v128, v34
	s_mov_b32 m0, s2
	s_add_nc_u64 s[2:3], s[2:3], 8
	v_movrels_b32_e32 v134, v34
	v_dual_fmac_f32 v132, v133, v139 :: v_dual_add_nc_u32 v133, s2, v130
	s_add_co_i32 s8, s2, -7
	s_wait_dscnt 0x0
	s_delay_alu instid0(VALU_DEP_1) | instskip(NEXT) | instid1(VALU_DEP_2)
	v_fmac_f32_e32 v132, v128, v140
	v_cmp_eq_u32_e32 vcc_lo, 28, v133
	s_delay_alu instid0(VALU_DEP_2) | instskip(SKIP_1) | instid1(SALU_CYCLE_1)
	v_dual_mov_b32 v128, s8 :: v_dual_fmac_f32 v132, v134, v141
	s_or_b32 s6, vcc_lo, s6
	s_and_not1_b32 exec_lo, exec_lo, s6
	s_cbranch_execnz .LBB94_137
; %bb.138:
	s_or_b32 exec_lo, exec_lo, s6
.LBB94_139:
	s_delay_alu instid0(SALU_CYCLE_1) | instskip(SKIP_3) | instid1(VALU_DEP_1)
	s_or_b32 exec_lo, exec_lo, s1
	v_and_b32_e32 v65, 7, v129
	s_mov_b32 s2, 0
	s_mov_b32 s1, exec_lo
	v_cmpx_ne_u32_e32 0, v65
	s_cbranch_execz .LBB94_143
; %bb.140:
	v_lshl_add_u32 v130, v128, 2, 0x80
	v_mov_b32_e32 v129, 0
.LBB94_141:                             ; =>This Inner Loop Header: Depth=1
	v_cmp_eq_u32_e32 vcc_lo, 1, v128
	ds_load_b32 v134, v130
	v_dual_add_nc_u32 v65, -1, v65 :: v_dual_add_nc_u32 v130, 4, v130
	v_cndmask_b32_e32 v133, v34, v35, vcc_lo
	v_cmp_eq_u32_e32 vcc_lo, 2, v128
	s_delay_alu instid0(VALU_DEP_2) | instskip(SKIP_1) | instid1(VALU_DEP_2)
	v_cndmask_b32_e32 v133, v133, v36, vcc_lo
	v_cmp_eq_u32_e32 vcc_lo, 3, v128
	v_cndmask_b32_e32 v133, v133, v37, vcc_lo
	v_cmp_eq_u32_e32 vcc_lo, 4, v128
	s_delay_alu instid0(VALU_DEP_2) | instskip(SKIP_1) | instid1(VALU_DEP_2)
	v_cndmask_b32_e32 v133, v133, v38, vcc_lo
	v_cmp_eq_u32_e32 vcc_lo, 5, v128
	;; [unrolled: 5-line block ×14, first 2 shown]
	v_cndmask_b32_e32 v133, v133, v63, vcc_lo
	v_cmp_eq_u32_e32 vcc_lo, 30, v128
	v_add_nc_u64_e32 v[128:129], 1, v[128:129]
	s_delay_alu instid0(VALU_DEP_3) | instskip(SKIP_2) | instid1(VALU_DEP_2)
	v_cndmask_b32_e32 v133, v133, v64, vcc_lo
	v_cmp_eq_u32_e32 vcc_lo, 0, v65
	s_wait_dscnt 0x0
	v_fmac_f32_e32 v132, v133, v134
	s_or_b32 s2, vcc_lo, s2
	s_delay_alu instid0(SALU_CYCLE_1)
	s_and_not1_b32 exec_lo, exec_lo, s2
	s_cbranch_execnz .LBB94_141
; %bb.142:
	s_or_b32 exec_lo, exec_lo, s2
.LBB94_143:
	s_delay_alu instid0(SALU_CYCLE_1)
	s_or_b32 exec_lo, exec_lo, s1
.LBB94_144:
	s_delay_alu instid0(SALU_CYCLE_1)
	s_or_b32 exec_lo, exec_lo, s5
	v_mov_b32_e32 v54, 0
	ds_load_b32 v54, v54 offset:80
	s_wait_dscnt 0x0
	v_mul_f32_e32 v54, v132, v54
.LBB94_145:
	s_or_b32 exec_lo, exec_lo, s4
	v_cmp_lt_u32_e64 s1, 19, v0
	ds_store_b32 v131, v53
	s_wait_dscnt 0x0
	s_barrier_signal -1
	s_barrier_wait -1
	s_and_saveexec_b32 s4, s1
	s_cbranch_execz .LBB94_161
; %bb.146:
	s_and_not1_b32 vcc_lo, exec_lo, s31
	s_cbranch_vccnz .LBB94_148
; %bb.147:
	v_cmp_eq_u32_e32 vcc_lo, 1, v0
	ds_load_b32 v129, v131
	v_cndmask_b32_e32 v128, v34, v35, vcc_lo
	v_cmp_eq_u32_e32 vcc_lo, 2, v0
	s_delay_alu instid0(VALU_DEP_2) | instskip(SKIP_1) | instid1(VALU_DEP_2)
	v_cndmask_b32_e32 v128, v128, v36, vcc_lo
	v_cmp_eq_u32_e32 vcc_lo, 3, v0
	v_cndmask_b32_e32 v128, v128, v37, vcc_lo
	v_cmp_eq_u32_e32 vcc_lo, 4, v0
	s_delay_alu instid0(VALU_DEP_2) | instskip(SKIP_1) | instid1(VALU_DEP_2)
	v_cndmask_b32_e32 v128, v128, v38, vcc_lo
	v_cmp_eq_u32_e32 vcc_lo, 5, v0
	;; [unrolled: 5-line block ×14, first 2 shown]
	v_cndmask_b32_e32 v128, v128, v63, vcc_lo
	v_cmp_eq_u32_e32 vcc_lo, 30, v0
	s_delay_alu instid0(VALU_DEP_2) | instskip(SKIP_1) | instid1(VALU_DEP_1)
	v_cndmask_b32_e32 v128, v128, v64, vcc_lo
	s_wait_dscnt 0x0
	v_mul_f32_e32 v132, v128, v129
	s_cbranch_execz .LBB94_149
	s_branch .LBB94_150
.LBB94_148:
                                        ; implicit-def: $vgpr132
.LBB94_149:
	ds_load_b32 v132, v131
.LBB94_150:
	s_and_saveexec_b32 s5, s0
	s_cbranch_execz .LBB94_160
; %bb.151:
	v_subrev_nc_u32_e32 v130, 21, v0
	v_mov_b32_e32 v128, 20
	v_subrev_nc_u32_e32 v129, 20, v0
	s_mov_b32 s0, exec_lo
	s_delay_alu instid0(VALU_DEP_3)
	v_cmpx_lt_u32_e32 6, v130
	s_cbranch_execz .LBB94_155
; %bb.152:
	s_delay_alu instid0(VALU_DEP_2) | instskip(SKIP_3) | instid1(VALU_DEP_1)
	v_and_b32_e32 v128, -8, v129
	s_mov_b32 s6, 0
	s_mov_b64 s[2:3], 27
	s_movk_i32 s7, 0xd0
	v_sub_nc_u32_e32 v130, 0, v128
.LBB94_153:                             ; =>This Inner Loop Header: Depth=1
	s_add_co_i32 m0, s2, -7
	v_movrels_b32_e32 v133, v34
	v_mov_b32_e32 v128, s7
	s_add_co_i32 m0, s2, -6
	s_add_co_i32 s7, s7, 32
	v_movrels_b32_e32 v142, v34
	s_add_co_i32 m0, s2, -5
	ds_load_b128 v[134:137], v128
	ds_load_b128 v[138:141], v128 offset:16
	v_movrels_b32_e32 v128, v34
	s_add_co_i32 m0, s2, -4
	s_wait_dscnt 0x1
	v_fmac_f32_e32 v132, v133, v134
	v_movrels_b32_e32 v133, v34
	s_add_co_i32 m0, s2, -3
	s_delay_alu instid0(VALU_DEP_2) | instskip(NEXT) | instid1(VALU_DEP_1)
	v_fmac_f32_e32 v132, v142, v135
	v_fmac_f32_e32 v132, v128, v136
	v_movrels_b32_e32 v128, v34
	s_add_co_i32 m0, s2, -2
	s_delay_alu instid0(VALU_DEP_2) | instskip(SKIP_3) | instid1(VALU_DEP_2)
	v_fmac_f32_e32 v132, v133, v137
	v_movrels_b32_e32 v133, v34
	s_add_co_i32 m0, s2, -1
	s_wait_dscnt 0x0
	v_fmac_f32_e32 v132, v128, v138
	v_movrels_b32_e32 v128, v34
	s_mov_b32 m0, s2
	s_add_nc_u64 s[2:3], s[2:3], 8
	v_movrels_b32_e32 v134, v34
	v_dual_fmac_f32 v132, v133, v139 :: v_dual_add_nc_u32 v133, s2, v130
	s_add_co_i32 s8, s2, -7
	s_delay_alu instid0(VALU_DEP_1) | instskip(NEXT) | instid1(VALU_DEP_2)
	v_fmac_f32_e32 v132, v128, v140
	v_cmp_eq_u32_e32 vcc_lo, 27, v133
	s_delay_alu instid0(VALU_DEP_2) | instskip(SKIP_1) | instid1(SALU_CYCLE_1)
	v_dual_mov_b32 v128, s8 :: v_dual_fmac_f32 v132, v134, v141
	s_or_b32 s6, vcc_lo, s6
	s_and_not1_b32 exec_lo, exec_lo, s6
	s_cbranch_execnz .LBB94_153
; %bb.154:
	s_or_b32 exec_lo, exec_lo, s6
.LBB94_155:
	s_delay_alu instid0(SALU_CYCLE_1) | instskip(SKIP_3) | instid1(VALU_DEP_1)
	s_or_b32 exec_lo, exec_lo, s0
	v_and_b32_e32 v65, 7, v129
	s_mov_b32 s2, 0
	s_mov_b32 s0, exec_lo
	v_cmpx_ne_u32_e32 0, v65
	s_cbranch_execz .LBB94_159
; %bb.156:
	v_lshl_add_u32 v130, v128, 2, 0x80
	v_mov_b32_e32 v129, 0
.LBB94_157:                             ; =>This Inner Loop Header: Depth=1
	v_cmp_eq_u32_e32 vcc_lo, 1, v128
	ds_load_b32 v134, v130
	v_dual_add_nc_u32 v65, -1, v65 :: v_dual_add_nc_u32 v130, 4, v130
	v_cndmask_b32_e32 v133, v34, v35, vcc_lo
	v_cmp_eq_u32_e32 vcc_lo, 2, v128
	s_delay_alu instid0(VALU_DEP_2) | instskip(SKIP_1) | instid1(VALU_DEP_2)
	v_cndmask_b32_e32 v133, v133, v36, vcc_lo
	v_cmp_eq_u32_e32 vcc_lo, 3, v128
	v_cndmask_b32_e32 v133, v133, v37, vcc_lo
	v_cmp_eq_u32_e32 vcc_lo, 4, v128
	s_delay_alu instid0(VALU_DEP_2) | instskip(SKIP_1) | instid1(VALU_DEP_2)
	v_cndmask_b32_e32 v133, v133, v38, vcc_lo
	v_cmp_eq_u32_e32 vcc_lo, 5, v128
	v_cndmask_b32_e32 v133, v133, v39, vcc_lo
	v_cmp_eq_u32_e32 vcc_lo, 6, v128
	s_delay_alu instid0(VALU_DEP_2) | instskip(SKIP_1) | instid1(VALU_DEP_2)
	v_cndmask_b32_e32 v133, v133, v40, vcc_lo
	v_cmp_eq_u32_e32 vcc_lo, 7, v128
	v_cndmask_b32_e32 v133, v133, v41, vcc_lo
	v_cmp_eq_u32_e32 vcc_lo, 8, v128
	s_delay_alu instid0(VALU_DEP_2) | instskip(SKIP_1) | instid1(VALU_DEP_2)
	v_cndmask_b32_e32 v133, v133, v42, vcc_lo
	v_cmp_eq_u32_e32 vcc_lo, 9, v128
	v_cndmask_b32_e32 v133, v133, v43, vcc_lo
	v_cmp_eq_u32_e32 vcc_lo, 10, v128
	s_delay_alu instid0(VALU_DEP_2) | instskip(SKIP_1) | instid1(VALU_DEP_2)
	v_cndmask_b32_e32 v133, v133, v44, vcc_lo
	v_cmp_eq_u32_e32 vcc_lo, 11, v128
	v_cndmask_b32_e32 v133, v133, v45, vcc_lo
	v_cmp_eq_u32_e32 vcc_lo, 12, v128
	s_delay_alu instid0(VALU_DEP_2) | instskip(SKIP_1) | instid1(VALU_DEP_2)
	v_cndmask_b32_e32 v133, v133, v46, vcc_lo
	v_cmp_eq_u32_e32 vcc_lo, 13, v128
	v_cndmask_b32_e32 v133, v133, v47, vcc_lo
	v_cmp_eq_u32_e32 vcc_lo, 14, v128
	s_delay_alu instid0(VALU_DEP_2) | instskip(SKIP_1) | instid1(VALU_DEP_2)
	v_cndmask_b32_e32 v133, v133, v48, vcc_lo
	v_cmp_eq_u32_e32 vcc_lo, 15, v128
	v_cndmask_b32_e32 v133, v133, v49, vcc_lo
	v_cmp_eq_u32_e32 vcc_lo, 16, v128
	s_delay_alu instid0(VALU_DEP_2) | instskip(SKIP_1) | instid1(VALU_DEP_2)
	v_cndmask_b32_e32 v133, v133, v50, vcc_lo
	v_cmp_eq_u32_e32 vcc_lo, 17, v128
	v_cndmask_b32_e32 v133, v133, v51, vcc_lo
	v_cmp_eq_u32_e32 vcc_lo, 18, v128
	s_delay_alu instid0(VALU_DEP_2) | instskip(SKIP_1) | instid1(VALU_DEP_2)
	v_cndmask_b32_e32 v133, v133, v52, vcc_lo
	v_cmp_eq_u32_e32 vcc_lo, 19, v128
	v_cndmask_b32_e32 v133, v133, v53, vcc_lo
	v_cmp_eq_u32_e32 vcc_lo, 20, v128
	s_delay_alu instid0(VALU_DEP_2) | instskip(SKIP_1) | instid1(VALU_DEP_2)
	v_cndmask_b32_e32 v133, v133, v54, vcc_lo
	v_cmp_eq_u32_e32 vcc_lo, 21, v128
	v_cndmask_b32_e32 v133, v133, v55, vcc_lo
	v_cmp_eq_u32_e32 vcc_lo, 22, v128
	s_delay_alu instid0(VALU_DEP_2) | instskip(SKIP_1) | instid1(VALU_DEP_2)
	v_cndmask_b32_e32 v133, v133, v56, vcc_lo
	v_cmp_eq_u32_e32 vcc_lo, 23, v128
	v_cndmask_b32_e32 v133, v133, v57, vcc_lo
	v_cmp_eq_u32_e32 vcc_lo, 24, v128
	s_delay_alu instid0(VALU_DEP_2) | instskip(SKIP_1) | instid1(VALU_DEP_2)
	v_cndmask_b32_e32 v133, v133, v58, vcc_lo
	v_cmp_eq_u32_e32 vcc_lo, 25, v128
	v_cndmask_b32_e32 v133, v133, v59, vcc_lo
	v_cmp_eq_u32_e32 vcc_lo, 26, v128
	s_delay_alu instid0(VALU_DEP_2) | instskip(SKIP_1) | instid1(VALU_DEP_2)
	v_cndmask_b32_e32 v133, v133, v60, vcc_lo
	v_cmp_eq_u32_e32 vcc_lo, 27, v128
	v_cndmask_b32_e32 v133, v133, v61, vcc_lo
	v_cmp_eq_u32_e32 vcc_lo, 28, v128
	s_delay_alu instid0(VALU_DEP_2) | instskip(SKIP_1) | instid1(VALU_DEP_2)
	v_cndmask_b32_e32 v133, v133, v62, vcc_lo
	v_cmp_eq_u32_e32 vcc_lo, 29, v128
	v_cndmask_b32_e32 v133, v133, v63, vcc_lo
	v_cmp_eq_u32_e32 vcc_lo, 30, v128
	v_add_nc_u64_e32 v[128:129], 1, v[128:129]
	s_delay_alu instid0(VALU_DEP_3) | instskip(SKIP_2) | instid1(VALU_DEP_2)
	v_cndmask_b32_e32 v133, v133, v64, vcc_lo
	v_cmp_eq_u32_e32 vcc_lo, 0, v65
	s_wait_dscnt 0x0
	v_fmac_f32_e32 v132, v133, v134
	s_or_b32 s2, vcc_lo, s2
	s_delay_alu instid0(SALU_CYCLE_1)
	s_and_not1_b32 exec_lo, exec_lo, s2
	s_cbranch_execnz .LBB94_157
; %bb.158:
	s_or_b32 exec_lo, exec_lo, s2
.LBB94_159:
	s_delay_alu instid0(SALU_CYCLE_1)
	s_or_b32 exec_lo, exec_lo, s0
.LBB94_160:
	s_delay_alu instid0(SALU_CYCLE_1)
	s_or_b32 exec_lo, exec_lo, s5
	v_mov_b32_e32 v53, 0
	ds_load_b32 v53, v53 offset:76
	s_wait_dscnt 0x0
	v_mul_f32_e32 v53, v132, v53
.LBB94_161:
	s_or_b32 exec_lo, exec_lo, s4
	v_cmp_lt_u32_e64 s0, 18, v0
	ds_store_b32 v131, v52
	s_wait_dscnt 0x0
	s_barrier_signal -1
	s_barrier_wait -1
	s_and_saveexec_b32 s4, s0
	s_cbranch_execz .LBB94_177
; %bb.162:
	s_and_not1_b32 vcc_lo, exec_lo, s31
	s_cbranch_vccnz .LBB94_164
; %bb.163:
	v_cmp_eq_u32_e32 vcc_lo, 1, v0
	ds_load_b32 v129, v131
	v_cndmask_b32_e32 v128, v34, v35, vcc_lo
	v_cmp_eq_u32_e32 vcc_lo, 2, v0
	s_delay_alu instid0(VALU_DEP_2) | instskip(SKIP_1) | instid1(VALU_DEP_2)
	v_cndmask_b32_e32 v128, v128, v36, vcc_lo
	v_cmp_eq_u32_e32 vcc_lo, 3, v0
	v_cndmask_b32_e32 v128, v128, v37, vcc_lo
	v_cmp_eq_u32_e32 vcc_lo, 4, v0
	s_delay_alu instid0(VALU_DEP_2) | instskip(SKIP_1) | instid1(VALU_DEP_2)
	v_cndmask_b32_e32 v128, v128, v38, vcc_lo
	v_cmp_eq_u32_e32 vcc_lo, 5, v0
	;; [unrolled: 5-line block ×14, first 2 shown]
	v_cndmask_b32_e32 v128, v128, v63, vcc_lo
	v_cmp_eq_u32_e32 vcc_lo, 30, v0
	s_delay_alu instid0(VALU_DEP_2) | instskip(SKIP_1) | instid1(VALU_DEP_1)
	v_cndmask_b32_e32 v128, v128, v64, vcc_lo
	s_wait_dscnt 0x0
	v_mul_f32_e32 v132, v128, v129
	s_cbranch_execz .LBB94_165
	s_branch .LBB94_166
.LBB94_164:
                                        ; implicit-def: $vgpr132
.LBB94_165:
	ds_load_b32 v132, v131
.LBB94_166:
	s_and_saveexec_b32 s5, s1
	s_cbranch_execz .LBB94_176
; %bb.167:
	v_subrev_nc_u32_e32 v130, 20, v0
	v_mov_b32_e32 v128, 19
	v_subrev_nc_u32_e32 v129, 19, v0
	s_mov_b32 s1, exec_lo
	s_delay_alu instid0(VALU_DEP_3)
	v_cmpx_lt_u32_e32 6, v130
	s_cbranch_execz .LBB94_171
; %bb.168:
	s_delay_alu instid0(VALU_DEP_2) | instskip(SKIP_3) | instid1(VALU_DEP_1)
	v_and_b32_e32 v128, -8, v129
	s_mov_b32 s6, 0
	s_mov_b64 s[2:3], 26
	s_movk_i32 s7, 0xcc
	v_sub_nc_u32_e32 v130, 0, v128
.LBB94_169:                             ; =>This Inner Loop Header: Depth=1
	s_add_co_i32 m0, s2, -7
	v_movrels_b32_e32 v133, v34
	v_mov_b32_e32 v128, s7
	s_add_co_i32 m0, s2, -6
	s_add_co_i32 s7, s7, 32
	v_movrels_b32_e32 v142, v34
	ds_load_2addr_b32 v[134:135], v128 offset1:1
	ds_load_2addr_b32 v[136:137], v128 offset0:2 offset1:3
	s_add_co_i32 m0, s2, -5
	s_wait_dscnt 0x1
	v_fmac_f32_e32 v132, v133, v134
	ds_load_2addr_b32 v[138:139], v128 offset0:4 offset1:5
	ds_load_2addr_b32 v[140:141], v128 offset0:6 offset1:7
	v_movrels_b32_e32 v128, v34
	s_add_co_i32 m0, s2, -4
	v_fmac_f32_e32 v132, v142, v135
	v_movrels_b32_e32 v133, v34
	s_add_co_i32 m0, s2, -3
	s_wait_dscnt 0x2
	s_delay_alu instid0(VALU_DEP_2) | instskip(SKIP_2) | instid1(VALU_DEP_2)
	v_fmac_f32_e32 v132, v128, v136
	v_movrels_b32_e32 v128, v34
	s_add_co_i32 m0, s2, -2
	v_fmac_f32_e32 v132, v133, v137
	v_movrels_b32_e32 v133, v34
	s_add_co_i32 m0, s2, -1
	s_wait_dscnt 0x1
	s_delay_alu instid0(VALU_DEP_2)
	v_fmac_f32_e32 v132, v128, v138
	v_movrels_b32_e32 v128, v34
	s_mov_b32 m0, s2
	s_add_nc_u64 s[2:3], s[2:3], 8
	v_movrels_b32_e32 v134, v34
	v_dual_fmac_f32 v132, v133, v139 :: v_dual_add_nc_u32 v133, s2, v130
	s_add_co_i32 s8, s2, -7
	s_wait_dscnt 0x0
	s_delay_alu instid0(VALU_DEP_1) | instskip(NEXT) | instid1(VALU_DEP_2)
	v_fmac_f32_e32 v132, v128, v140
	v_cmp_eq_u32_e32 vcc_lo, 26, v133
	s_delay_alu instid0(VALU_DEP_2) | instskip(SKIP_1) | instid1(SALU_CYCLE_1)
	v_dual_mov_b32 v128, s8 :: v_dual_fmac_f32 v132, v134, v141
	s_or_b32 s6, vcc_lo, s6
	s_and_not1_b32 exec_lo, exec_lo, s6
	s_cbranch_execnz .LBB94_169
; %bb.170:
	s_or_b32 exec_lo, exec_lo, s6
.LBB94_171:
	s_delay_alu instid0(SALU_CYCLE_1) | instskip(SKIP_3) | instid1(VALU_DEP_1)
	s_or_b32 exec_lo, exec_lo, s1
	v_and_b32_e32 v65, 7, v129
	s_mov_b32 s2, 0
	s_mov_b32 s1, exec_lo
	v_cmpx_ne_u32_e32 0, v65
	s_cbranch_execz .LBB94_175
; %bb.172:
	v_lshl_add_u32 v130, v128, 2, 0x80
	v_mov_b32_e32 v129, 0
.LBB94_173:                             ; =>This Inner Loop Header: Depth=1
	v_cmp_eq_u32_e32 vcc_lo, 1, v128
	ds_load_b32 v134, v130
	v_dual_add_nc_u32 v65, -1, v65 :: v_dual_add_nc_u32 v130, 4, v130
	v_cndmask_b32_e32 v133, v34, v35, vcc_lo
	v_cmp_eq_u32_e32 vcc_lo, 2, v128
	s_delay_alu instid0(VALU_DEP_2) | instskip(SKIP_1) | instid1(VALU_DEP_2)
	v_cndmask_b32_e32 v133, v133, v36, vcc_lo
	v_cmp_eq_u32_e32 vcc_lo, 3, v128
	v_cndmask_b32_e32 v133, v133, v37, vcc_lo
	v_cmp_eq_u32_e32 vcc_lo, 4, v128
	s_delay_alu instid0(VALU_DEP_2) | instskip(SKIP_1) | instid1(VALU_DEP_2)
	v_cndmask_b32_e32 v133, v133, v38, vcc_lo
	v_cmp_eq_u32_e32 vcc_lo, 5, v128
	;; [unrolled: 5-line block ×14, first 2 shown]
	v_cndmask_b32_e32 v133, v133, v63, vcc_lo
	v_cmp_eq_u32_e32 vcc_lo, 30, v128
	v_add_nc_u64_e32 v[128:129], 1, v[128:129]
	s_delay_alu instid0(VALU_DEP_3) | instskip(SKIP_2) | instid1(VALU_DEP_2)
	v_cndmask_b32_e32 v133, v133, v64, vcc_lo
	v_cmp_eq_u32_e32 vcc_lo, 0, v65
	s_wait_dscnt 0x0
	v_fmac_f32_e32 v132, v133, v134
	s_or_b32 s2, vcc_lo, s2
	s_delay_alu instid0(SALU_CYCLE_1)
	s_and_not1_b32 exec_lo, exec_lo, s2
	s_cbranch_execnz .LBB94_173
; %bb.174:
	s_or_b32 exec_lo, exec_lo, s2
.LBB94_175:
	s_delay_alu instid0(SALU_CYCLE_1)
	s_or_b32 exec_lo, exec_lo, s1
.LBB94_176:
	s_delay_alu instid0(SALU_CYCLE_1)
	s_or_b32 exec_lo, exec_lo, s5
	v_mov_b32_e32 v52, 0
	ds_load_b32 v52, v52 offset:72
	s_wait_dscnt 0x0
	v_mul_f32_e32 v52, v132, v52
.LBB94_177:
	s_or_b32 exec_lo, exec_lo, s4
	v_cmp_lt_u32_e64 s1, 17, v0
	ds_store_b32 v131, v51
	s_wait_dscnt 0x0
	s_barrier_signal -1
	s_barrier_wait -1
	s_and_saveexec_b32 s4, s1
	s_cbranch_execz .LBB94_193
; %bb.178:
	s_and_not1_b32 vcc_lo, exec_lo, s31
	s_cbranch_vccnz .LBB94_180
; %bb.179:
	v_cmp_eq_u32_e32 vcc_lo, 1, v0
	ds_load_b32 v129, v131
	v_cndmask_b32_e32 v128, v34, v35, vcc_lo
	v_cmp_eq_u32_e32 vcc_lo, 2, v0
	s_delay_alu instid0(VALU_DEP_2) | instskip(SKIP_1) | instid1(VALU_DEP_2)
	v_cndmask_b32_e32 v128, v128, v36, vcc_lo
	v_cmp_eq_u32_e32 vcc_lo, 3, v0
	v_cndmask_b32_e32 v128, v128, v37, vcc_lo
	v_cmp_eq_u32_e32 vcc_lo, 4, v0
	s_delay_alu instid0(VALU_DEP_2) | instskip(SKIP_1) | instid1(VALU_DEP_2)
	v_cndmask_b32_e32 v128, v128, v38, vcc_lo
	v_cmp_eq_u32_e32 vcc_lo, 5, v0
	;; [unrolled: 5-line block ×14, first 2 shown]
	v_cndmask_b32_e32 v128, v128, v63, vcc_lo
	v_cmp_eq_u32_e32 vcc_lo, 30, v0
	s_delay_alu instid0(VALU_DEP_2) | instskip(SKIP_1) | instid1(VALU_DEP_1)
	v_cndmask_b32_e32 v128, v128, v64, vcc_lo
	s_wait_dscnt 0x0
	v_mul_f32_e32 v132, v128, v129
	s_cbranch_execz .LBB94_181
	s_branch .LBB94_182
.LBB94_180:
                                        ; implicit-def: $vgpr132
.LBB94_181:
	ds_load_b32 v132, v131
.LBB94_182:
	s_and_saveexec_b32 s5, s0
	s_cbranch_execz .LBB94_192
; %bb.183:
	v_subrev_nc_u32_e32 v130, 19, v0
	v_mov_b32_e32 v128, 18
	v_subrev_nc_u32_e32 v129, 18, v0
	s_mov_b32 s0, exec_lo
	s_delay_alu instid0(VALU_DEP_3)
	v_cmpx_lt_u32_e32 6, v130
	s_cbranch_execz .LBB94_187
; %bb.184:
	s_delay_alu instid0(VALU_DEP_2) | instskip(SKIP_3) | instid1(VALU_DEP_1)
	v_and_b32_e32 v128, -8, v129
	s_mov_b32 s6, 0
	s_mov_b64 s[2:3], 25
	s_movk_i32 s7, 0xc8
	v_sub_nc_u32_e32 v130, 0, v128
.LBB94_185:                             ; =>This Inner Loop Header: Depth=1
	s_add_co_i32 m0, s2, -7
	v_movrels_b32_e32 v133, v34
	v_mov_b32_e32 v128, s7
	s_add_co_i32 m0, s2, -6
	s_add_co_i32 s7, s7, 32
	v_movrels_b32_e32 v142, v34
	s_add_co_i32 m0, s2, -5
	ds_load_2addr_b64 v[134:137], v128 offset1:1
	ds_load_2addr_b64 v[138:141], v128 offset0:2 offset1:3
	v_movrels_b32_e32 v128, v34
	s_add_co_i32 m0, s2, -4
	s_wait_dscnt 0x1
	v_fmac_f32_e32 v132, v133, v134
	v_movrels_b32_e32 v133, v34
	s_add_co_i32 m0, s2, -3
	s_delay_alu instid0(VALU_DEP_2) | instskip(NEXT) | instid1(VALU_DEP_1)
	v_fmac_f32_e32 v132, v142, v135
	v_fmac_f32_e32 v132, v128, v136
	v_movrels_b32_e32 v128, v34
	s_add_co_i32 m0, s2, -2
	s_delay_alu instid0(VALU_DEP_2) | instskip(SKIP_3) | instid1(VALU_DEP_2)
	v_fmac_f32_e32 v132, v133, v137
	v_movrels_b32_e32 v133, v34
	s_add_co_i32 m0, s2, -1
	s_wait_dscnt 0x0
	v_fmac_f32_e32 v132, v128, v138
	v_movrels_b32_e32 v128, v34
	s_mov_b32 m0, s2
	s_add_nc_u64 s[2:3], s[2:3], 8
	v_movrels_b32_e32 v134, v34
	v_dual_fmac_f32 v132, v133, v139 :: v_dual_add_nc_u32 v133, s2, v130
	s_add_co_i32 s8, s2, -7
	s_delay_alu instid0(VALU_DEP_1) | instskip(NEXT) | instid1(VALU_DEP_2)
	v_fmac_f32_e32 v132, v128, v140
	v_cmp_eq_u32_e32 vcc_lo, 25, v133
	s_delay_alu instid0(VALU_DEP_2) | instskip(SKIP_1) | instid1(SALU_CYCLE_1)
	v_dual_mov_b32 v128, s8 :: v_dual_fmac_f32 v132, v134, v141
	s_or_b32 s6, vcc_lo, s6
	s_and_not1_b32 exec_lo, exec_lo, s6
	s_cbranch_execnz .LBB94_185
; %bb.186:
	s_or_b32 exec_lo, exec_lo, s6
.LBB94_187:
	s_delay_alu instid0(SALU_CYCLE_1) | instskip(SKIP_3) | instid1(VALU_DEP_1)
	s_or_b32 exec_lo, exec_lo, s0
	v_and_b32_e32 v65, 7, v129
	s_mov_b32 s2, 0
	s_mov_b32 s0, exec_lo
	v_cmpx_ne_u32_e32 0, v65
	s_cbranch_execz .LBB94_191
; %bb.188:
	v_lshl_add_u32 v130, v128, 2, 0x80
	v_mov_b32_e32 v129, 0
.LBB94_189:                             ; =>This Inner Loop Header: Depth=1
	v_cmp_eq_u32_e32 vcc_lo, 1, v128
	ds_load_b32 v134, v130
	v_dual_add_nc_u32 v65, -1, v65 :: v_dual_add_nc_u32 v130, 4, v130
	v_cndmask_b32_e32 v133, v34, v35, vcc_lo
	v_cmp_eq_u32_e32 vcc_lo, 2, v128
	s_delay_alu instid0(VALU_DEP_2) | instskip(SKIP_1) | instid1(VALU_DEP_2)
	v_cndmask_b32_e32 v133, v133, v36, vcc_lo
	v_cmp_eq_u32_e32 vcc_lo, 3, v128
	v_cndmask_b32_e32 v133, v133, v37, vcc_lo
	v_cmp_eq_u32_e32 vcc_lo, 4, v128
	s_delay_alu instid0(VALU_DEP_2) | instskip(SKIP_1) | instid1(VALU_DEP_2)
	v_cndmask_b32_e32 v133, v133, v38, vcc_lo
	v_cmp_eq_u32_e32 vcc_lo, 5, v128
	;; [unrolled: 5-line block ×14, first 2 shown]
	v_cndmask_b32_e32 v133, v133, v63, vcc_lo
	v_cmp_eq_u32_e32 vcc_lo, 30, v128
	v_add_nc_u64_e32 v[128:129], 1, v[128:129]
	s_delay_alu instid0(VALU_DEP_3) | instskip(SKIP_2) | instid1(VALU_DEP_2)
	v_cndmask_b32_e32 v133, v133, v64, vcc_lo
	v_cmp_eq_u32_e32 vcc_lo, 0, v65
	s_wait_dscnt 0x0
	v_fmac_f32_e32 v132, v133, v134
	s_or_b32 s2, vcc_lo, s2
	s_delay_alu instid0(SALU_CYCLE_1)
	s_and_not1_b32 exec_lo, exec_lo, s2
	s_cbranch_execnz .LBB94_189
; %bb.190:
	s_or_b32 exec_lo, exec_lo, s2
.LBB94_191:
	s_delay_alu instid0(SALU_CYCLE_1)
	s_or_b32 exec_lo, exec_lo, s0
.LBB94_192:
	s_delay_alu instid0(SALU_CYCLE_1)
	s_or_b32 exec_lo, exec_lo, s5
	v_mov_b32_e32 v51, 0
	ds_load_b32 v51, v51 offset:68
	s_wait_dscnt 0x0
	v_mul_f32_e32 v51, v132, v51
.LBB94_193:
	s_or_b32 exec_lo, exec_lo, s4
	v_cmp_lt_u32_e64 s0, 16, v0
	ds_store_b32 v131, v50
	s_wait_dscnt 0x0
	s_barrier_signal -1
	s_barrier_wait -1
	s_and_saveexec_b32 s4, s0
	s_cbranch_execz .LBB94_209
; %bb.194:
	s_and_not1_b32 vcc_lo, exec_lo, s31
	s_cbranch_vccnz .LBB94_196
; %bb.195:
	v_cmp_eq_u32_e32 vcc_lo, 1, v0
	ds_load_b32 v129, v131
	v_cndmask_b32_e32 v128, v34, v35, vcc_lo
	v_cmp_eq_u32_e32 vcc_lo, 2, v0
	s_delay_alu instid0(VALU_DEP_2) | instskip(SKIP_1) | instid1(VALU_DEP_2)
	v_cndmask_b32_e32 v128, v128, v36, vcc_lo
	v_cmp_eq_u32_e32 vcc_lo, 3, v0
	v_cndmask_b32_e32 v128, v128, v37, vcc_lo
	v_cmp_eq_u32_e32 vcc_lo, 4, v0
	s_delay_alu instid0(VALU_DEP_2) | instskip(SKIP_1) | instid1(VALU_DEP_2)
	v_cndmask_b32_e32 v128, v128, v38, vcc_lo
	v_cmp_eq_u32_e32 vcc_lo, 5, v0
	;; [unrolled: 5-line block ×14, first 2 shown]
	v_cndmask_b32_e32 v128, v128, v63, vcc_lo
	v_cmp_eq_u32_e32 vcc_lo, 30, v0
	s_delay_alu instid0(VALU_DEP_2) | instskip(SKIP_1) | instid1(VALU_DEP_1)
	v_cndmask_b32_e32 v128, v128, v64, vcc_lo
	s_wait_dscnt 0x0
	v_mul_f32_e32 v132, v128, v129
	s_cbranch_execz .LBB94_197
	s_branch .LBB94_198
.LBB94_196:
                                        ; implicit-def: $vgpr132
.LBB94_197:
	ds_load_b32 v132, v131
.LBB94_198:
	s_and_saveexec_b32 s5, s1
	s_cbranch_execz .LBB94_208
; %bb.199:
	v_subrev_nc_u32_e32 v130, 18, v0
	v_mov_b32_e32 v128, 17
	v_subrev_nc_u32_e32 v129, 17, v0
	s_mov_b32 s1, exec_lo
	s_delay_alu instid0(VALU_DEP_3)
	v_cmpx_lt_u32_e32 6, v130
	s_cbranch_execz .LBB94_203
; %bb.200:
	s_delay_alu instid0(VALU_DEP_2) | instskip(SKIP_3) | instid1(VALU_DEP_1)
	v_and_b32_e32 v128, -8, v129
	s_mov_b32 s6, 0
	s_mov_b64 s[2:3], 24
	s_movk_i32 s7, 0xc4
	v_sub_nc_u32_e32 v130, 0, v128
.LBB94_201:                             ; =>This Inner Loop Header: Depth=1
	s_add_co_i32 m0, s2, -7
	v_movrels_b32_e32 v133, v34
	v_mov_b32_e32 v128, s7
	s_add_co_i32 m0, s2, -6
	s_add_co_i32 s7, s7, 32
	v_movrels_b32_e32 v142, v34
	ds_load_2addr_b32 v[134:135], v128 offset1:1
	ds_load_2addr_b32 v[136:137], v128 offset0:2 offset1:3
	s_add_co_i32 m0, s2, -5
	s_wait_dscnt 0x1
	v_fmac_f32_e32 v132, v133, v134
	ds_load_2addr_b32 v[138:139], v128 offset0:4 offset1:5
	ds_load_2addr_b32 v[140:141], v128 offset0:6 offset1:7
	v_movrels_b32_e32 v128, v34
	s_add_co_i32 m0, s2, -4
	v_fmac_f32_e32 v132, v142, v135
	v_movrels_b32_e32 v133, v34
	s_add_co_i32 m0, s2, -3
	s_wait_dscnt 0x2
	s_delay_alu instid0(VALU_DEP_2) | instskip(SKIP_2) | instid1(VALU_DEP_2)
	v_fmac_f32_e32 v132, v128, v136
	v_movrels_b32_e32 v128, v34
	s_add_co_i32 m0, s2, -2
	v_fmac_f32_e32 v132, v133, v137
	v_movrels_b32_e32 v133, v34
	s_add_co_i32 m0, s2, -1
	s_wait_dscnt 0x1
	s_delay_alu instid0(VALU_DEP_2)
	v_fmac_f32_e32 v132, v128, v138
	v_movrels_b32_e32 v128, v34
	s_mov_b32 m0, s2
	s_add_nc_u64 s[2:3], s[2:3], 8
	v_movrels_b32_e32 v134, v34
	v_dual_fmac_f32 v132, v133, v139 :: v_dual_add_nc_u32 v133, s2, v130
	s_add_co_i32 s8, s2, -7
	s_wait_dscnt 0x0
	s_delay_alu instid0(VALU_DEP_1) | instskip(NEXT) | instid1(VALU_DEP_2)
	v_fmac_f32_e32 v132, v128, v140
	v_cmp_eq_u32_e32 vcc_lo, 24, v133
	s_delay_alu instid0(VALU_DEP_2) | instskip(SKIP_1) | instid1(SALU_CYCLE_1)
	v_dual_mov_b32 v128, s8 :: v_dual_fmac_f32 v132, v134, v141
	s_or_b32 s6, vcc_lo, s6
	s_and_not1_b32 exec_lo, exec_lo, s6
	s_cbranch_execnz .LBB94_201
; %bb.202:
	s_or_b32 exec_lo, exec_lo, s6
.LBB94_203:
	s_delay_alu instid0(SALU_CYCLE_1) | instskip(SKIP_3) | instid1(VALU_DEP_1)
	s_or_b32 exec_lo, exec_lo, s1
	v_and_b32_e32 v65, 7, v129
	s_mov_b32 s2, 0
	s_mov_b32 s1, exec_lo
	v_cmpx_ne_u32_e32 0, v65
	s_cbranch_execz .LBB94_207
; %bb.204:
	v_lshl_add_u32 v130, v128, 2, 0x80
	v_mov_b32_e32 v129, 0
.LBB94_205:                             ; =>This Inner Loop Header: Depth=1
	v_cmp_eq_u32_e32 vcc_lo, 1, v128
	ds_load_b32 v134, v130
	v_dual_add_nc_u32 v65, -1, v65 :: v_dual_add_nc_u32 v130, 4, v130
	v_cndmask_b32_e32 v133, v34, v35, vcc_lo
	v_cmp_eq_u32_e32 vcc_lo, 2, v128
	s_delay_alu instid0(VALU_DEP_2) | instskip(SKIP_1) | instid1(VALU_DEP_2)
	v_cndmask_b32_e32 v133, v133, v36, vcc_lo
	v_cmp_eq_u32_e32 vcc_lo, 3, v128
	v_cndmask_b32_e32 v133, v133, v37, vcc_lo
	v_cmp_eq_u32_e32 vcc_lo, 4, v128
	s_delay_alu instid0(VALU_DEP_2) | instskip(SKIP_1) | instid1(VALU_DEP_2)
	v_cndmask_b32_e32 v133, v133, v38, vcc_lo
	v_cmp_eq_u32_e32 vcc_lo, 5, v128
	v_cndmask_b32_e32 v133, v133, v39, vcc_lo
	v_cmp_eq_u32_e32 vcc_lo, 6, v128
	s_delay_alu instid0(VALU_DEP_2) | instskip(SKIP_1) | instid1(VALU_DEP_2)
	v_cndmask_b32_e32 v133, v133, v40, vcc_lo
	v_cmp_eq_u32_e32 vcc_lo, 7, v128
	v_cndmask_b32_e32 v133, v133, v41, vcc_lo
	v_cmp_eq_u32_e32 vcc_lo, 8, v128
	s_delay_alu instid0(VALU_DEP_2) | instskip(SKIP_1) | instid1(VALU_DEP_2)
	v_cndmask_b32_e32 v133, v133, v42, vcc_lo
	v_cmp_eq_u32_e32 vcc_lo, 9, v128
	v_cndmask_b32_e32 v133, v133, v43, vcc_lo
	v_cmp_eq_u32_e32 vcc_lo, 10, v128
	s_delay_alu instid0(VALU_DEP_2) | instskip(SKIP_1) | instid1(VALU_DEP_2)
	v_cndmask_b32_e32 v133, v133, v44, vcc_lo
	v_cmp_eq_u32_e32 vcc_lo, 11, v128
	v_cndmask_b32_e32 v133, v133, v45, vcc_lo
	v_cmp_eq_u32_e32 vcc_lo, 12, v128
	s_delay_alu instid0(VALU_DEP_2) | instskip(SKIP_1) | instid1(VALU_DEP_2)
	v_cndmask_b32_e32 v133, v133, v46, vcc_lo
	v_cmp_eq_u32_e32 vcc_lo, 13, v128
	v_cndmask_b32_e32 v133, v133, v47, vcc_lo
	v_cmp_eq_u32_e32 vcc_lo, 14, v128
	s_delay_alu instid0(VALU_DEP_2) | instskip(SKIP_1) | instid1(VALU_DEP_2)
	v_cndmask_b32_e32 v133, v133, v48, vcc_lo
	v_cmp_eq_u32_e32 vcc_lo, 15, v128
	v_cndmask_b32_e32 v133, v133, v49, vcc_lo
	v_cmp_eq_u32_e32 vcc_lo, 16, v128
	s_delay_alu instid0(VALU_DEP_2) | instskip(SKIP_1) | instid1(VALU_DEP_2)
	v_cndmask_b32_e32 v133, v133, v50, vcc_lo
	v_cmp_eq_u32_e32 vcc_lo, 17, v128
	v_cndmask_b32_e32 v133, v133, v51, vcc_lo
	v_cmp_eq_u32_e32 vcc_lo, 18, v128
	s_delay_alu instid0(VALU_DEP_2) | instskip(SKIP_1) | instid1(VALU_DEP_2)
	v_cndmask_b32_e32 v133, v133, v52, vcc_lo
	v_cmp_eq_u32_e32 vcc_lo, 19, v128
	v_cndmask_b32_e32 v133, v133, v53, vcc_lo
	v_cmp_eq_u32_e32 vcc_lo, 20, v128
	s_delay_alu instid0(VALU_DEP_2) | instskip(SKIP_1) | instid1(VALU_DEP_2)
	v_cndmask_b32_e32 v133, v133, v54, vcc_lo
	v_cmp_eq_u32_e32 vcc_lo, 21, v128
	v_cndmask_b32_e32 v133, v133, v55, vcc_lo
	v_cmp_eq_u32_e32 vcc_lo, 22, v128
	s_delay_alu instid0(VALU_DEP_2) | instskip(SKIP_1) | instid1(VALU_DEP_2)
	v_cndmask_b32_e32 v133, v133, v56, vcc_lo
	v_cmp_eq_u32_e32 vcc_lo, 23, v128
	v_cndmask_b32_e32 v133, v133, v57, vcc_lo
	v_cmp_eq_u32_e32 vcc_lo, 24, v128
	s_delay_alu instid0(VALU_DEP_2) | instskip(SKIP_1) | instid1(VALU_DEP_2)
	v_cndmask_b32_e32 v133, v133, v58, vcc_lo
	v_cmp_eq_u32_e32 vcc_lo, 25, v128
	v_cndmask_b32_e32 v133, v133, v59, vcc_lo
	v_cmp_eq_u32_e32 vcc_lo, 26, v128
	s_delay_alu instid0(VALU_DEP_2) | instskip(SKIP_1) | instid1(VALU_DEP_2)
	v_cndmask_b32_e32 v133, v133, v60, vcc_lo
	v_cmp_eq_u32_e32 vcc_lo, 27, v128
	v_cndmask_b32_e32 v133, v133, v61, vcc_lo
	v_cmp_eq_u32_e32 vcc_lo, 28, v128
	s_delay_alu instid0(VALU_DEP_2) | instskip(SKIP_1) | instid1(VALU_DEP_2)
	v_cndmask_b32_e32 v133, v133, v62, vcc_lo
	v_cmp_eq_u32_e32 vcc_lo, 29, v128
	v_cndmask_b32_e32 v133, v133, v63, vcc_lo
	v_cmp_eq_u32_e32 vcc_lo, 30, v128
	v_add_nc_u64_e32 v[128:129], 1, v[128:129]
	s_delay_alu instid0(VALU_DEP_3) | instskip(SKIP_2) | instid1(VALU_DEP_2)
	v_cndmask_b32_e32 v133, v133, v64, vcc_lo
	v_cmp_eq_u32_e32 vcc_lo, 0, v65
	s_wait_dscnt 0x0
	v_fmac_f32_e32 v132, v133, v134
	s_or_b32 s2, vcc_lo, s2
	s_delay_alu instid0(SALU_CYCLE_1)
	s_and_not1_b32 exec_lo, exec_lo, s2
	s_cbranch_execnz .LBB94_205
; %bb.206:
	s_or_b32 exec_lo, exec_lo, s2
.LBB94_207:
	s_delay_alu instid0(SALU_CYCLE_1)
	s_or_b32 exec_lo, exec_lo, s1
.LBB94_208:
	s_delay_alu instid0(SALU_CYCLE_1)
	s_or_b32 exec_lo, exec_lo, s5
	v_mov_b32_e32 v50, 0
	ds_load_b32 v50, v50 offset:64
	s_wait_dscnt 0x0
	v_mul_f32_e32 v50, v132, v50
.LBB94_209:
	s_or_b32 exec_lo, exec_lo, s4
	v_cmp_lt_u32_e64 s1, 15, v0
	ds_store_b32 v131, v49
	s_wait_dscnt 0x0
	s_barrier_signal -1
	s_barrier_wait -1
	s_and_saveexec_b32 s4, s1
	s_cbranch_execz .LBB94_225
; %bb.210:
	s_and_not1_b32 vcc_lo, exec_lo, s31
	s_cbranch_vccnz .LBB94_212
; %bb.211:
	v_cmp_eq_u32_e32 vcc_lo, 1, v0
	ds_load_b32 v129, v131
	v_cndmask_b32_e32 v128, v34, v35, vcc_lo
	v_cmp_eq_u32_e32 vcc_lo, 2, v0
	s_delay_alu instid0(VALU_DEP_2) | instskip(SKIP_1) | instid1(VALU_DEP_2)
	v_cndmask_b32_e32 v128, v128, v36, vcc_lo
	v_cmp_eq_u32_e32 vcc_lo, 3, v0
	v_cndmask_b32_e32 v128, v128, v37, vcc_lo
	v_cmp_eq_u32_e32 vcc_lo, 4, v0
	s_delay_alu instid0(VALU_DEP_2) | instskip(SKIP_1) | instid1(VALU_DEP_2)
	v_cndmask_b32_e32 v128, v128, v38, vcc_lo
	v_cmp_eq_u32_e32 vcc_lo, 5, v0
	;; [unrolled: 5-line block ×14, first 2 shown]
	v_cndmask_b32_e32 v128, v128, v63, vcc_lo
	v_cmp_eq_u32_e32 vcc_lo, 30, v0
	s_delay_alu instid0(VALU_DEP_2) | instskip(SKIP_1) | instid1(VALU_DEP_1)
	v_cndmask_b32_e32 v128, v128, v64, vcc_lo
	s_wait_dscnt 0x0
	v_mul_f32_e32 v132, v128, v129
	s_cbranch_execz .LBB94_213
	s_branch .LBB94_214
.LBB94_212:
                                        ; implicit-def: $vgpr132
.LBB94_213:
	ds_load_b32 v132, v131
.LBB94_214:
	s_and_saveexec_b32 s5, s0
	s_cbranch_execz .LBB94_224
; %bb.215:
	v_subrev_nc_u32_e32 v128, 17, v0
	s_delay_alu instid0(VALU_DEP_1)
	v_cmp_lt_u32_e32 vcc_lo, 6, v128
	v_mov_b32_e32 v128, 16
	s_and_saveexec_b32 s0, vcc_lo
	s_cbranch_execz .LBB94_219
; %bb.216:
	v_and_b32_e32 v128, 24, v0
	s_mov_b32 s6, 0
	s_mov_b64 s[2:3], 23
	s_movk_i32 s7, 0xc0
	s_delay_alu instid0(VALU_DEP_1)
	v_sub_nc_u32_e32 v130, 0, v128
.LBB94_217:                             ; =>This Inner Loop Header: Depth=1
	s_add_co_i32 m0, s2, -7
	v_movrels_b32_e32 v129, v34
	v_mov_b32_e32 v128, s7
	s_add_co_i32 m0, s2, -6
	s_add_co_i32 s7, s7, 32
	v_movrels_b32_e32 v133, v34
	s_add_co_i32 m0, s2, -5
	ds_load_b128 v[134:137], v128
	ds_load_b128 v[138:141], v128 offset:16
	v_movrels_b32_e32 v128, v34
	s_add_co_i32 m0, s2, -4
	s_wait_dscnt 0x1
	v_fmac_f32_e32 v132, v129, v134
	v_movrels_b32_e32 v129, v34
	s_add_co_i32 m0, s2, -3
	s_delay_alu instid0(VALU_DEP_2) | instskip(NEXT) | instid1(VALU_DEP_1)
	v_fmac_f32_e32 v132, v133, v135
	v_fmac_f32_e32 v132, v128, v136
	v_movrels_b32_e32 v128, v34
	s_add_co_i32 m0, s2, -2
	s_delay_alu instid0(VALU_DEP_2) | instskip(SKIP_3) | instid1(VALU_DEP_2)
	v_fmac_f32_e32 v132, v129, v137
	v_movrels_b32_e32 v129, v34
	s_add_co_i32 m0, s2, -1
	s_wait_dscnt 0x0
	v_fmac_f32_e32 v132, v128, v138
	v_movrels_b32_e32 v128, v34
	s_mov_b32 m0, s2
	s_add_nc_u64 s[2:3], s[2:3], 8
	v_movrels_b32_e32 v133, v34
	v_dual_fmac_f32 v132, v129, v139 :: v_dual_add_nc_u32 v129, s2, v130
	s_add_co_i32 s8, s2, -7
	s_delay_alu instid0(VALU_DEP_1) | instskip(NEXT) | instid1(VALU_DEP_2)
	v_fmac_f32_e32 v132, v128, v140
	v_cmp_eq_u32_e32 vcc_lo, 7, v129
	s_delay_alu instid0(VALU_DEP_2) | instskip(SKIP_1) | instid1(SALU_CYCLE_1)
	v_dual_mov_b32 v128, s8 :: v_dual_fmac_f32 v132, v133, v141
	s_or_b32 s6, vcc_lo, s6
	s_and_not1_b32 exec_lo, exec_lo, s6
	s_cbranch_execnz .LBB94_217
; %bb.218:
	s_or_b32 exec_lo, exec_lo, s6
.LBB94_219:
	s_delay_alu instid0(SALU_CYCLE_1) | instskip(SKIP_3) | instid1(VALU_DEP_1)
	s_or_b32 exec_lo, exec_lo, s0
	v_and_b32_e32 v65, 7, v0
	s_mov_b32 s2, 0
	s_mov_b32 s0, exec_lo
	v_cmpx_ne_u32_e32 0, v65
	s_cbranch_execz .LBB94_223
; %bb.220:
	v_lshl_add_u32 v130, v128, 2, 0x80
	v_mov_b32_e32 v129, 0
.LBB94_221:                             ; =>This Inner Loop Header: Depth=1
	v_cmp_eq_u32_e32 vcc_lo, 1, v128
	ds_load_b32 v134, v130
	v_dual_add_nc_u32 v65, -1, v65 :: v_dual_add_nc_u32 v130, 4, v130
	v_cndmask_b32_e32 v133, v34, v35, vcc_lo
	v_cmp_eq_u32_e32 vcc_lo, 2, v128
	s_delay_alu instid0(VALU_DEP_2) | instskip(SKIP_1) | instid1(VALU_DEP_2)
	v_cndmask_b32_e32 v133, v133, v36, vcc_lo
	v_cmp_eq_u32_e32 vcc_lo, 3, v128
	v_cndmask_b32_e32 v133, v133, v37, vcc_lo
	v_cmp_eq_u32_e32 vcc_lo, 4, v128
	s_delay_alu instid0(VALU_DEP_2) | instskip(SKIP_1) | instid1(VALU_DEP_2)
	v_cndmask_b32_e32 v133, v133, v38, vcc_lo
	v_cmp_eq_u32_e32 vcc_lo, 5, v128
	;; [unrolled: 5-line block ×14, first 2 shown]
	v_cndmask_b32_e32 v133, v133, v63, vcc_lo
	v_cmp_eq_u32_e32 vcc_lo, 30, v128
	v_add_nc_u64_e32 v[128:129], 1, v[128:129]
	s_delay_alu instid0(VALU_DEP_3) | instskip(SKIP_2) | instid1(VALU_DEP_2)
	v_cndmask_b32_e32 v133, v133, v64, vcc_lo
	v_cmp_eq_u32_e32 vcc_lo, 0, v65
	s_wait_dscnt 0x0
	v_fmac_f32_e32 v132, v133, v134
	s_or_b32 s2, vcc_lo, s2
	s_delay_alu instid0(SALU_CYCLE_1)
	s_and_not1_b32 exec_lo, exec_lo, s2
	s_cbranch_execnz .LBB94_221
; %bb.222:
	s_or_b32 exec_lo, exec_lo, s2
.LBB94_223:
	s_delay_alu instid0(SALU_CYCLE_1)
	s_or_b32 exec_lo, exec_lo, s0
.LBB94_224:
	s_delay_alu instid0(SALU_CYCLE_1)
	s_or_b32 exec_lo, exec_lo, s5
	v_mov_b32_e32 v49, 0
	ds_load_b32 v49, v49 offset:60
	s_wait_dscnt 0x0
	v_mul_f32_e32 v49, v132, v49
.LBB94_225:
	s_or_b32 exec_lo, exec_lo, s4
	v_cmp_lt_u32_e64 s0, 14, v0
	ds_store_b32 v131, v48
	s_wait_dscnt 0x0
	s_barrier_signal -1
	s_barrier_wait -1
	s_and_saveexec_b32 s4, s0
	s_cbranch_execz .LBB94_241
; %bb.226:
	s_and_not1_b32 vcc_lo, exec_lo, s31
	s_cbranch_vccnz .LBB94_228
; %bb.227:
	v_cmp_eq_u32_e32 vcc_lo, 1, v0
	ds_load_b32 v129, v131
	v_cndmask_b32_e32 v128, v34, v35, vcc_lo
	v_cmp_eq_u32_e32 vcc_lo, 2, v0
	s_delay_alu instid0(VALU_DEP_2) | instskip(SKIP_1) | instid1(VALU_DEP_2)
	v_cndmask_b32_e32 v128, v128, v36, vcc_lo
	v_cmp_eq_u32_e32 vcc_lo, 3, v0
	v_cndmask_b32_e32 v128, v128, v37, vcc_lo
	v_cmp_eq_u32_e32 vcc_lo, 4, v0
	s_delay_alu instid0(VALU_DEP_2) | instskip(SKIP_1) | instid1(VALU_DEP_2)
	v_cndmask_b32_e32 v128, v128, v38, vcc_lo
	v_cmp_eq_u32_e32 vcc_lo, 5, v0
	;; [unrolled: 5-line block ×14, first 2 shown]
	v_cndmask_b32_e32 v128, v128, v63, vcc_lo
	v_cmp_eq_u32_e32 vcc_lo, 30, v0
	s_delay_alu instid0(VALU_DEP_2) | instskip(SKIP_1) | instid1(VALU_DEP_1)
	v_cndmask_b32_e32 v128, v128, v64, vcc_lo
	s_wait_dscnt 0x0
	v_mul_f32_e32 v132, v128, v129
	s_cbranch_execz .LBB94_229
	s_branch .LBB94_230
.LBB94_228:
                                        ; implicit-def: $vgpr132
.LBB94_229:
	ds_load_b32 v132, v131
.LBB94_230:
	s_and_saveexec_b32 s5, s1
	s_cbranch_execz .LBB94_240
; %bb.231:
	v_dual_add_nc_u32 v128, -16, v0 :: v_dual_add_nc_u32 v129, -15, v0
	s_delay_alu instid0(VALU_DEP_1)
	v_cmp_lt_u32_e32 vcc_lo, 6, v128
	v_mov_b32_e32 v128, 15
	s_and_saveexec_b32 s1, vcc_lo
	s_cbranch_execz .LBB94_235
; %bb.232:
	v_and_b32_e32 v128, -8, v129
	s_mov_b32 s6, 0
	s_mov_b64 s[2:3], 22
	s_movk_i32 s7, 0xbc
	s_delay_alu instid0(VALU_DEP_1)
	v_sub_nc_u32_e32 v130, 0, v128
.LBB94_233:                             ; =>This Inner Loop Header: Depth=1
	s_add_co_i32 m0, s2, -7
	v_movrels_b32_e32 v133, v34
	v_mov_b32_e32 v128, s7
	s_add_co_i32 m0, s2, -6
	s_add_co_i32 s7, s7, 32
	v_movrels_b32_e32 v142, v34
	ds_load_2addr_b32 v[134:135], v128 offset1:1
	ds_load_2addr_b32 v[136:137], v128 offset0:2 offset1:3
	s_add_co_i32 m0, s2, -5
	s_wait_dscnt 0x1
	v_fmac_f32_e32 v132, v133, v134
	ds_load_2addr_b32 v[138:139], v128 offset0:4 offset1:5
	ds_load_2addr_b32 v[140:141], v128 offset0:6 offset1:7
	v_movrels_b32_e32 v128, v34
	s_add_co_i32 m0, s2, -4
	v_fmac_f32_e32 v132, v142, v135
	v_movrels_b32_e32 v133, v34
	s_add_co_i32 m0, s2, -3
	s_wait_dscnt 0x2
	s_delay_alu instid0(VALU_DEP_2) | instskip(SKIP_2) | instid1(VALU_DEP_2)
	v_fmac_f32_e32 v132, v128, v136
	v_movrels_b32_e32 v128, v34
	s_add_co_i32 m0, s2, -2
	v_fmac_f32_e32 v132, v133, v137
	v_movrels_b32_e32 v133, v34
	s_add_co_i32 m0, s2, -1
	s_wait_dscnt 0x1
	s_delay_alu instid0(VALU_DEP_2)
	v_fmac_f32_e32 v132, v128, v138
	v_movrels_b32_e32 v128, v34
	s_mov_b32 m0, s2
	s_add_nc_u64 s[2:3], s[2:3], 8
	v_movrels_b32_e32 v134, v34
	v_dual_fmac_f32 v132, v133, v139 :: v_dual_add_nc_u32 v133, s2, v130
	s_add_co_i32 s8, s2, -7
	s_wait_dscnt 0x0
	s_delay_alu instid0(VALU_DEP_1) | instskip(NEXT) | instid1(VALU_DEP_2)
	v_fmac_f32_e32 v132, v128, v140
	v_cmp_eq_u32_e32 vcc_lo, 22, v133
	s_delay_alu instid0(VALU_DEP_2) | instskip(SKIP_1) | instid1(SALU_CYCLE_1)
	v_dual_mov_b32 v128, s8 :: v_dual_fmac_f32 v132, v134, v141
	s_or_b32 s6, vcc_lo, s6
	s_and_not1_b32 exec_lo, exec_lo, s6
	s_cbranch_execnz .LBB94_233
; %bb.234:
	s_or_b32 exec_lo, exec_lo, s6
.LBB94_235:
	s_delay_alu instid0(SALU_CYCLE_1) | instskip(SKIP_3) | instid1(VALU_DEP_1)
	s_or_b32 exec_lo, exec_lo, s1
	v_and_b32_e32 v65, 7, v129
	s_mov_b32 s2, 0
	s_mov_b32 s1, exec_lo
	v_cmpx_ne_u32_e32 0, v65
	s_cbranch_execz .LBB94_239
; %bb.236:
	v_lshl_add_u32 v130, v128, 2, 0x80
	v_mov_b32_e32 v129, 0
.LBB94_237:                             ; =>This Inner Loop Header: Depth=1
	v_cmp_eq_u32_e32 vcc_lo, 1, v128
	ds_load_b32 v134, v130
	v_dual_add_nc_u32 v65, -1, v65 :: v_dual_add_nc_u32 v130, 4, v130
	v_cndmask_b32_e32 v133, v34, v35, vcc_lo
	v_cmp_eq_u32_e32 vcc_lo, 2, v128
	s_delay_alu instid0(VALU_DEP_2) | instskip(SKIP_1) | instid1(VALU_DEP_2)
	v_cndmask_b32_e32 v133, v133, v36, vcc_lo
	v_cmp_eq_u32_e32 vcc_lo, 3, v128
	v_cndmask_b32_e32 v133, v133, v37, vcc_lo
	v_cmp_eq_u32_e32 vcc_lo, 4, v128
	s_delay_alu instid0(VALU_DEP_2) | instskip(SKIP_1) | instid1(VALU_DEP_2)
	v_cndmask_b32_e32 v133, v133, v38, vcc_lo
	v_cmp_eq_u32_e32 vcc_lo, 5, v128
	;; [unrolled: 5-line block ×14, first 2 shown]
	v_cndmask_b32_e32 v133, v133, v63, vcc_lo
	v_cmp_eq_u32_e32 vcc_lo, 30, v128
	v_add_nc_u64_e32 v[128:129], 1, v[128:129]
	s_delay_alu instid0(VALU_DEP_3) | instskip(SKIP_2) | instid1(VALU_DEP_2)
	v_cndmask_b32_e32 v133, v133, v64, vcc_lo
	v_cmp_eq_u32_e32 vcc_lo, 0, v65
	s_wait_dscnt 0x0
	v_fmac_f32_e32 v132, v133, v134
	s_or_b32 s2, vcc_lo, s2
	s_delay_alu instid0(SALU_CYCLE_1)
	s_and_not1_b32 exec_lo, exec_lo, s2
	s_cbranch_execnz .LBB94_237
; %bb.238:
	s_or_b32 exec_lo, exec_lo, s2
.LBB94_239:
	s_delay_alu instid0(SALU_CYCLE_1)
	s_or_b32 exec_lo, exec_lo, s1
.LBB94_240:
	s_delay_alu instid0(SALU_CYCLE_1)
	s_or_b32 exec_lo, exec_lo, s5
	v_mov_b32_e32 v48, 0
	ds_load_b32 v48, v48 offset:56
	s_wait_dscnt 0x0
	v_mul_f32_e32 v48, v132, v48
.LBB94_241:
	s_or_b32 exec_lo, exec_lo, s4
	v_cmp_lt_u32_e64 s1, 13, v0
	ds_store_b32 v131, v47
	s_wait_dscnt 0x0
	s_barrier_signal -1
	s_barrier_wait -1
	s_and_saveexec_b32 s4, s1
	s_cbranch_execz .LBB94_257
; %bb.242:
	s_and_not1_b32 vcc_lo, exec_lo, s31
	s_cbranch_vccnz .LBB94_244
; %bb.243:
	v_cmp_eq_u32_e32 vcc_lo, 1, v0
	ds_load_b32 v129, v131
	v_cndmask_b32_e32 v128, v34, v35, vcc_lo
	v_cmp_eq_u32_e32 vcc_lo, 2, v0
	s_delay_alu instid0(VALU_DEP_2) | instskip(SKIP_1) | instid1(VALU_DEP_2)
	v_cndmask_b32_e32 v128, v128, v36, vcc_lo
	v_cmp_eq_u32_e32 vcc_lo, 3, v0
	v_cndmask_b32_e32 v128, v128, v37, vcc_lo
	v_cmp_eq_u32_e32 vcc_lo, 4, v0
	s_delay_alu instid0(VALU_DEP_2) | instskip(SKIP_1) | instid1(VALU_DEP_2)
	v_cndmask_b32_e32 v128, v128, v38, vcc_lo
	v_cmp_eq_u32_e32 vcc_lo, 5, v0
	;; [unrolled: 5-line block ×14, first 2 shown]
	v_cndmask_b32_e32 v128, v128, v63, vcc_lo
	v_cmp_eq_u32_e32 vcc_lo, 30, v0
	s_delay_alu instid0(VALU_DEP_2) | instskip(SKIP_1) | instid1(VALU_DEP_1)
	v_cndmask_b32_e32 v128, v128, v64, vcc_lo
	s_wait_dscnt 0x0
	v_mul_f32_e32 v132, v128, v129
	s_cbranch_execz .LBB94_245
	s_branch .LBB94_246
.LBB94_244:
                                        ; implicit-def: $vgpr132
.LBB94_245:
	ds_load_b32 v132, v131
.LBB94_246:
	s_and_saveexec_b32 s5, s0
	s_cbranch_execz .LBB94_256
; %bb.247:
	v_dual_add_nc_u32 v128, -15, v0 :: v_dual_add_nc_u32 v129, -14, v0
	s_delay_alu instid0(VALU_DEP_1)
	v_cmp_lt_u32_e32 vcc_lo, 6, v128
	v_mov_b32_e32 v128, 14
	s_and_saveexec_b32 s0, vcc_lo
	s_cbranch_execz .LBB94_251
; %bb.248:
	v_and_b32_e32 v128, -8, v129
	s_mov_b32 s6, 0
	s_mov_b64 s[2:3], 21
	s_movk_i32 s7, 0xb8
	s_delay_alu instid0(VALU_DEP_1)
	v_sub_nc_u32_e32 v130, 0, v128
.LBB94_249:                             ; =>This Inner Loop Header: Depth=1
	s_add_co_i32 m0, s2, -7
	v_movrels_b32_e32 v133, v34
	v_mov_b32_e32 v128, s7
	s_add_co_i32 m0, s2, -6
	s_add_co_i32 s7, s7, 32
	v_movrels_b32_e32 v142, v34
	s_add_co_i32 m0, s2, -5
	ds_load_2addr_b64 v[134:137], v128 offset1:1
	ds_load_2addr_b64 v[138:141], v128 offset0:2 offset1:3
	v_movrels_b32_e32 v128, v34
	s_add_co_i32 m0, s2, -4
	s_wait_dscnt 0x1
	v_fmac_f32_e32 v132, v133, v134
	v_movrels_b32_e32 v133, v34
	s_add_co_i32 m0, s2, -3
	s_delay_alu instid0(VALU_DEP_2) | instskip(NEXT) | instid1(VALU_DEP_1)
	v_fmac_f32_e32 v132, v142, v135
	v_fmac_f32_e32 v132, v128, v136
	v_movrels_b32_e32 v128, v34
	s_add_co_i32 m0, s2, -2
	s_delay_alu instid0(VALU_DEP_2) | instskip(SKIP_3) | instid1(VALU_DEP_2)
	v_fmac_f32_e32 v132, v133, v137
	v_movrels_b32_e32 v133, v34
	s_add_co_i32 m0, s2, -1
	s_wait_dscnt 0x0
	v_fmac_f32_e32 v132, v128, v138
	v_movrels_b32_e32 v128, v34
	s_mov_b32 m0, s2
	s_add_nc_u64 s[2:3], s[2:3], 8
	v_movrels_b32_e32 v134, v34
	v_dual_fmac_f32 v132, v133, v139 :: v_dual_add_nc_u32 v133, s2, v130
	s_add_co_i32 s8, s2, -7
	s_delay_alu instid0(VALU_DEP_1) | instskip(NEXT) | instid1(VALU_DEP_2)
	v_fmac_f32_e32 v132, v128, v140
	v_cmp_eq_u32_e32 vcc_lo, 21, v133
	s_delay_alu instid0(VALU_DEP_2) | instskip(SKIP_1) | instid1(SALU_CYCLE_1)
	v_dual_mov_b32 v128, s8 :: v_dual_fmac_f32 v132, v134, v141
	s_or_b32 s6, vcc_lo, s6
	s_and_not1_b32 exec_lo, exec_lo, s6
	s_cbranch_execnz .LBB94_249
; %bb.250:
	s_or_b32 exec_lo, exec_lo, s6
.LBB94_251:
	s_delay_alu instid0(SALU_CYCLE_1) | instskip(SKIP_3) | instid1(VALU_DEP_1)
	s_or_b32 exec_lo, exec_lo, s0
	v_and_b32_e32 v65, 7, v129
	s_mov_b32 s2, 0
	s_mov_b32 s0, exec_lo
	v_cmpx_ne_u32_e32 0, v65
	s_cbranch_execz .LBB94_255
; %bb.252:
	v_lshl_add_u32 v130, v128, 2, 0x80
	v_mov_b32_e32 v129, 0
.LBB94_253:                             ; =>This Inner Loop Header: Depth=1
	v_cmp_eq_u32_e32 vcc_lo, 1, v128
	ds_load_b32 v134, v130
	v_dual_add_nc_u32 v65, -1, v65 :: v_dual_add_nc_u32 v130, 4, v130
	v_cndmask_b32_e32 v133, v34, v35, vcc_lo
	v_cmp_eq_u32_e32 vcc_lo, 2, v128
	s_delay_alu instid0(VALU_DEP_2) | instskip(SKIP_1) | instid1(VALU_DEP_2)
	v_cndmask_b32_e32 v133, v133, v36, vcc_lo
	v_cmp_eq_u32_e32 vcc_lo, 3, v128
	v_cndmask_b32_e32 v133, v133, v37, vcc_lo
	v_cmp_eq_u32_e32 vcc_lo, 4, v128
	s_delay_alu instid0(VALU_DEP_2) | instskip(SKIP_1) | instid1(VALU_DEP_2)
	v_cndmask_b32_e32 v133, v133, v38, vcc_lo
	v_cmp_eq_u32_e32 vcc_lo, 5, v128
	;; [unrolled: 5-line block ×14, first 2 shown]
	v_cndmask_b32_e32 v133, v133, v63, vcc_lo
	v_cmp_eq_u32_e32 vcc_lo, 30, v128
	v_add_nc_u64_e32 v[128:129], 1, v[128:129]
	s_delay_alu instid0(VALU_DEP_3) | instskip(SKIP_2) | instid1(VALU_DEP_2)
	v_cndmask_b32_e32 v133, v133, v64, vcc_lo
	v_cmp_eq_u32_e32 vcc_lo, 0, v65
	s_wait_dscnt 0x0
	v_fmac_f32_e32 v132, v133, v134
	s_or_b32 s2, vcc_lo, s2
	s_delay_alu instid0(SALU_CYCLE_1)
	s_and_not1_b32 exec_lo, exec_lo, s2
	s_cbranch_execnz .LBB94_253
; %bb.254:
	s_or_b32 exec_lo, exec_lo, s2
.LBB94_255:
	s_delay_alu instid0(SALU_CYCLE_1)
	s_or_b32 exec_lo, exec_lo, s0
.LBB94_256:
	s_delay_alu instid0(SALU_CYCLE_1)
	s_or_b32 exec_lo, exec_lo, s5
	v_mov_b32_e32 v47, 0
	ds_load_b32 v47, v47 offset:52
	s_wait_dscnt 0x0
	v_mul_f32_e32 v47, v132, v47
.LBB94_257:
	s_or_b32 exec_lo, exec_lo, s4
	v_cmp_lt_u32_e64 s0, 12, v0
	ds_store_b32 v131, v46
	s_wait_dscnt 0x0
	s_barrier_signal -1
	s_barrier_wait -1
	s_and_saveexec_b32 s4, s0
	s_cbranch_execz .LBB94_273
; %bb.258:
	s_and_not1_b32 vcc_lo, exec_lo, s31
	s_cbranch_vccnz .LBB94_260
; %bb.259:
	v_cmp_eq_u32_e32 vcc_lo, 1, v0
	ds_load_b32 v129, v131
	v_cndmask_b32_e32 v128, v34, v35, vcc_lo
	v_cmp_eq_u32_e32 vcc_lo, 2, v0
	s_delay_alu instid0(VALU_DEP_2) | instskip(SKIP_1) | instid1(VALU_DEP_2)
	v_cndmask_b32_e32 v128, v128, v36, vcc_lo
	v_cmp_eq_u32_e32 vcc_lo, 3, v0
	v_cndmask_b32_e32 v128, v128, v37, vcc_lo
	v_cmp_eq_u32_e32 vcc_lo, 4, v0
	s_delay_alu instid0(VALU_DEP_2) | instskip(SKIP_1) | instid1(VALU_DEP_2)
	v_cndmask_b32_e32 v128, v128, v38, vcc_lo
	v_cmp_eq_u32_e32 vcc_lo, 5, v0
	;; [unrolled: 5-line block ×14, first 2 shown]
	v_cndmask_b32_e32 v128, v128, v63, vcc_lo
	v_cmp_eq_u32_e32 vcc_lo, 30, v0
	s_delay_alu instid0(VALU_DEP_2) | instskip(SKIP_1) | instid1(VALU_DEP_1)
	v_cndmask_b32_e32 v128, v128, v64, vcc_lo
	s_wait_dscnt 0x0
	v_mul_f32_e32 v132, v128, v129
	s_cbranch_execz .LBB94_261
	s_branch .LBB94_262
.LBB94_260:
                                        ; implicit-def: $vgpr132
.LBB94_261:
	ds_load_b32 v132, v131
.LBB94_262:
	s_and_saveexec_b32 s5, s1
	s_cbranch_execz .LBB94_272
; %bb.263:
	v_dual_add_nc_u32 v128, -14, v0 :: v_dual_add_nc_u32 v129, -13, v0
	s_delay_alu instid0(VALU_DEP_1)
	v_cmp_lt_u32_e32 vcc_lo, 6, v128
	v_mov_b32_e32 v128, 13
	s_and_saveexec_b32 s1, vcc_lo
	s_cbranch_execz .LBB94_267
; %bb.264:
	v_and_b32_e32 v128, -8, v129
	s_mov_b32 s6, 0
	s_mov_b64 s[2:3], 20
	s_movk_i32 s7, 0xb4
	s_delay_alu instid0(VALU_DEP_1)
	v_sub_nc_u32_e32 v130, 0, v128
.LBB94_265:                             ; =>This Inner Loop Header: Depth=1
	s_add_co_i32 m0, s2, -7
	v_movrels_b32_e32 v133, v34
	v_mov_b32_e32 v128, s7
	s_add_co_i32 m0, s2, -6
	s_add_co_i32 s7, s7, 32
	v_movrels_b32_e32 v142, v34
	ds_load_2addr_b32 v[134:135], v128 offset1:1
	ds_load_2addr_b32 v[136:137], v128 offset0:2 offset1:3
	s_add_co_i32 m0, s2, -5
	s_wait_dscnt 0x1
	v_fmac_f32_e32 v132, v133, v134
	ds_load_2addr_b32 v[138:139], v128 offset0:4 offset1:5
	ds_load_2addr_b32 v[140:141], v128 offset0:6 offset1:7
	v_movrels_b32_e32 v128, v34
	s_add_co_i32 m0, s2, -4
	v_fmac_f32_e32 v132, v142, v135
	v_movrels_b32_e32 v133, v34
	s_add_co_i32 m0, s2, -3
	s_wait_dscnt 0x2
	s_delay_alu instid0(VALU_DEP_2) | instskip(SKIP_2) | instid1(VALU_DEP_2)
	v_fmac_f32_e32 v132, v128, v136
	v_movrels_b32_e32 v128, v34
	s_add_co_i32 m0, s2, -2
	v_fmac_f32_e32 v132, v133, v137
	v_movrels_b32_e32 v133, v34
	s_add_co_i32 m0, s2, -1
	s_wait_dscnt 0x1
	s_delay_alu instid0(VALU_DEP_2)
	v_fmac_f32_e32 v132, v128, v138
	v_movrels_b32_e32 v128, v34
	s_mov_b32 m0, s2
	s_add_nc_u64 s[2:3], s[2:3], 8
	v_movrels_b32_e32 v134, v34
	v_dual_fmac_f32 v132, v133, v139 :: v_dual_add_nc_u32 v133, s2, v130
	s_add_co_i32 s8, s2, -7
	s_wait_dscnt 0x0
	s_delay_alu instid0(VALU_DEP_1) | instskip(NEXT) | instid1(VALU_DEP_2)
	v_fmac_f32_e32 v132, v128, v140
	v_cmp_eq_u32_e32 vcc_lo, 20, v133
	s_delay_alu instid0(VALU_DEP_2) | instskip(SKIP_1) | instid1(SALU_CYCLE_1)
	v_dual_mov_b32 v128, s8 :: v_dual_fmac_f32 v132, v134, v141
	s_or_b32 s6, vcc_lo, s6
	s_and_not1_b32 exec_lo, exec_lo, s6
	s_cbranch_execnz .LBB94_265
; %bb.266:
	s_or_b32 exec_lo, exec_lo, s6
.LBB94_267:
	s_delay_alu instid0(SALU_CYCLE_1) | instskip(SKIP_3) | instid1(VALU_DEP_1)
	s_or_b32 exec_lo, exec_lo, s1
	v_and_b32_e32 v65, 7, v129
	s_mov_b32 s2, 0
	s_mov_b32 s1, exec_lo
	v_cmpx_ne_u32_e32 0, v65
	s_cbranch_execz .LBB94_271
; %bb.268:
	v_lshl_add_u32 v130, v128, 2, 0x80
	v_mov_b32_e32 v129, 0
.LBB94_269:                             ; =>This Inner Loop Header: Depth=1
	v_cmp_eq_u32_e32 vcc_lo, 1, v128
	ds_load_b32 v134, v130
	v_dual_add_nc_u32 v65, -1, v65 :: v_dual_add_nc_u32 v130, 4, v130
	v_cndmask_b32_e32 v133, v34, v35, vcc_lo
	v_cmp_eq_u32_e32 vcc_lo, 2, v128
	s_delay_alu instid0(VALU_DEP_2) | instskip(SKIP_1) | instid1(VALU_DEP_2)
	v_cndmask_b32_e32 v133, v133, v36, vcc_lo
	v_cmp_eq_u32_e32 vcc_lo, 3, v128
	v_cndmask_b32_e32 v133, v133, v37, vcc_lo
	v_cmp_eq_u32_e32 vcc_lo, 4, v128
	s_delay_alu instid0(VALU_DEP_2) | instskip(SKIP_1) | instid1(VALU_DEP_2)
	v_cndmask_b32_e32 v133, v133, v38, vcc_lo
	v_cmp_eq_u32_e32 vcc_lo, 5, v128
	;; [unrolled: 5-line block ×14, first 2 shown]
	v_cndmask_b32_e32 v133, v133, v63, vcc_lo
	v_cmp_eq_u32_e32 vcc_lo, 30, v128
	v_add_nc_u64_e32 v[128:129], 1, v[128:129]
	s_delay_alu instid0(VALU_DEP_3) | instskip(SKIP_2) | instid1(VALU_DEP_2)
	v_cndmask_b32_e32 v133, v133, v64, vcc_lo
	v_cmp_eq_u32_e32 vcc_lo, 0, v65
	s_wait_dscnt 0x0
	v_fmac_f32_e32 v132, v133, v134
	s_or_b32 s2, vcc_lo, s2
	s_delay_alu instid0(SALU_CYCLE_1)
	s_and_not1_b32 exec_lo, exec_lo, s2
	s_cbranch_execnz .LBB94_269
; %bb.270:
	s_or_b32 exec_lo, exec_lo, s2
.LBB94_271:
	s_delay_alu instid0(SALU_CYCLE_1)
	s_or_b32 exec_lo, exec_lo, s1
.LBB94_272:
	s_delay_alu instid0(SALU_CYCLE_1)
	s_or_b32 exec_lo, exec_lo, s5
	v_mov_b32_e32 v46, 0
	ds_load_b32 v46, v46 offset:48
	s_wait_dscnt 0x0
	v_mul_f32_e32 v46, v132, v46
.LBB94_273:
	s_or_b32 exec_lo, exec_lo, s4
	v_cmp_lt_u32_e64 s1, 11, v0
	ds_store_b32 v131, v45
	s_wait_dscnt 0x0
	s_barrier_signal -1
	s_barrier_wait -1
	s_and_saveexec_b32 s4, s1
	s_cbranch_execz .LBB94_289
; %bb.274:
	s_and_not1_b32 vcc_lo, exec_lo, s31
	s_cbranch_vccnz .LBB94_276
; %bb.275:
	v_cmp_eq_u32_e32 vcc_lo, 1, v0
	ds_load_b32 v129, v131
	v_cndmask_b32_e32 v128, v34, v35, vcc_lo
	v_cmp_eq_u32_e32 vcc_lo, 2, v0
	s_delay_alu instid0(VALU_DEP_2) | instskip(SKIP_1) | instid1(VALU_DEP_2)
	v_cndmask_b32_e32 v128, v128, v36, vcc_lo
	v_cmp_eq_u32_e32 vcc_lo, 3, v0
	v_cndmask_b32_e32 v128, v128, v37, vcc_lo
	v_cmp_eq_u32_e32 vcc_lo, 4, v0
	s_delay_alu instid0(VALU_DEP_2) | instskip(SKIP_1) | instid1(VALU_DEP_2)
	v_cndmask_b32_e32 v128, v128, v38, vcc_lo
	v_cmp_eq_u32_e32 vcc_lo, 5, v0
	;; [unrolled: 5-line block ×14, first 2 shown]
	v_cndmask_b32_e32 v128, v128, v63, vcc_lo
	v_cmp_eq_u32_e32 vcc_lo, 30, v0
	s_delay_alu instid0(VALU_DEP_2) | instskip(SKIP_1) | instid1(VALU_DEP_1)
	v_cndmask_b32_e32 v128, v128, v64, vcc_lo
	s_wait_dscnt 0x0
	v_mul_f32_e32 v132, v128, v129
	s_cbranch_execz .LBB94_277
	s_branch .LBB94_278
.LBB94_276:
                                        ; implicit-def: $vgpr132
.LBB94_277:
	ds_load_b32 v132, v131
.LBB94_278:
	s_and_saveexec_b32 s5, s0
	s_cbranch_execz .LBB94_288
; %bb.279:
	v_dual_add_nc_u32 v128, -13, v0 :: v_dual_add_nc_u32 v129, -12, v0
	s_delay_alu instid0(VALU_DEP_1)
	v_cmp_lt_u32_e32 vcc_lo, 6, v128
	v_mov_b32_e32 v128, 12
	s_and_saveexec_b32 s0, vcc_lo
	s_cbranch_execz .LBB94_283
; %bb.280:
	v_and_b32_e32 v128, -8, v129
	s_mov_b32 s6, 0
	s_mov_b64 s[2:3], 19
	s_movk_i32 s7, 0xb0
	s_delay_alu instid0(VALU_DEP_1)
	v_sub_nc_u32_e32 v130, 0, v128
.LBB94_281:                             ; =>This Inner Loop Header: Depth=1
	s_add_co_i32 m0, s2, -7
	v_movrels_b32_e32 v133, v34
	v_mov_b32_e32 v128, s7
	s_add_co_i32 m0, s2, -6
	s_add_co_i32 s7, s7, 32
	v_movrels_b32_e32 v142, v34
	s_add_co_i32 m0, s2, -5
	ds_load_b128 v[134:137], v128
	ds_load_b128 v[138:141], v128 offset:16
	v_movrels_b32_e32 v128, v34
	s_add_co_i32 m0, s2, -4
	s_wait_dscnt 0x1
	v_fmac_f32_e32 v132, v133, v134
	v_movrels_b32_e32 v133, v34
	s_add_co_i32 m0, s2, -3
	s_delay_alu instid0(VALU_DEP_2) | instskip(NEXT) | instid1(VALU_DEP_1)
	v_fmac_f32_e32 v132, v142, v135
	v_fmac_f32_e32 v132, v128, v136
	v_movrels_b32_e32 v128, v34
	s_add_co_i32 m0, s2, -2
	s_delay_alu instid0(VALU_DEP_2) | instskip(SKIP_3) | instid1(VALU_DEP_2)
	v_fmac_f32_e32 v132, v133, v137
	v_movrels_b32_e32 v133, v34
	s_add_co_i32 m0, s2, -1
	s_wait_dscnt 0x0
	v_fmac_f32_e32 v132, v128, v138
	v_movrels_b32_e32 v128, v34
	s_mov_b32 m0, s2
	s_add_nc_u64 s[2:3], s[2:3], 8
	v_movrels_b32_e32 v134, v34
	v_dual_fmac_f32 v132, v133, v139 :: v_dual_add_nc_u32 v133, s2, v130
	s_add_co_i32 s8, s2, -7
	s_delay_alu instid0(VALU_DEP_1) | instskip(NEXT) | instid1(VALU_DEP_2)
	v_fmac_f32_e32 v132, v128, v140
	v_cmp_eq_u32_e32 vcc_lo, 19, v133
	s_delay_alu instid0(VALU_DEP_2) | instskip(SKIP_1) | instid1(SALU_CYCLE_1)
	v_dual_mov_b32 v128, s8 :: v_dual_fmac_f32 v132, v134, v141
	s_or_b32 s6, vcc_lo, s6
	s_and_not1_b32 exec_lo, exec_lo, s6
	s_cbranch_execnz .LBB94_281
; %bb.282:
	s_or_b32 exec_lo, exec_lo, s6
.LBB94_283:
	s_delay_alu instid0(SALU_CYCLE_1) | instskip(SKIP_3) | instid1(VALU_DEP_1)
	s_or_b32 exec_lo, exec_lo, s0
	v_and_b32_e32 v65, 7, v129
	s_mov_b32 s2, 0
	s_mov_b32 s0, exec_lo
	v_cmpx_ne_u32_e32 0, v65
	s_cbranch_execz .LBB94_287
; %bb.284:
	v_lshl_add_u32 v130, v128, 2, 0x80
	v_mov_b32_e32 v129, 0
.LBB94_285:                             ; =>This Inner Loop Header: Depth=1
	v_cmp_eq_u32_e32 vcc_lo, 1, v128
	ds_load_b32 v134, v130
	v_dual_add_nc_u32 v65, -1, v65 :: v_dual_add_nc_u32 v130, 4, v130
	v_cndmask_b32_e32 v133, v34, v35, vcc_lo
	v_cmp_eq_u32_e32 vcc_lo, 2, v128
	s_delay_alu instid0(VALU_DEP_2) | instskip(SKIP_1) | instid1(VALU_DEP_2)
	v_cndmask_b32_e32 v133, v133, v36, vcc_lo
	v_cmp_eq_u32_e32 vcc_lo, 3, v128
	v_cndmask_b32_e32 v133, v133, v37, vcc_lo
	v_cmp_eq_u32_e32 vcc_lo, 4, v128
	s_delay_alu instid0(VALU_DEP_2) | instskip(SKIP_1) | instid1(VALU_DEP_2)
	v_cndmask_b32_e32 v133, v133, v38, vcc_lo
	v_cmp_eq_u32_e32 vcc_lo, 5, v128
	;; [unrolled: 5-line block ×14, first 2 shown]
	v_cndmask_b32_e32 v133, v133, v63, vcc_lo
	v_cmp_eq_u32_e32 vcc_lo, 30, v128
	v_add_nc_u64_e32 v[128:129], 1, v[128:129]
	s_delay_alu instid0(VALU_DEP_3) | instskip(SKIP_2) | instid1(VALU_DEP_2)
	v_cndmask_b32_e32 v133, v133, v64, vcc_lo
	v_cmp_eq_u32_e32 vcc_lo, 0, v65
	s_wait_dscnt 0x0
	v_fmac_f32_e32 v132, v133, v134
	s_or_b32 s2, vcc_lo, s2
	s_delay_alu instid0(SALU_CYCLE_1)
	s_and_not1_b32 exec_lo, exec_lo, s2
	s_cbranch_execnz .LBB94_285
; %bb.286:
	s_or_b32 exec_lo, exec_lo, s2
.LBB94_287:
	s_delay_alu instid0(SALU_CYCLE_1)
	s_or_b32 exec_lo, exec_lo, s0
.LBB94_288:
	s_delay_alu instid0(SALU_CYCLE_1)
	s_or_b32 exec_lo, exec_lo, s5
	v_mov_b32_e32 v45, 0
	ds_load_b32 v45, v45 offset:44
	s_wait_dscnt 0x0
	v_mul_f32_e32 v45, v132, v45
.LBB94_289:
	s_or_b32 exec_lo, exec_lo, s4
	v_cmp_lt_u32_e64 s0, 10, v0
	ds_store_b32 v131, v44
	s_wait_dscnt 0x0
	s_barrier_signal -1
	s_barrier_wait -1
	s_and_saveexec_b32 s4, s0
	s_cbranch_execz .LBB94_305
; %bb.290:
	s_and_not1_b32 vcc_lo, exec_lo, s31
	s_cbranch_vccnz .LBB94_292
; %bb.291:
	v_cmp_eq_u32_e32 vcc_lo, 1, v0
	ds_load_b32 v129, v131
	v_cndmask_b32_e32 v128, v34, v35, vcc_lo
	v_cmp_eq_u32_e32 vcc_lo, 2, v0
	s_delay_alu instid0(VALU_DEP_2) | instskip(SKIP_1) | instid1(VALU_DEP_2)
	v_cndmask_b32_e32 v128, v128, v36, vcc_lo
	v_cmp_eq_u32_e32 vcc_lo, 3, v0
	v_cndmask_b32_e32 v128, v128, v37, vcc_lo
	v_cmp_eq_u32_e32 vcc_lo, 4, v0
	s_delay_alu instid0(VALU_DEP_2) | instskip(SKIP_1) | instid1(VALU_DEP_2)
	v_cndmask_b32_e32 v128, v128, v38, vcc_lo
	v_cmp_eq_u32_e32 vcc_lo, 5, v0
	;; [unrolled: 5-line block ×14, first 2 shown]
	v_cndmask_b32_e32 v128, v128, v63, vcc_lo
	v_cmp_eq_u32_e32 vcc_lo, 30, v0
	s_delay_alu instid0(VALU_DEP_2) | instskip(SKIP_1) | instid1(VALU_DEP_1)
	v_cndmask_b32_e32 v128, v128, v64, vcc_lo
	s_wait_dscnt 0x0
	v_mul_f32_e32 v132, v128, v129
	s_cbranch_execz .LBB94_293
	s_branch .LBB94_294
.LBB94_292:
                                        ; implicit-def: $vgpr132
.LBB94_293:
	ds_load_b32 v132, v131
.LBB94_294:
	s_and_saveexec_b32 s5, s1
	s_cbranch_execz .LBB94_304
; %bb.295:
	v_dual_add_nc_u32 v128, -12, v0 :: v_dual_add_nc_u32 v129, -11, v0
	s_delay_alu instid0(VALU_DEP_1)
	v_cmp_lt_u32_e32 vcc_lo, 6, v128
	v_mov_b32_e32 v128, 11
	s_and_saveexec_b32 s1, vcc_lo
	s_cbranch_execz .LBB94_299
; %bb.296:
	v_and_b32_e32 v128, -8, v129
	s_mov_b32 s6, 0
	s_mov_b64 s[2:3], 18
	s_movk_i32 s7, 0xac
	s_delay_alu instid0(VALU_DEP_1)
	v_sub_nc_u32_e32 v130, 0, v128
.LBB94_297:                             ; =>This Inner Loop Header: Depth=1
	s_add_co_i32 m0, s2, -7
	v_movrels_b32_e32 v133, v34
	v_mov_b32_e32 v128, s7
	s_add_co_i32 m0, s2, -6
	s_add_co_i32 s7, s7, 32
	v_movrels_b32_e32 v142, v34
	ds_load_2addr_b32 v[134:135], v128 offset1:1
	ds_load_2addr_b32 v[136:137], v128 offset0:2 offset1:3
	s_add_co_i32 m0, s2, -5
	s_wait_dscnt 0x1
	v_fmac_f32_e32 v132, v133, v134
	ds_load_2addr_b32 v[138:139], v128 offset0:4 offset1:5
	ds_load_2addr_b32 v[140:141], v128 offset0:6 offset1:7
	v_movrels_b32_e32 v128, v34
	s_add_co_i32 m0, s2, -4
	v_fmac_f32_e32 v132, v142, v135
	v_movrels_b32_e32 v133, v34
	s_add_co_i32 m0, s2, -3
	s_wait_dscnt 0x2
	s_delay_alu instid0(VALU_DEP_2) | instskip(SKIP_2) | instid1(VALU_DEP_2)
	v_fmac_f32_e32 v132, v128, v136
	v_movrels_b32_e32 v128, v34
	s_add_co_i32 m0, s2, -2
	v_fmac_f32_e32 v132, v133, v137
	v_movrels_b32_e32 v133, v34
	s_add_co_i32 m0, s2, -1
	s_wait_dscnt 0x1
	s_delay_alu instid0(VALU_DEP_2)
	v_fmac_f32_e32 v132, v128, v138
	v_movrels_b32_e32 v128, v34
	s_mov_b32 m0, s2
	s_add_nc_u64 s[2:3], s[2:3], 8
	v_movrels_b32_e32 v134, v34
	v_dual_fmac_f32 v132, v133, v139 :: v_dual_add_nc_u32 v133, s2, v130
	s_add_co_i32 s8, s2, -7
	s_wait_dscnt 0x0
	s_delay_alu instid0(VALU_DEP_1) | instskip(NEXT) | instid1(VALU_DEP_2)
	v_fmac_f32_e32 v132, v128, v140
	v_cmp_eq_u32_e32 vcc_lo, 18, v133
	s_delay_alu instid0(VALU_DEP_2) | instskip(SKIP_1) | instid1(SALU_CYCLE_1)
	v_dual_mov_b32 v128, s8 :: v_dual_fmac_f32 v132, v134, v141
	s_or_b32 s6, vcc_lo, s6
	s_and_not1_b32 exec_lo, exec_lo, s6
	s_cbranch_execnz .LBB94_297
; %bb.298:
	s_or_b32 exec_lo, exec_lo, s6
.LBB94_299:
	s_delay_alu instid0(SALU_CYCLE_1) | instskip(SKIP_3) | instid1(VALU_DEP_1)
	s_or_b32 exec_lo, exec_lo, s1
	v_and_b32_e32 v65, 7, v129
	s_mov_b32 s2, 0
	s_mov_b32 s1, exec_lo
	v_cmpx_ne_u32_e32 0, v65
	s_cbranch_execz .LBB94_303
; %bb.300:
	v_lshl_add_u32 v130, v128, 2, 0x80
	v_mov_b32_e32 v129, 0
.LBB94_301:                             ; =>This Inner Loop Header: Depth=1
	v_cmp_eq_u32_e32 vcc_lo, 1, v128
	ds_load_b32 v134, v130
	v_dual_add_nc_u32 v65, -1, v65 :: v_dual_add_nc_u32 v130, 4, v130
	v_cndmask_b32_e32 v133, v34, v35, vcc_lo
	v_cmp_eq_u32_e32 vcc_lo, 2, v128
	s_delay_alu instid0(VALU_DEP_2) | instskip(SKIP_1) | instid1(VALU_DEP_2)
	v_cndmask_b32_e32 v133, v133, v36, vcc_lo
	v_cmp_eq_u32_e32 vcc_lo, 3, v128
	v_cndmask_b32_e32 v133, v133, v37, vcc_lo
	v_cmp_eq_u32_e32 vcc_lo, 4, v128
	s_delay_alu instid0(VALU_DEP_2) | instskip(SKIP_1) | instid1(VALU_DEP_2)
	v_cndmask_b32_e32 v133, v133, v38, vcc_lo
	v_cmp_eq_u32_e32 vcc_lo, 5, v128
	;; [unrolled: 5-line block ×14, first 2 shown]
	v_cndmask_b32_e32 v133, v133, v63, vcc_lo
	v_cmp_eq_u32_e32 vcc_lo, 30, v128
	v_add_nc_u64_e32 v[128:129], 1, v[128:129]
	s_delay_alu instid0(VALU_DEP_3) | instskip(SKIP_2) | instid1(VALU_DEP_2)
	v_cndmask_b32_e32 v133, v133, v64, vcc_lo
	v_cmp_eq_u32_e32 vcc_lo, 0, v65
	s_wait_dscnt 0x0
	v_fmac_f32_e32 v132, v133, v134
	s_or_b32 s2, vcc_lo, s2
	s_delay_alu instid0(SALU_CYCLE_1)
	s_and_not1_b32 exec_lo, exec_lo, s2
	s_cbranch_execnz .LBB94_301
; %bb.302:
	s_or_b32 exec_lo, exec_lo, s2
.LBB94_303:
	s_delay_alu instid0(SALU_CYCLE_1)
	s_or_b32 exec_lo, exec_lo, s1
.LBB94_304:
	s_delay_alu instid0(SALU_CYCLE_1)
	s_or_b32 exec_lo, exec_lo, s5
	v_mov_b32_e32 v44, 0
	ds_load_b32 v44, v44 offset:40
	s_wait_dscnt 0x0
	v_mul_f32_e32 v44, v132, v44
.LBB94_305:
	s_or_b32 exec_lo, exec_lo, s4
	v_cmp_lt_u32_e64 s1, 9, v0
	ds_store_b32 v131, v43
	s_wait_dscnt 0x0
	s_barrier_signal -1
	s_barrier_wait -1
	s_and_saveexec_b32 s4, s1
	s_cbranch_execz .LBB94_321
; %bb.306:
	s_and_not1_b32 vcc_lo, exec_lo, s31
	s_cbranch_vccnz .LBB94_308
; %bb.307:
	v_cmp_eq_u32_e32 vcc_lo, 1, v0
	ds_load_b32 v129, v131
	v_cndmask_b32_e32 v128, v34, v35, vcc_lo
	v_cmp_eq_u32_e32 vcc_lo, 2, v0
	s_delay_alu instid0(VALU_DEP_2) | instskip(SKIP_1) | instid1(VALU_DEP_2)
	v_cndmask_b32_e32 v128, v128, v36, vcc_lo
	v_cmp_eq_u32_e32 vcc_lo, 3, v0
	v_cndmask_b32_e32 v128, v128, v37, vcc_lo
	v_cmp_eq_u32_e32 vcc_lo, 4, v0
	s_delay_alu instid0(VALU_DEP_2) | instskip(SKIP_1) | instid1(VALU_DEP_2)
	v_cndmask_b32_e32 v128, v128, v38, vcc_lo
	v_cmp_eq_u32_e32 vcc_lo, 5, v0
	;; [unrolled: 5-line block ×14, first 2 shown]
	v_cndmask_b32_e32 v128, v128, v63, vcc_lo
	v_cmp_eq_u32_e32 vcc_lo, 30, v0
	s_delay_alu instid0(VALU_DEP_2) | instskip(SKIP_1) | instid1(VALU_DEP_1)
	v_cndmask_b32_e32 v128, v128, v64, vcc_lo
	s_wait_dscnt 0x0
	v_mul_f32_e32 v132, v128, v129
	s_cbranch_execz .LBB94_309
	s_branch .LBB94_310
.LBB94_308:
                                        ; implicit-def: $vgpr132
.LBB94_309:
	ds_load_b32 v132, v131
.LBB94_310:
	s_and_saveexec_b32 s5, s0
	s_cbranch_execz .LBB94_320
; %bb.311:
	v_dual_add_nc_u32 v128, -11, v0 :: v_dual_add_nc_u32 v129, -10, v0
	s_delay_alu instid0(VALU_DEP_1)
	v_cmp_lt_u32_e32 vcc_lo, 6, v128
	v_mov_b32_e32 v128, 10
	s_and_saveexec_b32 s0, vcc_lo
	s_cbranch_execz .LBB94_315
; %bb.312:
	v_and_b32_e32 v128, -8, v129
	s_mov_b32 s6, 0
	s_mov_b64 s[2:3], 17
	s_movk_i32 s7, 0xa8
	s_delay_alu instid0(VALU_DEP_1)
	v_sub_nc_u32_e32 v130, 0, v128
.LBB94_313:                             ; =>This Inner Loop Header: Depth=1
	s_add_co_i32 m0, s2, -7
	v_movrels_b32_e32 v133, v34
	v_mov_b32_e32 v128, s7
	s_add_co_i32 m0, s2, -6
	s_add_co_i32 s7, s7, 32
	v_movrels_b32_e32 v142, v34
	s_add_co_i32 m0, s2, -5
	ds_load_2addr_b64 v[134:137], v128 offset1:1
	ds_load_2addr_b64 v[138:141], v128 offset0:2 offset1:3
	v_movrels_b32_e32 v128, v34
	s_add_co_i32 m0, s2, -4
	s_wait_dscnt 0x1
	v_fmac_f32_e32 v132, v133, v134
	v_movrels_b32_e32 v133, v34
	s_add_co_i32 m0, s2, -3
	s_delay_alu instid0(VALU_DEP_2) | instskip(NEXT) | instid1(VALU_DEP_1)
	v_fmac_f32_e32 v132, v142, v135
	v_fmac_f32_e32 v132, v128, v136
	v_movrels_b32_e32 v128, v34
	s_add_co_i32 m0, s2, -2
	s_delay_alu instid0(VALU_DEP_2) | instskip(SKIP_3) | instid1(VALU_DEP_2)
	v_fmac_f32_e32 v132, v133, v137
	v_movrels_b32_e32 v133, v34
	s_add_co_i32 m0, s2, -1
	s_wait_dscnt 0x0
	v_fmac_f32_e32 v132, v128, v138
	v_movrels_b32_e32 v128, v34
	s_mov_b32 m0, s2
	s_add_nc_u64 s[2:3], s[2:3], 8
	v_movrels_b32_e32 v134, v34
	v_dual_fmac_f32 v132, v133, v139 :: v_dual_add_nc_u32 v133, s2, v130
	s_add_co_i32 s8, s2, -7
	s_delay_alu instid0(VALU_DEP_1) | instskip(NEXT) | instid1(VALU_DEP_2)
	v_fmac_f32_e32 v132, v128, v140
	v_cmp_eq_u32_e32 vcc_lo, 17, v133
	s_delay_alu instid0(VALU_DEP_2) | instskip(SKIP_1) | instid1(SALU_CYCLE_1)
	v_dual_mov_b32 v128, s8 :: v_dual_fmac_f32 v132, v134, v141
	s_or_b32 s6, vcc_lo, s6
	s_and_not1_b32 exec_lo, exec_lo, s6
	s_cbranch_execnz .LBB94_313
; %bb.314:
	s_or_b32 exec_lo, exec_lo, s6
.LBB94_315:
	s_delay_alu instid0(SALU_CYCLE_1) | instskip(SKIP_3) | instid1(VALU_DEP_1)
	s_or_b32 exec_lo, exec_lo, s0
	v_and_b32_e32 v65, 7, v129
	s_mov_b32 s2, 0
	s_mov_b32 s0, exec_lo
	v_cmpx_ne_u32_e32 0, v65
	s_cbranch_execz .LBB94_319
; %bb.316:
	v_lshl_add_u32 v130, v128, 2, 0x80
	v_mov_b32_e32 v129, 0
.LBB94_317:                             ; =>This Inner Loop Header: Depth=1
	v_cmp_eq_u32_e32 vcc_lo, 1, v128
	ds_load_b32 v134, v130
	v_dual_add_nc_u32 v65, -1, v65 :: v_dual_add_nc_u32 v130, 4, v130
	v_cndmask_b32_e32 v133, v34, v35, vcc_lo
	v_cmp_eq_u32_e32 vcc_lo, 2, v128
	s_delay_alu instid0(VALU_DEP_2) | instskip(SKIP_1) | instid1(VALU_DEP_2)
	v_cndmask_b32_e32 v133, v133, v36, vcc_lo
	v_cmp_eq_u32_e32 vcc_lo, 3, v128
	v_cndmask_b32_e32 v133, v133, v37, vcc_lo
	v_cmp_eq_u32_e32 vcc_lo, 4, v128
	s_delay_alu instid0(VALU_DEP_2) | instskip(SKIP_1) | instid1(VALU_DEP_2)
	v_cndmask_b32_e32 v133, v133, v38, vcc_lo
	v_cmp_eq_u32_e32 vcc_lo, 5, v128
	;; [unrolled: 5-line block ×14, first 2 shown]
	v_cndmask_b32_e32 v133, v133, v63, vcc_lo
	v_cmp_eq_u32_e32 vcc_lo, 30, v128
	v_add_nc_u64_e32 v[128:129], 1, v[128:129]
	s_delay_alu instid0(VALU_DEP_3) | instskip(SKIP_2) | instid1(VALU_DEP_2)
	v_cndmask_b32_e32 v133, v133, v64, vcc_lo
	v_cmp_eq_u32_e32 vcc_lo, 0, v65
	s_wait_dscnt 0x0
	v_fmac_f32_e32 v132, v133, v134
	s_or_b32 s2, vcc_lo, s2
	s_delay_alu instid0(SALU_CYCLE_1)
	s_and_not1_b32 exec_lo, exec_lo, s2
	s_cbranch_execnz .LBB94_317
; %bb.318:
	s_or_b32 exec_lo, exec_lo, s2
.LBB94_319:
	s_delay_alu instid0(SALU_CYCLE_1)
	s_or_b32 exec_lo, exec_lo, s0
.LBB94_320:
	s_delay_alu instid0(SALU_CYCLE_1)
	s_or_b32 exec_lo, exec_lo, s5
	v_mov_b32_e32 v43, 0
	ds_load_b32 v43, v43 offset:36
	s_wait_dscnt 0x0
	v_mul_f32_e32 v43, v132, v43
.LBB94_321:
	s_or_b32 exec_lo, exec_lo, s4
	v_cmp_lt_u32_e64 s0, 8, v0
	ds_store_b32 v131, v42
	s_wait_dscnt 0x0
	s_barrier_signal -1
	s_barrier_wait -1
	s_and_saveexec_b32 s4, s0
	s_cbranch_execz .LBB94_337
; %bb.322:
	s_and_not1_b32 vcc_lo, exec_lo, s31
	s_cbranch_vccnz .LBB94_324
; %bb.323:
	v_cmp_eq_u32_e32 vcc_lo, 1, v0
	ds_load_b32 v129, v131
	v_cndmask_b32_e32 v128, v34, v35, vcc_lo
	v_cmp_eq_u32_e32 vcc_lo, 2, v0
	s_delay_alu instid0(VALU_DEP_2) | instskip(SKIP_1) | instid1(VALU_DEP_2)
	v_cndmask_b32_e32 v128, v128, v36, vcc_lo
	v_cmp_eq_u32_e32 vcc_lo, 3, v0
	v_cndmask_b32_e32 v128, v128, v37, vcc_lo
	v_cmp_eq_u32_e32 vcc_lo, 4, v0
	s_delay_alu instid0(VALU_DEP_2) | instskip(SKIP_1) | instid1(VALU_DEP_2)
	v_cndmask_b32_e32 v128, v128, v38, vcc_lo
	v_cmp_eq_u32_e32 vcc_lo, 5, v0
	;; [unrolled: 5-line block ×14, first 2 shown]
	v_cndmask_b32_e32 v128, v128, v63, vcc_lo
	v_cmp_eq_u32_e32 vcc_lo, 30, v0
	s_delay_alu instid0(VALU_DEP_2) | instskip(SKIP_1) | instid1(VALU_DEP_1)
	v_cndmask_b32_e32 v128, v128, v64, vcc_lo
	s_wait_dscnt 0x0
	v_mul_f32_e32 v132, v128, v129
	s_cbranch_execz .LBB94_325
	s_branch .LBB94_326
.LBB94_324:
                                        ; implicit-def: $vgpr132
.LBB94_325:
	ds_load_b32 v132, v131
.LBB94_326:
	s_and_saveexec_b32 s5, s1
	s_cbranch_execz .LBB94_336
; %bb.327:
	v_dual_add_nc_u32 v128, -10, v0 :: v_dual_add_nc_u32 v129, -9, v0
	s_delay_alu instid0(VALU_DEP_1)
	v_cmp_lt_u32_e32 vcc_lo, 6, v128
	v_mov_b32_e32 v128, 9
	s_and_saveexec_b32 s1, vcc_lo
	s_cbranch_execz .LBB94_331
; %bb.328:
	v_and_b32_e32 v128, -8, v129
	s_mov_b32 s6, 0
	s_mov_b64 s[2:3], 16
	s_movk_i32 s7, 0xa4
	s_delay_alu instid0(VALU_DEP_1)
	v_sub_nc_u32_e32 v130, 0, v128
.LBB94_329:                             ; =>This Inner Loop Header: Depth=1
	s_add_co_i32 m0, s2, -7
	v_movrels_b32_e32 v133, v34
	v_mov_b32_e32 v128, s7
	s_add_co_i32 m0, s2, -6
	s_add_co_i32 s7, s7, 32
	v_movrels_b32_e32 v142, v34
	ds_load_2addr_b32 v[134:135], v128 offset1:1
	ds_load_2addr_b32 v[136:137], v128 offset0:2 offset1:3
	s_add_co_i32 m0, s2, -5
	s_wait_dscnt 0x1
	v_fmac_f32_e32 v132, v133, v134
	ds_load_2addr_b32 v[138:139], v128 offset0:4 offset1:5
	ds_load_2addr_b32 v[140:141], v128 offset0:6 offset1:7
	v_movrels_b32_e32 v128, v34
	s_add_co_i32 m0, s2, -4
	v_fmac_f32_e32 v132, v142, v135
	v_movrels_b32_e32 v133, v34
	s_add_co_i32 m0, s2, -3
	s_wait_dscnt 0x2
	s_delay_alu instid0(VALU_DEP_2) | instskip(SKIP_2) | instid1(VALU_DEP_2)
	v_fmac_f32_e32 v132, v128, v136
	v_movrels_b32_e32 v128, v34
	s_add_co_i32 m0, s2, -2
	v_fmac_f32_e32 v132, v133, v137
	v_movrels_b32_e32 v133, v34
	s_add_co_i32 m0, s2, -1
	s_wait_dscnt 0x1
	s_delay_alu instid0(VALU_DEP_2)
	v_fmac_f32_e32 v132, v128, v138
	v_movrels_b32_e32 v128, v34
	s_mov_b32 m0, s2
	s_add_nc_u64 s[2:3], s[2:3], 8
	v_movrels_b32_e32 v134, v34
	v_dual_fmac_f32 v132, v133, v139 :: v_dual_add_nc_u32 v133, s2, v130
	s_add_co_i32 s8, s2, -7
	s_wait_dscnt 0x0
	s_delay_alu instid0(VALU_DEP_1) | instskip(NEXT) | instid1(VALU_DEP_2)
	v_fmac_f32_e32 v132, v128, v140
	v_cmp_eq_u32_e32 vcc_lo, 16, v133
	s_delay_alu instid0(VALU_DEP_2) | instskip(SKIP_1) | instid1(SALU_CYCLE_1)
	v_dual_mov_b32 v128, s8 :: v_dual_fmac_f32 v132, v134, v141
	s_or_b32 s6, vcc_lo, s6
	s_and_not1_b32 exec_lo, exec_lo, s6
	s_cbranch_execnz .LBB94_329
; %bb.330:
	s_or_b32 exec_lo, exec_lo, s6
.LBB94_331:
	s_delay_alu instid0(SALU_CYCLE_1) | instskip(SKIP_3) | instid1(VALU_DEP_1)
	s_or_b32 exec_lo, exec_lo, s1
	v_and_b32_e32 v65, 7, v129
	s_mov_b32 s2, 0
	s_mov_b32 s1, exec_lo
	v_cmpx_ne_u32_e32 0, v65
	s_cbranch_execz .LBB94_335
; %bb.332:
	v_lshl_add_u32 v130, v128, 2, 0x80
	v_mov_b32_e32 v129, 0
.LBB94_333:                             ; =>This Inner Loop Header: Depth=1
	v_cmp_eq_u32_e32 vcc_lo, 1, v128
	ds_load_b32 v134, v130
	v_dual_add_nc_u32 v65, -1, v65 :: v_dual_add_nc_u32 v130, 4, v130
	v_cndmask_b32_e32 v133, v34, v35, vcc_lo
	v_cmp_eq_u32_e32 vcc_lo, 2, v128
	s_delay_alu instid0(VALU_DEP_2) | instskip(SKIP_1) | instid1(VALU_DEP_2)
	v_cndmask_b32_e32 v133, v133, v36, vcc_lo
	v_cmp_eq_u32_e32 vcc_lo, 3, v128
	v_cndmask_b32_e32 v133, v133, v37, vcc_lo
	v_cmp_eq_u32_e32 vcc_lo, 4, v128
	s_delay_alu instid0(VALU_DEP_2) | instskip(SKIP_1) | instid1(VALU_DEP_2)
	v_cndmask_b32_e32 v133, v133, v38, vcc_lo
	v_cmp_eq_u32_e32 vcc_lo, 5, v128
	;; [unrolled: 5-line block ×14, first 2 shown]
	v_cndmask_b32_e32 v133, v133, v63, vcc_lo
	v_cmp_eq_u32_e32 vcc_lo, 30, v128
	v_add_nc_u64_e32 v[128:129], 1, v[128:129]
	s_delay_alu instid0(VALU_DEP_3) | instskip(SKIP_2) | instid1(VALU_DEP_2)
	v_cndmask_b32_e32 v133, v133, v64, vcc_lo
	v_cmp_eq_u32_e32 vcc_lo, 0, v65
	s_wait_dscnt 0x0
	v_fmac_f32_e32 v132, v133, v134
	s_or_b32 s2, vcc_lo, s2
	s_delay_alu instid0(SALU_CYCLE_1)
	s_and_not1_b32 exec_lo, exec_lo, s2
	s_cbranch_execnz .LBB94_333
; %bb.334:
	s_or_b32 exec_lo, exec_lo, s2
.LBB94_335:
	s_delay_alu instid0(SALU_CYCLE_1)
	s_or_b32 exec_lo, exec_lo, s1
.LBB94_336:
	s_delay_alu instid0(SALU_CYCLE_1)
	s_or_b32 exec_lo, exec_lo, s5
	v_mov_b32_e32 v42, 0
	ds_load_b32 v42, v42 offset:32
	s_wait_dscnt 0x0
	v_mul_f32_e32 v42, v132, v42
.LBB94_337:
	s_or_b32 exec_lo, exec_lo, s4
	v_cmp_lt_u32_e64 s1, 7, v0
	ds_store_b32 v131, v41
	s_wait_dscnt 0x0
	s_barrier_signal -1
	s_barrier_wait -1
	s_and_saveexec_b32 s4, s1
	s_cbranch_execz .LBB94_353
; %bb.338:
	s_and_not1_b32 vcc_lo, exec_lo, s31
	s_cbranch_vccnz .LBB94_340
; %bb.339:
	v_cmp_eq_u32_e32 vcc_lo, 1, v0
	ds_load_b32 v129, v131
	v_cndmask_b32_e32 v128, v34, v35, vcc_lo
	v_cmp_eq_u32_e32 vcc_lo, 2, v0
	s_delay_alu instid0(VALU_DEP_2) | instskip(SKIP_1) | instid1(VALU_DEP_2)
	v_cndmask_b32_e32 v128, v128, v36, vcc_lo
	v_cmp_eq_u32_e32 vcc_lo, 3, v0
	v_cndmask_b32_e32 v128, v128, v37, vcc_lo
	v_cmp_eq_u32_e32 vcc_lo, 4, v0
	s_delay_alu instid0(VALU_DEP_2) | instskip(SKIP_1) | instid1(VALU_DEP_2)
	v_cndmask_b32_e32 v128, v128, v38, vcc_lo
	v_cmp_eq_u32_e32 vcc_lo, 5, v0
	;; [unrolled: 5-line block ×14, first 2 shown]
	v_cndmask_b32_e32 v128, v128, v63, vcc_lo
	v_cmp_eq_u32_e32 vcc_lo, 30, v0
	s_delay_alu instid0(VALU_DEP_2) | instskip(SKIP_1) | instid1(VALU_DEP_1)
	v_cndmask_b32_e32 v128, v128, v64, vcc_lo
	s_wait_dscnt 0x0
	v_mul_f32_e32 v132, v128, v129
	s_cbranch_execz .LBB94_341
	s_branch .LBB94_342
.LBB94_340:
                                        ; implicit-def: $vgpr132
.LBB94_341:
	ds_load_b32 v132, v131
.LBB94_342:
	s_and_saveexec_b32 s5, s0
	s_cbranch_execz .LBB94_352
; %bb.343:
	v_add_nc_u32_e32 v128, -9, v0
	s_delay_alu instid0(VALU_DEP_1)
	v_cmp_lt_u32_e32 vcc_lo, 6, v128
	v_mov_b32_e32 v128, 8
	s_and_saveexec_b32 s0, vcc_lo
	s_cbranch_execz .LBB94_347
; %bb.344:
	v_and_b32_e32 v128, 24, v0
	s_mov_b32 s6, 0
	s_mov_b64 s[2:3], 15
	s_movk_i32 s7, 0xa0
	s_delay_alu instid0(VALU_DEP_1)
	v_sub_nc_u32_e32 v130, 0, v128
.LBB94_345:                             ; =>This Inner Loop Header: Depth=1
	s_add_co_i32 m0, s2, -7
	v_movrels_b32_e32 v129, v34
	v_mov_b32_e32 v128, s7
	s_add_co_i32 m0, s2, -6
	s_add_co_i32 s7, s7, 32
	v_movrels_b32_e32 v133, v34
	s_add_co_i32 m0, s2, -5
	ds_load_b128 v[134:137], v128
	ds_load_b128 v[138:141], v128 offset:16
	v_movrels_b32_e32 v128, v34
	s_add_co_i32 m0, s2, -4
	s_wait_dscnt 0x1
	v_fmac_f32_e32 v132, v129, v134
	v_movrels_b32_e32 v129, v34
	s_add_co_i32 m0, s2, -3
	s_delay_alu instid0(VALU_DEP_2) | instskip(NEXT) | instid1(VALU_DEP_1)
	v_fmac_f32_e32 v132, v133, v135
	v_fmac_f32_e32 v132, v128, v136
	v_movrels_b32_e32 v128, v34
	s_add_co_i32 m0, s2, -2
	s_delay_alu instid0(VALU_DEP_2) | instskip(SKIP_3) | instid1(VALU_DEP_2)
	v_fmac_f32_e32 v132, v129, v137
	v_movrels_b32_e32 v129, v34
	s_add_co_i32 m0, s2, -1
	s_wait_dscnt 0x0
	v_fmac_f32_e32 v132, v128, v138
	v_movrels_b32_e32 v128, v34
	s_mov_b32 m0, s2
	s_add_nc_u64 s[2:3], s[2:3], 8
	v_movrels_b32_e32 v133, v34
	v_dual_fmac_f32 v132, v129, v139 :: v_dual_add_nc_u32 v129, s2, v130
	s_add_co_i32 s8, s2, -7
	s_delay_alu instid0(VALU_DEP_1) | instskip(NEXT) | instid1(VALU_DEP_2)
	v_fmac_f32_e32 v132, v128, v140
	v_cmp_eq_u32_e32 vcc_lo, 7, v129
	s_delay_alu instid0(VALU_DEP_2) | instskip(SKIP_1) | instid1(SALU_CYCLE_1)
	v_dual_mov_b32 v128, s8 :: v_dual_fmac_f32 v132, v133, v141
	s_or_b32 s6, vcc_lo, s6
	s_and_not1_b32 exec_lo, exec_lo, s6
	s_cbranch_execnz .LBB94_345
; %bb.346:
	s_or_b32 exec_lo, exec_lo, s6
.LBB94_347:
	s_delay_alu instid0(SALU_CYCLE_1) | instskip(SKIP_3) | instid1(VALU_DEP_1)
	s_or_b32 exec_lo, exec_lo, s0
	v_and_b32_e32 v65, 7, v0
	s_mov_b32 s2, 0
	s_mov_b32 s0, exec_lo
	v_cmpx_ne_u32_e32 0, v65
	s_cbranch_execz .LBB94_351
; %bb.348:
	v_lshl_add_u32 v130, v128, 2, 0x80
	v_mov_b32_e32 v129, 0
.LBB94_349:                             ; =>This Inner Loop Header: Depth=1
	v_cmp_eq_u32_e32 vcc_lo, 1, v128
	ds_load_b32 v134, v130
	v_dual_add_nc_u32 v65, -1, v65 :: v_dual_add_nc_u32 v130, 4, v130
	v_cndmask_b32_e32 v133, v34, v35, vcc_lo
	v_cmp_eq_u32_e32 vcc_lo, 2, v128
	s_delay_alu instid0(VALU_DEP_2) | instskip(SKIP_1) | instid1(VALU_DEP_2)
	v_cndmask_b32_e32 v133, v133, v36, vcc_lo
	v_cmp_eq_u32_e32 vcc_lo, 3, v128
	v_cndmask_b32_e32 v133, v133, v37, vcc_lo
	v_cmp_eq_u32_e32 vcc_lo, 4, v128
	s_delay_alu instid0(VALU_DEP_2) | instskip(SKIP_1) | instid1(VALU_DEP_2)
	v_cndmask_b32_e32 v133, v133, v38, vcc_lo
	v_cmp_eq_u32_e32 vcc_lo, 5, v128
	;; [unrolled: 5-line block ×14, first 2 shown]
	v_cndmask_b32_e32 v133, v133, v63, vcc_lo
	v_cmp_eq_u32_e32 vcc_lo, 30, v128
	v_add_nc_u64_e32 v[128:129], 1, v[128:129]
	s_delay_alu instid0(VALU_DEP_3) | instskip(SKIP_2) | instid1(VALU_DEP_2)
	v_cndmask_b32_e32 v133, v133, v64, vcc_lo
	v_cmp_eq_u32_e32 vcc_lo, 0, v65
	s_wait_dscnt 0x0
	v_fmac_f32_e32 v132, v133, v134
	s_or_b32 s2, vcc_lo, s2
	s_delay_alu instid0(SALU_CYCLE_1)
	s_and_not1_b32 exec_lo, exec_lo, s2
	s_cbranch_execnz .LBB94_349
; %bb.350:
	s_or_b32 exec_lo, exec_lo, s2
.LBB94_351:
	s_delay_alu instid0(SALU_CYCLE_1)
	s_or_b32 exec_lo, exec_lo, s0
.LBB94_352:
	s_delay_alu instid0(SALU_CYCLE_1)
	s_or_b32 exec_lo, exec_lo, s5
	v_mov_b32_e32 v41, 0
	ds_load_b32 v41, v41 offset:28
	s_wait_dscnt 0x0
	v_mul_f32_e32 v41, v132, v41
.LBB94_353:
	s_or_b32 exec_lo, exec_lo, s4
	v_cmp_lt_u32_e64 s0, 6, v0
	ds_store_b32 v131, v40
	s_wait_dscnt 0x0
	s_barrier_signal -1
	s_barrier_wait -1
	s_and_saveexec_b32 s4, s0
	s_cbranch_execz .LBB94_369
; %bb.354:
	s_and_not1_b32 vcc_lo, exec_lo, s31
	s_cbranch_vccnz .LBB94_356
; %bb.355:
	v_cmp_eq_u32_e32 vcc_lo, 1, v0
	ds_load_b32 v129, v131
	v_cndmask_b32_e32 v128, v34, v35, vcc_lo
	v_cmp_eq_u32_e32 vcc_lo, 2, v0
	s_delay_alu instid0(VALU_DEP_2) | instskip(SKIP_1) | instid1(VALU_DEP_2)
	v_cndmask_b32_e32 v128, v128, v36, vcc_lo
	v_cmp_eq_u32_e32 vcc_lo, 3, v0
	v_cndmask_b32_e32 v128, v128, v37, vcc_lo
	v_cmp_eq_u32_e32 vcc_lo, 4, v0
	s_delay_alu instid0(VALU_DEP_2) | instskip(SKIP_1) | instid1(VALU_DEP_2)
	v_cndmask_b32_e32 v128, v128, v38, vcc_lo
	v_cmp_eq_u32_e32 vcc_lo, 5, v0
	;; [unrolled: 5-line block ×14, first 2 shown]
	v_cndmask_b32_e32 v128, v128, v63, vcc_lo
	v_cmp_eq_u32_e32 vcc_lo, 30, v0
	s_delay_alu instid0(VALU_DEP_2) | instskip(SKIP_1) | instid1(VALU_DEP_1)
	v_cndmask_b32_e32 v128, v128, v64, vcc_lo
	s_wait_dscnt 0x0
	v_mul_f32_e32 v132, v128, v129
	s_cbranch_execz .LBB94_357
	s_branch .LBB94_358
.LBB94_356:
                                        ; implicit-def: $vgpr132
.LBB94_357:
	ds_load_b32 v132, v131
.LBB94_358:
	s_and_saveexec_b32 s5, s1
	s_cbranch_execz .LBB94_368
; %bb.359:
	v_dual_add_nc_u32 v128, -8, v0 :: v_dual_add_nc_u32 v129, -7, v0
	s_delay_alu instid0(VALU_DEP_1)
	v_cmp_lt_u32_e32 vcc_lo, 6, v128
	v_mov_b32_e32 v128, 7
	s_and_saveexec_b32 s1, vcc_lo
	s_cbranch_execz .LBB94_363
; %bb.360:
	v_and_b32_e32 v128, -8, v129
	s_mov_b32 s6, 0
	s_mov_b64 s[2:3], 14
	s_movk_i32 s7, 0x9c
	s_delay_alu instid0(VALU_DEP_1)
	v_sub_nc_u32_e32 v130, 0, v128
.LBB94_361:                             ; =>This Inner Loop Header: Depth=1
	s_add_co_i32 m0, s2, -7
	v_movrels_b32_e32 v133, v34
	v_mov_b32_e32 v128, s7
	s_add_co_i32 m0, s2, -6
	s_add_co_i32 s7, s7, 32
	v_movrels_b32_e32 v142, v34
	ds_load_2addr_b32 v[134:135], v128 offset1:1
	ds_load_2addr_b32 v[136:137], v128 offset0:2 offset1:3
	s_add_co_i32 m0, s2, -5
	s_wait_dscnt 0x1
	v_fmac_f32_e32 v132, v133, v134
	ds_load_2addr_b32 v[138:139], v128 offset0:4 offset1:5
	ds_load_2addr_b32 v[140:141], v128 offset0:6 offset1:7
	v_movrels_b32_e32 v128, v34
	s_add_co_i32 m0, s2, -4
	v_fmac_f32_e32 v132, v142, v135
	v_movrels_b32_e32 v133, v34
	s_add_co_i32 m0, s2, -3
	s_wait_dscnt 0x2
	s_delay_alu instid0(VALU_DEP_2) | instskip(SKIP_2) | instid1(VALU_DEP_2)
	v_fmac_f32_e32 v132, v128, v136
	v_movrels_b32_e32 v128, v34
	s_add_co_i32 m0, s2, -2
	v_fmac_f32_e32 v132, v133, v137
	v_movrels_b32_e32 v133, v34
	s_add_co_i32 m0, s2, -1
	s_wait_dscnt 0x1
	s_delay_alu instid0(VALU_DEP_2)
	v_fmac_f32_e32 v132, v128, v138
	v_movrels_b32_e32 v128, v34
	s_mov_b32 m0, s2
	s_add_nc_u64 s[2:3], s[2:3], 8
	v_movrels_b32_e32 v134, v34
	v_dual_fmac_f32 v132, v133, v139 :: v_dual_add_nc_u32 v133, s2, v130
	s_add_co_i32 s8, s2, -7
	s_wait_dscnt 0x0
	s_delay_alu instid0(VALU_DEP_1) | instskip(NEXT) | instid1(VALU_DEP_2)
	v_fmac_f32_e32 v132, v128, v140
	v_cmp_eq_u32_e32 vcc_lo, 14, v133
	s_delay_alu instid0(VALU_DEP_2) | instskip(SKIP_1) | instid1(SALU_CYCLE_1)
	v_dual_mov_b32 v128, s8 :: v_dual_fmac_f32 v132, v134, v141
	s_or_b32 s6, vcc_lo, s6
	s_and_not1_b32 exec_lo, exec_lo, s6
	s_cbranch_execnz .LBB94_361
; %bb.362:
	s_or_b32 exec_lo, exec_lo, s6
.LBB94_363:
	s_delay_alu instid0(SALU_CYCLE_1) | instskip(SKIP_3) | instid1(VALU_DEP_1)
	s_or_b32 exec_lo, exec_lo, s1
	v_and_b32_e32 v65, 7, v129
	s_mov_b32 s2, 0
	s_mov_b32 s1, exec_lo
	v_cmpx_ne_u32_e32 0, v65
	s_cbranch_execz .LBB94_367
; %bb.364:
	v_lshl_add_u32 v130, v128, 2, 0x80
	v_mov_b32_e32 v129, 0
.LBB94_365:                             ; =>This Inner Loop Header: Depth=1
	v_cmp_eq_u32_e32 vcc_lo, 1, v128
	ds_load_b32 v134, v130
	v_dual_add_nc_u32 v65, -1, v65 :: v_dual_add_nc_u32 v130, 4, v130
	v_cndmask_b32_e32 v133, v34, v35, vcc_lo
	v_cmp_eq_u32_e32 vcc_lo, 2, v128
	s_delay_alu instid0(VALU_DEP_2) | instskip(SKIP_1) | instid1(VALU_DEP_2)
	v_cndmask_b32_e32 v133, v133, v36, vcc_lo
	v_cmp_eq_u32_e32 vcc_lo, 3, v128
	v_cndmask_b32_e32 v133, v133, v37, vcc_lo
	v_cmp_eq_u32_e32 vcc_lo, 4, v128
	s_delay_alu instid0(VALU_DEP_2) | instskip(SKIP_1) | instid1(VALU_DEP_2)
	v_cndmask_b32_e32 v133, v133, v38, vcc_lo
	v_cmp_eq_u32_e32 vcc_lo, 5, v128
	;; [unrolled: 5-line block ×14, first 2 shown]
	v_cndmask_b32_e32 v133, v133, v63, vcc_lo
	v_cmp_eq_u32_e32 vcc_lo, 30, v128
	v_add_nc_u64_e32 v[128:129], 1, v[128:129]
	s_delay_alu instid0(VALU_DEP_3) | instskip(SKIP_2) | instid1(VALU_DEP_2)
	v_cndmask_b32_e32 v133, v133, v64, vcc_lo
	v_cmp_eq_u32_e32 vcc_lo, 0, v65
	s_wait_dscnt 0x0
	v_fmac_f32_e32 v132, v133, v134
	s_or_b32 s2, vcc_lo, s2
	s_delay_alu instid0(SALU_CYCLE_1)
	s_and_not1_b32 exec_lo, exec_lo, s2
	s_cbranch_execnz .LBB94_365
; %bb.366:
	s_or_b32 exec_lo, exec_lo, s2
.LBB94_367:
	s_delay_alu instid0(SALU_CYCLE_1)
	s_or_b32 exec_lo, exec_lo, s1
.LBB94_368:
	s_delay_alu instid0(SALU_CYCLE_1)
	s_or_b32 exec_lo, exec_lo, s5
	v_mov_b32_e32 v40, 0
	ds_load_b32 v40, v40 offset:24
	s_wait_dscnt 0x0
	v_mul_f32_e32 v40, v132, v40
.LBB94_369:
	s_or_b32 exec_lo, exec_lo, s4
	v_cmp_lt_u32_e64 s1, 5, v0
	ds_store_b32 v131, v39
	s_wait_dscnt 0x0
	s_barrier_signal -1
	s_barrier_wait -1
	s_and_saveexec_b32 s4, s1
	s_cbranch_execz .LBB94_385
; %bb.370:
	s_and_not1_b32 vcc_lo, exec_lo, s31
	s_cbranch_vccnz .LBB94_372
; %bb.371:
	v_cmp_eq_u32_e32 vcc_lo, 1, v0
	ds_load_b32 v129, v131
	v_cndmask_b32_e32 v128, v34, v35, vcc_lo
	v_cmp_eq_u32_e32 vcc_lo, 2, v0
	s_delay_alu instid0(VALU_DEP_2) | instskip(SKIP_1) | instid1(VALU_DEP_2)
	v_cndmask_b32_e32 v128, v128, v36, vcc_lo
	v_cmp_eq_u32_e32 vcc_lo, 3, v0
	v_cndmask_b32_e32 v128, v128, v37, vcc_lo
	v_cmp_eq_u32_e32 vcc_lo, 4, v0
	s_delay_alu instid0(VALU_DEP_2) | instskip(SKIP_1) | instid1(VALU_DEP_2)
	v_cndmask_b32_e32 v128, v128, v38, vcc_lo
	v_cmp_eq_u32_e32 vcc_lo, 5, v0
	;; [unrolled: 5-line block ×14, first 2 shown]
	v_cndmask_b32_e32 v128, v128, v63, vcc_lo
	v_cmp_eq_u32_e32 vcc_lo, 30, v0
	s_delay_alu instid0(VALU_DEP_2) | instskip(SKIP_1) | instid1(VALU_DEP_1)
	v_cndmask_b32_e32 v128, v128, v64, vcc_lo
	s_wait_dscnt 0x0
	v_mul_f32_e32 v132, v128, v129
	s_cbranch_execz .LBB94_373
	s_branch .LBB94_374
.LBB94_372:
                                        ; implicit-def: $vgpr132
.LBB94_373:
	ds_load_b32 v132, v131
.LBB94_374:
	s_and_saveexec_b32 s5, s0
	s_cbranch_execz .LBB94_384
; %bb.375:
	v_dual_add_nc_u32 v130, -7, v0 :: v_dual_add_nc_u32 v129, -6, v0
	v_mov_b32_e32 v128, 6
	s_mov_b32 s0, exec_lo
	s_delay_alu instid0(VALU_DEP_2)
	v_cmpx_lt_u32_e32 6, v130
	s_cbranch_execz .LBB94_379
; %bb.376:
	v_and_b32_e32 v128, -8, v129
	s_mov_b32 s6, 0
	s_mov_b64 s[2:3], 13
	s_movk_i32 s7, 0x98
	s_delay_alu instid0(VALU_DEP_1)
	v_sub_nc_u32_e32 v130, 0, v128
.LBB94_377:                             ; =>This Inner Loop Header: Depth=1
	s_add_co_i32 m0, s2, -7
	v_movrels_b32_e32 v133, v34
	v_mov_b32_e32 v128, s7
	s_add_co_i32 m0, s2, -6
	s_add_co_i32 s7, s7, 32
	v_movrels_b32_e32 v142, v34
	s_add_co_i32 m0, s2, -5
	ds_load_2addr_b64 v[134:137], v128 offset1:1
	ds_load_2addr_b64 v[138:141], v128 offset0:2 offset1:3
	v_movrels_b32_e32 v128, v34
	s_add_co_i32 m0, s2, -4
	s_wait_dscnt 0x1
	v_fmac_f32_e32 v132, v133, v134
	v_movrels_b32_e32 v133, v34
	s_add_co_i32 m0, s2, -3
	s_delay_alu instid0(VALU_DEP_2) | instskip(NEXT) | instid1(VALU_DEP_1)
	v_fmac_f32_e32 v132, v142, v135
	v_fmac_f32_e32 v132, v128, v136
	v_movrels_b32_e32 v128, v34
	s_add_co_i32 m0, s2, -2
	s_delay_alu instid0(VALU_DEP_2) | instskip(SKIP_3) | instid1(VALU_DEP_2)
	v_fmac_f32_e32 v132, v133, v137
	v_movrels_b32_e32 v133, v34
	s_add_co_i32 m0, s2, -1
	s_wait_dscnt 0x0
	v_fmac_f32_e32 v132, v128, v138
	v_movrels_b32_e32 v128, v34
	s_mov_b32 m0, s2
	s_add_nc_u64 s[2:3], s[2:3], 8
	v_movrels_b32_e32 v134, v34
	v_dual_fmac_f32 v132, v133, v139 :: v_dual_add_nc_u32 v133, s2, v130
	s_add_co_i32 s8, s2, -7
	s_delay_alu instid0(VALU_DEP_1) | instskip(NEXT) | instid1(VALU_DEP_2)
	v_fmac_f32_e32 v132, v128, v140
	v_cmp_eq_u32_e32 vcc_lo, 13, v133
	s_delay_alu instid0(VALU_DEP_2) | instskip(SKIP_1) | instid1(SALU_CYCLE_1)
	v_dual_mov_b32 v128, s8 :: v_dual_fmac_f32 v132, v134, v141
	s_or_b32 s6, vcc_lo, s6
	s_and_not1_b32 exec_lo, exec_lo, s6
	s_cbranch_execnz .LBB94_377
; %bb.378:
	s_or_b32 exec_lo, exec_lo, s6
.LBB94_379:
	s_delay_alu instid0(SALU_CYCLE_1) | instskip(SKIP_3) | instid1(VALU_DEP_1)
	s_or_b32 exec_lo, exec_lo, s0
	v_and_b32_e32 v65, 7, v129
	s_mov_b32 s2, 0
	s_mov_b32 s0, exec_lo
	v_cmpx_ne_u32_e32 0, v65
	s_cbranch_execz .LBB94_383
; %bb.380:
	v_lshl_add_u32 v130, v128, 2, 0x80
	v_mov_b32_e32 v129, 0
.LBB94_381:                             ; =>This Inner Loop Header: Depth=1
	v_cmp_eq_u32_e32 vcc_lo, 1, v128
	ds_load_b32 v134, v130
	v_dual_add_nc_u32 v65, -1, v65 :: v_dual_add_nc_u32 v130, 4, v130
	v_cndmask_b32_e32 v133, v34, v35, vcc_lo
	v_cmp_eq_u32_e32 vcc_lo, 2, v128
	s_delay_alu instid0(VALU_DEP_2) | instskip(SKIP_1) | instid1(VALU_DEP_2)
	v_cndmask_b32_e32 v133, v133, v36, vcc_lo
	v_cmp_eq_u32_e32 vcc_lo, 3, v128
	v_cndmask_b32_e32 v133, v133, v37, vcc_lo
	v_cmp_eq_u32_e32 vcc_lo, 4, v128
	s_delay_alu instid0(VALU_DEP_2) | instskip(SKIP_1) | instid1(VALU_DEP_2)
	v_cndmask_b32_e32 v133, v133, v38, vcc_lo
	v_cmp_eq_u32_e32 vcc_lo, 5, v128
	;; [unrolled: 5-line block ×14, first 2 shown]
	v_cndmask_b32_e32 v133, v133, v63, vcc_lo
	v_cmp_eq_u32_e32 vcc_lo, 30, v128
	v_add_nc_u64_e32 v[128:129], 1, v[128:129]
	s_delay_alu instid0(VALU_DEP_3) | instskip(SKIP_2) | instid1(VALU_DEP_2)
	v_cndmask_b32_e32 v133, v133, v64, vcc_lo
	v_cmp_eq_u32_e32 vcc_lo, 0, v65
	s_wait_dscnt 0x0
	v_fmac_f32_e32 v132, v133, v134
	s_or_b32 s2, vcc_lo, s2
	s_delay_alu instid0(SALU_CYCLE_1)
	s_and_not1_b32 exec_lo, exec_lo, s2
	s_cbranch_execnz .LBB94_381
; %bb.382:
	s_or_b32 exec_lo, exec_lo, s2
.LBB94_383:
	s_delay_alu instid0(SALU_CYCLE_1)
	s_or_b32 exec_lo, exec_lo, s0
.LBB94_384:
	s_delay_alu instid0(SALU_CYCLE_1)
	s_or_b32 exec_lo, exec_lo, s5
	v_mov_b32_e32 v39, 0
	ds_load_b32 v39, v39 offset:20
	s_wait_dscnt 0x0
	v_mul_f32_e32 v39, v132, v39
.LBB94_385:
	s_or_b32 exec_lo, exec_lo, s4
	v_cmp_lt_u32_e64 s0, 4, v0
	ds_store_b32 v131, v38
	s_wait_dscnt 0x0
	s_barrier_signal -1
	s_barrier_wait -1
	s_and_saveexec_b32 s4, s0
	s_cbranch_execz .LBB94_401
; %bb.386:
	s_and_not1_b32 vcc_lo, exec_lo, s31
	s_cbranch_vccnz .LBB94_388
; %bb.387:
	v_cmp_eq_u32_e32 vcc_lo, 1, v0
	ds_load_b32 v129, v131
	v_cndmask_b32_e32 v128, v34, v35, vcc_lo
	v_cmp_eq_u32_e32 vcc_lo, 2, v0
	s_delay_alu instid0(VALU_DEP_2) | instskip(SKIP_1) | instid1(VALU_DEP_2)
	v_cndmask_b32_e32 v128, v128, v36, vcc_lo
	v_cmp_eq_u32_e32 vcc_lo, 3, v0
	v_cndmask_b32_e32 v128, v128, v37, vcc_lo
	v_cmp_eq_u32_e32 vcc_lo, 4, v0
	s_delay_alu instid0(VALU_DEP_2) | instskip(SKIP_1) | instid1(VALU_DEP_2)
	v_cndmask_b32_e32 v128, v128, v38, vcc_lo
	v_cmp_eq_u32_e32 vcc_lo, 5, v0
	;; [unrolled: 5-line block ×14, first 2 shown]
	v_cndmask_b32_e32 v128, v128, v63, vcc_lo
	v_cmp_eq_u32_e32 vcc_lo, 30, v0
	s_delay_alu instid0(VALU_DEP_2) | instskip(SKIP_1) | instid1(VALU_DEP_1)
	v_cndmask_b32_e32 v128, v128, v64, vcc_lo
	s_wait_dscnt 0x0
	v_mul_f32_e32 v132, v128, v129
	s_cbranch_execz .LBB94_389
	s_branch .LBB94_390
.LBB94_388:
                                        ; implicit-def: $vgpr132
.LBB94_389:
	ds_load_b32 v132, v131
.LBB94_390:
	s_and_saveexec_b32 s5, s1
	s_cbranch_execz .LBB94_400
; %bb.391:
	v_dual_add_nc_u32 v128, -6, v0 :: v_dual_add_nc_u32 v129, -5, v0
	s_delay_alu instid0(VALU_DEP_1)
	v_cmp_lt_u32_e32 vcc_lo, 6, v128
	v_mov_b32_e32 v128, 5
	s_and_saveexec_b32 s1, vcc_lo
	s_cbranch_execz .LBB94_395
; %bb.392:
	v_and_b32_e32 v128, -8, v129
	s_mov_b32 s6, 0
	s_mov_b64 s[2:3], 12
	s_movk_i32 s7, 0x94
	s_delay_alu instid0(VALU_DEP_1)
	v_sub_nc_u32_e32 v130, 0, v128
.LBB94_393:                             ; =>This Inner Loop Header: Depth=1
	s_add_co_i32 m0, s2, -7
	v_movrels_b32_e32 v133, v34
	v_mov_b32_e32 v128, s7
	s_add_co_i32 m0, s2, -6
	s_add_co_i32 s7, s7, 32
	v_movrels_b32_e32 v142, v34
	ds_load_2addr_b32 v[134:135], v128 offset1:1
	ds_load_2addr_b32 v[136:137], v128 offset0:2 offset1:3
	s_add_co_i32 m0, s2, -5
	s_wait_dscnt 0x1
	v_fmac_f32_e32 v132, v133, v134
	ds_load_2addr_b32 v[138:139], v128 offset0:4 offset1:5
	ds_load_2addr_b32 v[140:141], v128 offset0:6 offset1:7
	v_movrels_b32_e32 v128, v34
	s_add_co_i32 m0, s2, -4
	v_fmac_f32_e32 v132, v142, v135
	v_movrels_b32_e32 v133, v34
	s_add_co_i32 m0, s2, -3
	s_wait_dscnt 0x2
	s_delay_alu instid0(VALU_DEP_2) | instskip(SKIP_2) | instid1(VALU_DEP_2)
	v_fmac_f32_e32 v132, v128, v136
	v_movrels_b32_e32 v128, v34
	s_add_co_i32 m0, s2, -2
	v_fmac_f32_e32 v132, v133, v137
	v_movrels_b32_e32 v133, v34
	s_add_co_i32 m0, s2, -1
	s_wait_dscnt 0x1
	s_delay_alu instid0(VALU_DEP_2)
	v_fmac_f32_e32 v132, v128, v138
	v_movrels_b32_e32 v128, v34
	s_mov_b32 m0, s2
	s_add_nc_u64 s[2:3], s[2:3], 8
	v_movrels_b32_e32 v134, v34
	v_dual_fmac_f32 v132, v133, v139 :: v_dual_add_nc_u32 v133, s2, v130
	s_add_co_i32 s8, s2, -7
	s_wait_dscnt 0x0
	s_delay_alu instid0(VALU_DEP_1) | instskip(NEXT) | instid1(VALU_DEP_2)
	v_fmac_f32_e32 v132, v128, v140
	v_cmp_eq_u32_e32 vcc_lo, 12, v133
	s_delay_alu instid0(VALU_DEP_2) | instskip(SKIP_1) | instid1(SALU_CYCLE_1)
	v_dual_mov_b32 v128, s8 :: v_dual_fmac_f32 v132, v134, v141
	s_or_b32 s6, vcc_lo, s6
	s_and_not1_b32 exec_lo, exec_lo, s6
	s_cbranch_execnz .LBB94_393
; %bb.394:
	s_or_b32 exec_lo, exec_lo, s6
.LBB94_395:
	s_delay_alu instid0(SALU_CYCLE_1) | instskip(SKIP_3) | instid1(VALU_DEP_1)
	s_or_b32 exec_lo, exec_lo, s1
	v_and_b32_e32 v65, 7, v129
	s_mov_b32 s2, 0
	s_mov_b32 s1, exec_lo
	v_cmpx_ne_u32_e32 0, v65
	s_cbranch_execz .LBB94_399
; %bb.396:
	v_lshl_add_u32 v130, v128, 2, 0x80
	v_mov_b32_e32 v129, 0
.LBB94_397:                             ; =>This Inner Loop Header: Depth=1
	v_cmp_eq_u32_e32 vcc_lo, 1, v128
	ds_load_b32 v134, v130
	v_dual_add_nc_u32 v65, -1, v65 :: v_dual_add_nc_u32 v130, 4, v130
	v_cndmask_b32_e32 v133, v34, v35, vcc_lo
	v_cmp_eq_u32_e32 vcc_lo, 2, v128
	s_delay_alu instid0(VALU_DEP_2) | instskip(SKIP_1) | instid1(VALU_DEP_2)
	v_cndmask_b32_e32 v133, v133, v36, vcc_lo
	v_cmp_eq_u32_e32 vcc_lo, 3, v128
	v_cndmask_b32_e32 v133, v133, v37, vcc_lo
	v_cmp_eq_u32_e32 vcc_lo, 4, v128
	s_delay_alu instid0(VALU_DEP_2) | instskip(SKIP_1) | instid1(VALU_DEP_2)
	v_cndmask_b32_e32 v133, v133, v38, vcc_lo
	v_cmp_eq_u32_e32 vcc_lo, 5, v128
	;; [unrolled: 5-line block ×14, first 2 shown]
	v_cndmask_b32_e32 v133, v133, v63, vcc_lo
	v_cmp_eq_u32_e32 vcc_lo, 30, v128
	v_add_nc_u64_e32 v[128:129], 1, v[128:129]
	s_delay_alu instid0(VALU_DEP_3) | instskip(SKIP_2) | instid1(VALU_DEP_2)
	v_cndmask_b32_e32 v133, v133, v64, vcc_lo
	v_cmp_eq_u32_e32 vcc_lo, 0, v65
	s_wait_dscnt 0x0
	v_fmac_f32_e32 v132, v133, v134
	s_or_b32 s2, vcc_lo, s2
	s_delay_alu instid0(SALU_CYCLE_1)
	s_and_not1_b32 exec_lo, exec_lo, s2
	s_cbranch_execnz .LBB94_397
; %bb.398:
	s_or_b32 exec_lo, exec_lo, s2
.LBB94_399:
	s_delay_alu instid0(SALU_CYCLE_1)
	s_or_b32 exec_lo, exec_lo, s1
.LBB94_400:
	s_delay_alu instid0(SALU_CYCLE_1)
	s_or_b32 exec_lo, exec_lo, s5
	v_mov_b32_e32 v38, 0
	ds_load_b32 v38, v38 offset:16
	s_wait_dscnt 0x0
	v_mul_f32_e32 v38, v132, v38
.LBB94_401:
	s_or_b32 exec_lo, exec_lo, s4
	v_cmp_lt_u32_e64 s1, 3, v0
	ds_store_b32 v131, v37
	s_wait_dscnt 0x0
	s_barrier_signal -1
	s_barrier_wait -1
	s_and_saveexec_b32 s4, s1
	s_cbranch_execz .LBB94_417
; %bb.402:
	s_and_not1_b32 vcc_lo, exec_lo, s31
	s_cbranch_vccnz .LBB94_404
; %bb.403:
	v_cmp_eq_u32_e32 vcc_lo, 1, v0
	ds_load_b32 v129, v131
	v_cndmask_b32_e32 v128, v34, v35, vcc_lo
	v_cmp_eq_u32_e32 vcc_lo, 2, v0
	s_delay_alu instid0(VALU_DEP_2) | instskip(SKIP_1) | instid1(VALU_DEP_2)
	v_cndmask_b32_e32 v128, v128, v36, vcc_lo
	v_cmp_eq_u32_e32 vcc_lo, 3, v0
	v_cndmask_b32_e32 v128, v128, v37, vcc_lo
	v_cmp_eq_u32_e32 vcc_lo, 4, v0
	s_delay_alu instid0(VALU_DEP_2) | instskip(SKIP_1) | instid1(VALU_DEP_2)
	v_cndmask_b32_e32 v128, v128, v38, vcc_lo
	v_cmp_eq_u32_e32 vcc_lo, 5, v0
	;; [unrolled: 5-line block ×14, first 2 shown]
	v_cndmask_b32_e32 v128, v128, v63, vcc_lo
	v_cmp_eq_u32_e32 vcc_lo, 30, v0
	s_delay_alu instid0(VALU_DEP_2) | instskip(SKIP_1) | instid1(VALU_DEP_1)
	v_cndmask_b32_e32 v128, v128, v64, vcc_lo
	s_wait_dscnt 0x0
	v_mul_f32_e32 v132, v128, v129
	s_cbranch_execz .LBB94_405
	s_branch .LBB94_406
.LBB94_404:
                                        ; implicit-def: $vgpr132
.LBB94_405:
	ds_load_b32 v132, v131
.LBB94_406:
	s_and_saveexec_b32 s5, s0
	s_cbranch_execz .LBB94_416
; %bb.407:
	v_dual_add_nc_u32 v128, -5, v0 :: v_dual_add_nc_u32 v129, -4, v0
	s_delay_alu instid0(VALU_DEP_1)
	v_cmp_lt_u32_e32 vcc_lo, 6, v128
	v_mov_b32_e32 v128, 4
	s_and_saveexec_b32 s0, vcc_lo
	s_cbranch_execz .LBB94_411
; %bb.408:
	v_and_b32_e32 v128, -8, v129
	s_mov_b32 s6, 0
	s_mov_b64 s[2:3], 5
	s_movk_i32 s7, 0x90
	s_delay_alu instid0(VALU_DEP_1)
	v_sub_nc_u32_e32 v130, 0, v128
.LBB94_409:                             ; =>This Inner Loop Header: Depth=1
	s_add_co_i32 m0, s2, -1
	v_movrels_b32_e32 v133, v34
	v_mov_b32_e32 v128, s7
	s_mov_b32 m0, s2
	s_add_co_i32 s7, s7, 32
	v_movrels_b32_e32 v142, v34
	s_add_co_i32 m0, s2, 1
	ds_load_b128 v[134:137], v128
	ds_load_b128 v[138:141], v128 offset:16
	v_movrels_b32_e32 v128, v34
	s_add_co_i32 m0, s2, 2
	s_wait_dscnt 0x1
	v_fmac_f32_e32 v132, v133, v134
	v_movrels_b32_e32 v133, v34
	s_add_co_i32 m0, s2, 3
	s_delay_alu instid0(VALU_DEP_2) | instskip(NEXT) | instid1(VALU_DEP_1)
	v_fmac_f32_e32 v132, v142, v135
	v_fmac_f32_e32 v132, v128, v136
	v_movrels_b32_e32 v128, v34
	s_add_co_i32 m0, s2, 4
	s_delay_alu instid0(VALU_DEP_2) | instskip(SKIP_3) | instid1(VALU_DEP_2)
	v_fmac_f32_e32 v132, v133, v137
	v_movrels_b32_e32 v133, v34
	s_add_co_i32 m0, s2, 5
	s_wait_dscnt 0x0
	v_fmac_f32_e32 v132, v128, v138
	v_movrels_b32_e32 v128, v34
	s_add_co_i32 m0, s2, 6
	s_add_nc_u64 s[2:3], s[2:3], 8
	v_movrels_b32_e32 v134, v34
	v_dual_fmac_f32 v132, v133, v139 :: v_dual_add_nc_u32 v133, s2, v130
	s_add_co_i32 s8, s2, -1
	s_delay_alu instid0(VALU_DEP_1) | instskip(NEXT) | instid1(VALU_DEP_2)
	v_fmac_f32_e32 v132, v128, v140
	v_cmp_eq_u32_e32 vcc_lo, 5, v133
	s_delay_alu instid0(VALU_DEP_2) | instskip(SKIP_1) | instid1(SALU_CYCLE_1)
	v_dual_mov_b32 v128, s8 :: v_dual_fmac_f32 v132, v134, v141
	s_or_b32 s6, vcc_lo, s6
	s_and_not1_b32 exec_lo, exec_lo, s6
	s_cbranch_execnz .LBB94_409
; %bb.410:
	s_or_b32 exec_lo, exec_lo, s6
.LBB94_411:
	s_delay_alu instid0(SALU_CYCLE_1) | instskip(SKIP_3) | instid1(VALU_DEP_1)
	s_or_b32 exec_lo, exec_lo, s0
	v_and_b32_e32 v65, 7, v129
	s_mov_b32 s2, 0
	s_mov_b32 s0, exec_lo
	v_cmpx_ne_u32_e32 0, v65
	s_cbranch_execz .LBB94_415
; %bb.412:
	v_lshl_add_u32 v130, v128, 2, 0x80
	v_mov_b32_e32 v129, 0
.LBB94_413:                             ; =>This Inner Loop Header: Depth=1
	v_cmp_eq_u32_e32 vcc_lo, 1, v128
	ds_load_b32 v134, v130
	v_dual_add_nc_u32 v65, -1, v65 :: v_dual_add_nc_u32 v130, 4, v130
	v_cndmask_b32_e32 v133, v34, v35, vcc_lo
	v_cmp_eq_u32_e32 vcc_lo, 2, v128
	s_delay_alu instid0(VALU_DEP_2) | instskip(SKIP_1) | instid1(VALU_DEP_2)
	v_cndmask_b32_e32 v133, v133, v36, vcc_lo
	v_cmp_eq_u32_e32 vcc_lo, 3, v128
	v_cndmask_b32_e32 v133, v133, v37, vcc_lo
	v_cmp_eq_u32_e32 vcc_lo, 4, v128
	s_delay_alu instid0(VALU_DEP_2) | instskip(SKIP_1) | instid1(VALU_DEP_2)
	v_cndmask_b32_e32 v133, v133, v38, vcc_lo
	v_cmp_eq_u32_e32 vcc_lo, 5, v128
	;; [unrolled: 5-line block ×14, first 2 shown]
	v_cndmask_b32_e32 v133, v133, v63, vcc_lo
	v_cmp_eq_u32_e32 vcc_lo, 30, v128
	v_add_nc_u64_e32 v[128:129], 1, v[128:129]
	s_delay_alu instid0(VALU_DEP_3) | instskip(SKIP_2) | instid1(VALU_DEP_2)
	v_cndmask_b32_e32 v133, v133, v64, vcc_lo
	v_cmp_eq_u32_e32 vcc_lo, 0, v65
	s_wait_dscnt 0x0
	v_fmac_f32_e32 v132, v133, v134
	s_or_b32 s2, vcc_lo, s2
	s_delay_alu instid0(SALU_CYCLE_1)
	s_and_not1_b32 exec_lo, exec_lo, s2
	s_cbranch_execnz .LBB94_413
; %bb.414:
	s_or_b32 exec_lo, exec_lo, s2
.LBB94_415:
	s_delay_alu instid0(SALU_CYCLE_1)
	s_or_b32 exec_lo, exec_lo, s0
.LBB94_416:
	s_delay_alu instid0(SALU_CYCLE_1)
	s_or_b32 exec_lo, exec_lo, s5
	v_mov_b32_e32 v37, 0
	ds_load_b32 v37, v37 offset:12
	s_wait_dscnt 0x0
	v_mul_f32_e32 v37, v132, v37
.LBB94_417:
	s_or_b32 exec_lo, exec_lo, s4
	v_cmp_lt_u32_e64 s0, 2, v0
	ds_store_b32 v131, v36
	s_wait_dscnt 0x0
	s_barrier_signal -1
	s_barrier_wait -1
	s_and_saveexec_b32 s4, s0
	s_cbranch_execz .LBB94_433
; %bb.418:
	s_and_not1_b32 vcc_lo, exec_lo, s31
	s_cbranch_vccnz .LBB94_420
; %bb.419:
	v_cmp_eq_u32_e32 vcc_lo, 1, v0
	ds_load_b32 v129, v131
	v_cndmask_b32_e32 v128, v34, v35, vcc_lo
	v_cmp_eq_u32_e32 vcc_lo, 2, v0
	s_delay_alu instid0(VALU_DEP_2) | instskip(SKIP_1) | instid1(VALU_DEP_2)
	v_cndmask_b32_e32 v128, v128, v36, vcc_lo
	v_cmp_eq_u32_e32 vcc_lo, 3, v0
	v_cndmask_b32_e32 v128, v128, v37, vcc_lo
	v_cmp_eq_u32_e32 vcc_lo, 4, v0
	s_delay_alu instid0(VALU_DEP_2) | instskip(SKIP_1) | instid1(VALU_DEP_2)
	v_cndmask_b32_e32 v128, v128, v38, vcc_lo
	v_cmp_eq_u32_e32 vcc_lo, 5, v0
	;; [unrolled: 5-line block ×14, first 2 shown]
	v_cndmask_b32_e32 v128, v128, v63, vcc_lo
	v_cmp_eq_u32_e32 vcc_lo, 30, v0
	s_delay_alu instid0(VALU_DEP_2) | instskip(SKIP_1) | instid1(VALU_DEP_1)
	v_cndmask_b32_e32 v128, v128, v64, vcc_lo
	s_wait_dscnt 0x0
	v_mul_f32_e32 v132, v128, v129
	s_cbranch_execz .LBB94_421
	s_branch .LBB94_422
.LBB94_420:
                                        ; implicit-def: $vgpr132
.LBB94_421:
	ds_load_b32 v132, v131
.LBB94_422:
	s_and_saveexec_b32 s5, s1
	s_cbranch_execz .LBB94_432
; %bb.423:
	v_dual_add_nc_u32 v128, -4, v0 :: v_dual_add_nc_u32 v129, -3, v0
	s_delay_alu instid0(VALU_DEP_1)
	v_cmp_lt_u32_e32 vcc_lo, 6, v128
	v_mov_b32_e32 v128, 3
	s_and_saveexec_b32 s1, vcc_lo
	s_cbranch_execz .LBB94_427
; %bb.424:
	v_and_b32_e32 v128, -8, v129
	s_mov_b32 s6, 0
	s_mov_b64 s[2:3], 10
	s_movk_i32 s7, 0x8c
	s_delay_alu instid0(VALU_DEP_1)
	v_sub_nc_u32_e32 v130, 0, v128
.LBB94_425:                             ; =>This Inner Loop Header: Depth=1
	s_add_co_i32 m0, s2, -7
	v_movrels_b32_e32 v133, v34
	v_mov_b32_e32 v128, s7
	s_add_co_i32 m0, s2, -6
	s_add_co_i32 s7, s7, 32
	v_movrels_b32_e32 v142, v34
	ds_load_2addr_b32 v[134:135], v128 offset1:1
	ds_load_2addr_b32 v[136:137], v128 offset0:2 offset1:3
	s_add_co_i32 m0, s2, -5
	s_wait_dscnt 0x1
	v_fmac_f32_e32 v132, v133, v134
	ds_load_2addr_b32 v[138:139], v128 offset0:4 offset1:5
	ds_load_2addr_b32 v[140:141], v128 offset0:6 offset1:7
	v_movrels_b32_e32 v128, v34
	s_add_co_i32 m0, s2, -4
	v_fmac_f32_e32 v132, v142, v135
	v_movrels_b32_e32 v133, v34
	s_add_co_i32 m0, s2, -3
	s_wait_dscnt 0x2
	s_delay_alu instid0(VALU_DEP_2) | instskip(SKIP_2) | instid1(VALU_DEP_2)
	v_fmac_f32_e32 v132, v128, v136
	v_movrels_b32_e32 v128, v34
	s_add_co_i32 m0, s2, -2
	v_fmac_f32_e32 v132, v133, v137
	v_movrels_b32_e32 v133, v34
	s_add_co_i32 m0, s2, -1
	s_wait_dscnt 0x1
	s_delay_alu instid0(VALU_DEP_2)
	v_fmac_f32_e32 v132, v128, v138
	v_movrels_b32_e32 v128, v34
	s_mov_b32 m0, s2
	s_add_nc_u64 s[2:3], s[2:3], 8
	v_movrels_b32_e32 v134, v34
	v_dual_fmac_f32 v132, v133, v139 :: v_dual_add_nc_u32 v133, s2, v130
	s_add_co_i32 s8, s2, -7
	s_wait_dscnt 0x0
	s_delay_alu instid0(VALU_DEP_1) | instskip(NEXT) | instid1(VALU_DEP_2)
	v_fmac_f32_e32 v132, v128, v140
	v_cmp_eq_u32_e32 vcc_lo, 10, v133
	s_delay_alu instid0(VALU_DEP_2) | instskip(SKIP_1) | instid1(SALU_CYCLE_1)
	v_dual_mov_b32 v128, s8 :: v_dual_fmac_f32 v132, v134, v141
	s_or_b32 s6, vcc_lo, s6
	s_and_not1_b32 exec_lo, exec_lo, s6
	s_cbranch_execnz .LBB94_425
; %bb.426:
	s_or_b32 exec_lo, exec_lo, s6
.LBB94_427:
	s_delay_alu instid0(SALU_CYCLE_1) | instskip(SKIP_3) | instid1(VALU_DEP_1)
	s_or_b32 exec_lo, exec_lo, s1
	v_and_b32_e32 v65, 7, v129
	s_mov_b32 s2, 0
	s_mov_b32 s1, exec_lo
	v_cmpx_ne_u32_e32 0, v65
	s_cbranch_execz .LBB94_431
; %bb.428:
	v_lshl_add_u32 v130, v128, 2, 0x80
	v_mov_b32_e32 v129, 0
.LBB94_429:                             ; =>This Inner Loop Header: Depth=1
	v_cmp_eq_u32_e32 vcc_lo, 1, v128
	ds_load_b32 v134, v130
	v_dual_add_nc_u32 v65, -1, v65 :: v_dual_add_nc_u32 v130, 4, v130
	v_cndmask_b32_e32 v133, v34, v35, vcc_lo
	v_cmp_eq_u32_e32 vcc_lo, 2, v128
	s_delay_alu instid0(VALU_DEP_2) | instskip(SKIP_1) | instid1(VALU_DEP_2)
	v_cndmask_b32_e32 v133, v133, v36, vcc_lo
	v_cmp_eq_u32_e32 vcc_lo, 3, v128
	v_cndmask_b32_e32 v133, v133, v37, vcc_lo
	v_cmp_eq_u32_e32 vcc_lo, 4, v128
	s_delay_alu instid0(VALU_DEP_2) | instskip(SKIP_1) | instid1(VALU_DEP_2)
	v_cndmask_b32_e32 v133, v133, v38, vcc_lo
	v_cmp_eq_u32_e32 vcc_lo, 5, v128
	v_cndmask_b32_e32 v133, v133, v39, vcc_lo
	v_cmp_eq_u32_e32 vcc_lo, 6, v128
	s_delay_alu instid0(VALU_DEP_2) | instskip(SKIP_1) | instid1(VALU_DEP_2)
	v_cndmask_b32_e32 v133, v133, v40, vcc_lo
	v_cmp_eq_u32_e32 vcc_lo, 7, v128
	v_cndmask_b32_e32 v133, v133, v41, vcc_lo
	v_cmp_eq_u32_e32 vcc_lo, 8, v128
	s_delay_alu instid0(VALU_DEP_2) | instskip(SKIP_1) | instid1(VALU_DEP_2)
	v_cndmask_b32_e32 v133, v133, v42, vcc_lo
	v_cmp_eq_u32_e32 vcc_lo, 9, v128
	v_cndmask_b32_e32 v133, v133, v43, vcc_lo
	v_cmp_eq_u32_e32 vcc_lo, 10, v128
	s_delay_alu instid0(VALU_DEP_2) | instskip(SKIP_1) | instid1(VALU_DEP_2)
	v_cndmask_b32_e32 v133, v133, v44, vcc_lo
	v_cmp_eq_u32_e32 vcc_lo, 11, v128
	v_cndmask_b32_e32 v133, v133, v45, vcc_lo
	v_cmp_eq_u32_e32 vcc_lo, 12, v128
	s_delay_alu instid0(VALU_DEP_2) | instskip(SKIP_1) | instid1(VALU_DEP_2)
	v_cndmask_b32_e32 v133, v133, v46, vcc_lo
	v_cmp_eq_u32_e32 vcc_lo, 13, v128
	v_cndmask_b32_e32 v133, v133, v47, vcc_lo
	v_cmp_eq_u32_e32 vcc_lo, 14, v128
	s_delay_alu instid0(VALU_DEP_2) | instskip(SKIP_1) | instid1(VALU_DEP_2)
	v_cndmask_b32_e32 v133, v133, v48, vcc_lo
	v_cmp_eq_u32_e32 vcc_lo, 15, v128
	v_cndmask_b32_e32 v133, v133, v49, vcc_lo
	v_cmp_eq_u32_e32 vcc_lo, 16, v128
	s_delay_alu instid0(VALU_DEP_2) | instskip(SKIP_1) | instid1(VALU_DEP_2)
	v_cndmask_b32_e32 v133, v133, v50, vcc_lo
	v_cmp_eq_u32_e32 vcc_lo, 17, v128
	v_cndmask_b32_e32 v133, v133, v51, vcc_lo
	v_cmp_eq_u32_e32 vcc_lo, 18, v128
	s_delay_alu instid0(VALU_DEP_2) | instskip(SKIP_1) | instid1(VALU_DEP_2)
	v_cndmask_b32_e32 v133, v133, v52, vcc_lo
	v_cmp_eq_u32_e32 vcc_lo, 19, v128
	v_cndmask_b32_e32 v133, v133, v53, vcc_lo
	v_cmp_eq_u32_e32 vcc_lo, 20, v128
	s_delay_alu instid0(VALU_DEP_2) | instskip(SKIP_1) | instid1(VALU_DEP_2)
	v_cndmask_b32_e32 v133, v133, v54, vcc_lo
	v_cmp_eq_u32_e32 vcc_lo, 21, v128
	v_cndmask_b32_e32 v133, v133, v55, vcc_lo
	v_cmp_eq_u32_e32 vcc_lo, 22, v128
	s_delay_alu instid0(VALU_DEP_2) | instskip(SKIP_1) | instid1(VALU_DEP_2)
	v_cndmask_b32_e32 v133, v133, v56, vcc_lo
	v_cmp_eq_u32_e32 vcc_lo, 23, v128
	v_cndmask_b32_e32 v133, v133, v57, vcc_lo
	v_cmp_eq_u32_e32 vcc_lo, 24, v128
	s_delay_alu instid0(VALU_DEP_2) | instskip(SKIP_1) | instid1(VALU_DEP_2)
	v_cndmask_b32_e32 v133, v133, v58, vcc_lo
	v_cmp_eq_u32_e32 vcc_lo, 25, v128
	v_cndmask_b32_e32 v133, v133, v59, vcc_lo
	v_cmp_eq_u32_e32 vcc_lo, 26, v128
	s_delay_alu instid0(VALU_DEP_2) | instskip(SKIP_1) | instid1(VALU_DEP_2)
	v_cndmask_b32_e32 v133, v133, v60, vcc_lo
	v_cmp_eq_u32_e32 vcc_lo, 27, v128
	v_cndmask_b32_e32 v133, v133, v61, vcc_lo
	v_cmp_eq_u32_e32 vcc_lo, 28, v128
	s_delay_alu instid0(VALU_DEP_2) | instskip(SKIP_1) | instid1(VALU_DEP_2)
	v_cndmask_b32_e32 v133, v133, v62, vcc_lo
	v_cmp_eq_u32_e32 vcc_lo, 29, v128
	v_cndmask_b32_e32 v133, v133, v63, vcc_lo
	v_cmp_eq_u32_e32 vcc_lo, 30, v128
	v_add_nc_u64_e32 v[128:129], 1, v[128:129]
	s_delay_alu instid0(VALU_DEP_3) | instskip(SKIP_2) | instid1(VALU_DEP_2)
	v_cndmask_b32_e32 v133, v133, v64, vcc_lo
	v_cmp_eq_u32_e32 vcc_lo, 0, v65
	s_wait_dscnt 0x0
	v_fmac_f32_e32 v132, v133, v134
	s_or_b32 s2, vcc_lo, s2
	s_delay_alu instid0(SALU_CYCLE_1)
	s_and_not1_b32 exec_lo, exec_lo, s2
	s_cbranch_execnz .LBB94_429
; %bb.430:
	s_or_b32 exec_lo, exec_lo, s2
.LBB94_431:
	s_delay_alu instid0(SALU_CYCLE_1)
	s_or_b32 exec_lo, exec_lo, s1
.LBB94_432:
	s_delay_alu instid0(SALU_CYCLE_1)
	s_or_b32 exec_lo, exec_lo, s5
	v_mov_b32_e32 v36, 0
	ds_load_b32 v36, v36 offset:8
	s_wait_dscnt 0x0
	v_mul_f32_e32 v36, v132, v36
.LBB94_433:
	s_or_b32 exec_lo, exec_lo, s4
	v_cmp_lt_u32_e64 s1, 1, v0
	ds_store_b32 v131, v35
	s_wait_dscnt 0x0
	s_barrier_signal -1
	s_barrier_wait -1
	s_and_saveexec_b32 s4, s1
	s_cbranch_execz .LBB94_449
; %bb.434:
	s_and_not1_b32 vcc_lo, exec_lo, s31
	s_cbranch_vccnz .LBB94_436
; %bb.435:
	v_cmp_eq_u32_e32 vcc_lo, 1, v0
	ds_load_b32 v129, v131
	v_cndmask_b32_e32 v128, v34, v35, vcc_lo
	v_cmp_eq_u32_e32 vcc_lo, 2, v0
	s_delay_alu instid0(VALU_DEP_2) | instskip(SKIP_1) | instid1(VALU_DEP_2)
	v_cndmask_b32_e32 v128, v128, v36, vcc_lo
	v_cmp_eq_u32_e32 vcc_lo, 3, v0
	v_cndmask_b32_e32 v128, v128, v37, vcc_lo
	v_cmp_eq_u32_e32 vcc_lo, 4, v0
	s_delay_alu instid0(VALU_DEP_2) | instskip(SKIP_1) | instid1(VALU_DEP_2)
	v_cndmask_b32_e32 v128, v128, v38, vcc_lo
	v_cmp_eq_u32_e32 vcc_lo, 5, v0
	;; [unrolled: 5-line block ×14, first 2 shown]
	v_cndmask_b32_e32 v128, v128, v63, vcc_lo
	v_cmp_eq_u32_e32 vcc_lo, 30, v0
	s_delay_alu instid0(VALU_DEP_2) | instskip(SKIP_1) | instid1(VALU_DEP_1)
	v_cndmask_b32_e32 v128, v128, v64, vcc_lo
	s_wait_dscnt 0x0
	v_mul_f32_e32 v132, v128, v129
	s_cbranch_execz .LBB94_437
	s_branch .LBB94_438
.LBB94_436:
                                        ; implicit-def: $vgpr132
.LBB94_437:
	ds_load_b32 v132, v131
.LBB94_438:
	s_and_saveexec_b32 s5, s0
	s_cbranch_execz .LBB94_448
; %bb.439:
	v_dual_add_nc_u32 v128, -3, v0 :: v_dual_add_nc_u32 v129, -2, v0
	s_delay_alu instid0(VALU_DEP_1)
	v_cmp_lt_u32_e32 vcc_lo, 6, v128
	v_mov_b32_e32 v128, 2
	s_and_saveexec_b32 s0, vcc_lo
	s_cbranch_execz .LBB94_443
; %bb.440:
	v_and_b32_e32 v128, -8, v129
	s_mov_b32 s6, 0
	s_mov_b64 s[2:3], 9
	s_movk_i32 s7, 0x88
	s_delay_alu instid0(VALU_DEP_1)
	v_sub_nc_u32_e32 v130, 0, v128
.LBB94_441:                             ; =>This Inner Loop Header: Depth=1
	s_add_co_i32 m0, s2, -7
	v_movrels_b32_e32 v133, v34
	v_mov_b32_e32 v128, s7
	s_add_co_i32 m0, s2, -6
	s_add_co_i32 s7, s7, 32
	v_movrels_b32_e32 v142, v34
	s_add_co_i32 m0, s2, -5
	ds_load_2addr_b64 v[134:137], v128 offset1:1
	ds_load_2addr_b64 v[138:141], v128 offset0:2 offset1:3
	v_movrels_b32_e32 v128, v34
	s_add_co_i32 m0, s2, -4
	s_wait_dscnt 0x1
	v_fmac_f32_e32 v132, v133, v134
	v_movrels_b32_e32 v133, v34
	s_add_co_i32 m0, s2, -3
	s_delay_alu instid0(VALU_DEP_2) | instskip(NEXT) | instid1(VALU_DEP_1)
	v_fmac_f32_e32 v132, v142, v135
	v_fmac_f32_e32 v132, v128, v136
	v_movrels_b32_e32 v128, v34
	s_add_co_i32 m0, s2, -2
	s_delay_alu instid0(VALU_DEP_2) | instskip(SKIP_3) | instid1(VALU_DEP_2)
	v_fmac_f32_e32 v132, v133, v137
	v_movrels_b32_e32 v133, v34
	s_add_co_i32 m0, s2, -1
	s_wait_dscnt 0x0
	v_fmac_f32_e32 v132, v128, v138
	v_movrels_b32_e32 v128, v34
	s_mov_b32 m0, s2
	s_add_nc_u64 s[2:3], s[2:3], 8
	v_movrels_b32_e32 v134, v34
	v_dual_fmac_f32 v132, v133, v139 :: v_dual_add_nc_u32 v133, s2, v130
	s_add_co_i32 s8, s2, -7
	s_delay_alu instid0(VALU_DEP_1) | instskip(NEXT) | instid1(VALU_DEP_2)
	v_fmac_f32_e32 v132, v128, v140
	v_cmp_eq_u32_e32 vcc_lo, 9, v133
	s_delay_alu instid0(VALU_DEP_2) | instskip(SKIP_1) | instid1(SALU_CYCLE_1)
	v_dual_mov_b32 v128, s8 :: v_dual_fmac_f32 v132, v134, v141
	s_or_b32 s6, vcc_lo, s6
	s_and_not1_b32 exec_lo, exec_lo, s6
	s_cbranch_execnz .LBB94_441
; %bb.442:
	s_or_b32 exec_lo, exec_lo, s6
.LBB94_443:
	s_delay_alu instid0(SALU_CYCLE_1) | instskip(SKIP_3) | instid1(VALU_DEP_1)
	s_or_b32 exec_lo, exec_lo, s0
	v_and_b32_e32 v65, 7, v129
	s_mov_b32 s2, 0
	s_mov_b32 s0, exec_lo
	v_cmpx_ne_u32_e32 0, v65
	s_cbranch_execz .LBB94_447
; %bb.444:
	v_lshl_add_u32 v130, v128, 2, 0x80
	v_mov_b32_e32 v129, 0
.LBB94_445:                             ; =>This Inner Loop Header: Depth=1
	v_cmp_eq_u32_e32 vcc_lo, 1, v128
	ds_load_b32 v134, v130
	v_dual_add_nc_u32 v65, -1, v65 :: v_dual_add_nc_u32 v130, 4, v130
	v_cndmask_b32_e32 v133, v34, v35, vcc_lo
	v_cmp_eq_u32_e32 vcc_lo, 2, v128
	s_delay_alu instid0(VALU_DEP_2) | instskip(SKIP_1) | instid1(VALU_DEP_2)
	v_cndmask_b32_e32 v133, v133, v36, vcc_lo
	v_cmp_eq_u32_e32 vcc_lo, 3, v128
	v_cndmask_b32_e32 v133, v133, v37, vcc_lo
	v_cmp_eq_u32_e32 vcc_lo, 4, v128
	s_delay_alu instid0(VALU_DEP_2) | instskip(SKIP_1) | instid1(VALU_DEP_2)
	v_cndmask_b32_e32 v133, v133, v38, vcc_lo
	v_cmp_eq_u32_e32 vcc_lo, 5, v128
	v_cndmask_b32_e32 v133, v133, v39, vcc_lo
	v_cmp_eq_u32_e32 vcc_lo, 6, v128
	s_delay_alu instid0(VALU_DEP_2) | instskip(SKIP_1) | instid1(VALU_DEP_2)
	v_cndmask_b32_e32 v133, v133, v40, vcc_lo
	v_cmp_eq_u32_e32 vcc_lo, 7, v128
	v_cndmask_b32_e32 v133, v133, v41, vcc_lo
	v_cmp_eq_u32_e32 vcc_lo, 8, v128
	s_delay_alu instid0(VALU_DEP_2) | instskip(SKIP_1) | instid1(VALU_DEP_2)
	v_cndmask_b32_e32 v133, v133, v42, vcc_lo
	v_cmp_eq_u32_e32 vcc_lo, 9, v128
	v_cndmask_b32_e32 v133, v133, v43, vcc_lo
	v_cmp_eq_u32_e32 vcc_lo, 10, v128
	s_delay_alu instid0(VALU_DEP_2) | instskip(SKIP_1) | instid1(VALU_DEP_2)
	v_cndmask_b32_e32 v133, v133, v44, vcc_lo
	v_cmp_eq_u32_e32 vcc_lo, 11, v128
	v_cndmask_b32_e32 v133, v133, v45, vcc_lo
	v_cmp_eq_u32_e32 vcc_lo, 12, v128
	s_delay_alu instid0(VALU_DEP_2) | instskip(SKIP_1) | instid1(VALU_DEP_2)
	v_cndmask_b32_e32 v133, v133, v46, vcc_lo
	v_cmp_eq_u32_e32 vcc_lo, 13, v128
	v_cndmask_b32_e32 v133, v133, v47, vcc_lo
	v_cmp_eq_u32_e32 vcc_lo, 14, v128
	s_delay_alu instid0(VALU_DEP_2) | instskip(SKIP_1) | instid1(VALU_DEP_2)
	v_cndmask_b32_e32 v133, v133, v48, vcc_lo
	v_cmp_eq_u32_e32 vcc_lo, 15, v128
	v_cndmask_b32_e32 v133, v133, v49, vcc_lo
	v_cmp_eq_u32_e32 vcc_lo, 16, v128
	s_delay_alu instid0(VALU_DEP_2) | instskip(SKIP_1) | instid1(VALU_DEP_2)
	v_cndmask_b32_e32 v133, v133, v50, vcc_lo
	v_cmp_eq_u32_e32 vcc_lo, 17, v128
	v_cndmask_b32_e32 v133, v133, v51, vcc_lo
	v_cmp_eq_u32_e32 vcc_lo, 18, v128
	s_delay_alu instid0(VALU_DEP_2) | instskip(SKIP_1) | instid1(VALU_DEP_2)
	v_cndmask_b32_e32 v133, v133, v52, vcc_lo
	v_cmp_eq_u32_e32 vcc_lo, 19, v128
	v_cndmask_b32_e32 v133, v133, v53, vcc_lo
	v_cmp_eq_u32_e32 vcc_lo, 20, v128
	s_delay_alu instid0(VALU_DEP_2) | instskip(SKIP_1) | instid1(VALU_DEP_2)
	v_cndmask_b32_e32 v133, v133, v54, vcc_lo
	v_cmp_eq_u32_e32 vcc_lo, 21, v128
	v_cndmask_b32_e32 v133, v133, v55, vcc_lo
	v_cmp_eq_u32_e32 vcc_lo, 22, v128
	s_delay_alu instid0(VALU_DEP_2) | instskip(SKIP_1) | instid1(VALU_DEP_2)
	v_cndmask_b32_e32 v133, v133, v56, vcc_lo
	v_cmp_eq_u32_e32 vcc_lo, 23, v128
	v_cndmask_b32_e32 v133, v133, v57, vcc_lo
	v_cmp_eq_u32_e32 vcc_lo, 24, v128
	s_delay_alu instid0(VALU_DEP_2) | instskip(SKIP_1) | instid1(VALU_DEP_2)
	v_cndmask_b32_e32 v133, v133, v58, vcc_lo
	v_cmp_eq_u32_e32 vcc_lo, 25, v128
	v_cndmask_b32_e32 v133, v133, v59, vcc_lo
	v_cmp_eq_u32_e32 vcc_lo, 26, v128
	s_delay_alu instid0(VALU_DEP_2) | instskip(SKIP_1) | instid1(VALU_DEP_2)
	v_cndmask_b32_e32 v133, v133, v60, vcc_lo
	v_cmp_eq_u32_e32 vcc_lo, 27, v128
	v_cndmask_b32_e32 v133, v133, v61, vcc_lo
	v_cmp_eq_u32_e32 vcc_lo, 28, v128
	s_delay_alu instid0(VALU_DEP_2) | instskip(SKIP_1) | instid1(VALU_DEP_2)
	v_cndmask_b32_e32 v133, v133, v62, vcc_lo
	v_cmp_eq_u32_e32 vcc_lo, 29, v128
	v_cndmask_b32_e32 v133, v133, v63, vcc_lo
	v_cmp_eq_u32_e32 vcc_lo, 30, v128
	v_add_nc_u64_e32 v[128:129], 1, v[128:129]
	s_delay_alu instid0(VALU_DEP_3) | instskip(SKIP_2) | instid1(VALU_DEP_2)
	v_cndmask_b32_e32 v133, v133, v64, vcc_lo
	v_cmp_eq_u32_e32 vcc_lo, 0, v65
	s_wait_dscnt 0x0
	v_fmac_f32_e32 v132, v133, v134
	s_or_b32 s2, vcc_lo, s2
	s_delay_alu instid0(SALU_CYCLE_1)
	s_and_not1_b32 exec_lo, exec_lo, s2
	s_cbranch_execnz .LBB94_445
; %bb.446:
	s_or_b32 exec_lo, exec_lo, s2
.LBB94_447:
	s_delay_alu instid0(SALU_CYCLE_1)
	s_or_b32 exec_lo, exec_lo, s0
.LBB94_448:
	s_delay_alu instid0(SALU_CYCLE_1)
	s_or_b32 exec_lo, exec_lo, s5
	v_mov_b32_e32 v35, 0
	ds_load_b32 v35, v35 offset:4
	s_wait_dscnt 0x0
	v_mul_f32_e32 v35, v132, v35
.LBB94_449:
	s_or_b32 exec_lo, exec_lo, s4
	s_mov_b32 s2, 0
	s_mov_b32 s3, exec_lo
	ds_store_b32 v131, v34
	s_wait_dscnt 0x0
	s_barrier_signal -1
	s_barrier_wait -1
	v_cmpx_ne_u32_e32 0, v0
	s_cbranch_execz .LBB94_465
; %bb.450:
	s_and_not1_b32 vcc_lo, exec_lo, s31
	s_cbranch_vccnz .LBB94_452
; %bb.451:
	v_cmp_eq_u32_e32 vcc_lo, 1, v0
	ds_load_b32 v129, v131
	v_cndmask_b32_e32 v128, v34, v35, vcc_lo
	v_cmp_eq_u32_e32 vcc_lo, 2, v0
	s_delay_alu instid0(VALU_DEP_2) | instskip(SKIP_1) | instid1(VALU_DEP_2)
	v_cndmask_b32_e32 v128, v128, v36, vcc_lo
	v_cmp_eq_u32_e32 vcc_lo, 3, v0
	v_cndmask_b32_e32 v128, v128, v37, vcc_lo
	v_cmp_eq_u32_e32 vcc_lo, 4, v0
	s_delay_alu instid0(VALU_DEP_2) | instskip(SKIP_1) | instid1(VALU_DEP_2)
	v_cndmask_b32_e32 v128, v128, v38, vcc_lo
	v_cmp_eq_u32_e32 vcc_lo, 5, v0
	;; [unrolled: 5-line block ×14, first 2 shown]
	v_cndmask_b32_e32 v128, v128, v63, vcc_lo
	v_cmp_eq_u32_e32 vcc_lo, 30, v0
	s_delay_alu instid0(VALU_DEP_2) | instskip(SKIP_1) | instid1(VALU_DEP_1)
	v_cndmask_b32_e32 v128, v128, v64, vcc_lo
	s_wait_dscnt 0x0
	v_mul_f32_e32 v132, v128, v129
	s_cbranch_execz .LBB94_453
	s_branch .LBB94_454
.LBB94_452:
                                        ; implicit-def: $vgpr132
.LBB94_453:
	ds_load_b32 v132, v131
.LBB94_454:
	s_and_saveexec_b32 s4, s1
	s_cbranch_execz .LBB94_464
; %bb.455:
	v_dual_add_nc_u32 v128, -2, v0 :: v_dual_add_nc_u32 v129, -1, v0
	s_delay_alu instid0(VALU_DEP_1)
	v_cmp_lt_u32_e32 vcc_lo, 6, v128
	v_mov_b32_e32 v128, 1
	s_and_saveexec_b32 s5, vcc_lo
	s_cbranch_execz .LBB94_459
; %bb.456:
	v_and_b32_e32 v128, -8, v129
	s_mov_b32 s6, 0
	s_mov_b64 s[0:1], 8
	s_movk_i32 s7, 0x84
	s_delay_alu instid0(VALU_DEP_1)
	v_sub_nc_u32_e32 v130, 0, v128
.LBB94_457:                             ; =>This Inner Loop Header: Depth=1
	s_add_co_i32 m0, s0, -7
	v_movrels_b32_e32 v133, v34
	v_mov_b32_e32 v128, s7
	s_add_co_i32 m0, s0, -6
	s_add_co_i32 s7, s7, 32
	v_movrels_b32_e32 v142, v34
	ds_load_2addr_b32 v[134:135], v128 offset1:1
	ds_load_2addr_b32 v[136:137], v128 offset0:2 offset1:3
	s_add_co_i32 m0, s0, -5
	s_wait_dscnt 0x1
	v_fmac_f32_e32 v132, v133, v134
	ds_load_2addr_b32 v[138:139], v128 offset0:4 offset1:5
	ds_load_2addr_b32 v[140:141], v128 offset0:6 offset1:7
	v_movrels_b32_e32 v128, v34
	s_add_co_i32 m0, s0, -4
	v_fmac_f32_e32 v132, v142, v135
	v_movrels_b32_e32 v133, v34
	s_add_co_i32 m0, s0, -3
	s_wait_dscnt 0x2
	s_delay_alu instid0(VALU_DEP_2) | instskip(SKIP_2) | instid1(VALU_DEP_2)
	v_fmac_f32_e32 v132, v128, v136
	v_movrels_b32_e32 v128, v34
	s_add_co_i32 m0, s0, -2
	v_fmac_f32_e32 v132, v133, v137
	v_movrels_b32_e32 v133, v34
	s_add_co_i32 m0, s0, -1
	s_wait_dscnt 0x1
	s_delay_alu instid0(VALU_DEP_2)
	v_fmac_f32_e32 v132, v128, v138
	v_movrels_b32_e32 v128, v34
	s_mov_b32 m0, s0
	s_add_nc_u64 s[0:1], s[0:1], 8
	v_movrels_b32_e32 v134, v34
	v_dual_fmac_f32 v132, v133, v139 :: v_dual_add_nc_u32 v133, s0, v130
	s_add_co_i32 s8, s0, -7
	s_wait_dscnt 0x0
	s_delay_alu instid0(VALU_DEP_1) | instskip(NEXT) | instid1(VALU_DEP_2)
	v_fmac_f32_e32 v132, v128, v140
	v_cmp_eq_u32_e32 vcc_lo, 8, v133
	s_delay_alu instid0(VALU_DEP_2) | instskip(SKIP_1) | instid1(SALU_CYCLE_1)
	v_dual_mov_b32 v128, s8 :: v_dual_fmac_f32 v132, v134, v141
	s_or_b32 s6, vcc_lo, s6
	s_and_not1_b32 exec_lo, exec_lo, s6
	s_cbranch_execnz .LBB94_457
; %bb.458:
	s_or_b32 exec_lo, exec_lo, s6
.LBB94_459:
	s_delay_alu instid0(SALU_CYCLE_1) | instskip(SKIP_3) | instid1(VALU_DEP_1)
	s_or_b32 exec_lo, exec_lo, s5
	v_and_b32_e32 v65, 7, v129
	s_mov_b32 s1, 0
	s_mov_b32 s0, exec_lo
	v_cmpx_ne_u32_e32 0, v65
	s_cbranch_execz .LBB94_463
; %bb.460:
	v_lshl_add_u32 v130, v128, 2, 0x80
	v_mov_b32_e32 v129, 0
.LBB94_461:                             ; =>This Inner Loop Header: Depth=1
	v_cmp_eq_u32_e32 vcc_lo, 1, v128
	ds_load_b32 v134, v130
	v_dual_add_nc_u32 v65, -1, v65 :: v_dual_add_nc_u32 v130, 4, v130
	v_cndmask_b32_e32 v133, v34, v35, vcc_lo
	v_cmp_eq_u32_e32 vcc_lo, 2, v128
	s_delay_alu instid0(VALU_DEP_2) | instskip(SKIP_1) | instid1(VALU_DEP_2)
	v_cndmask_b32_e32 v133, v133, v36, vcc_lo
	v_cmp_eq_u32_e32 vcc_lo, 3, v128
	v_cndmask_b32_e32 v133, v133, v37, vcc_lo
	v_cmp_eq_u32_e32 vcc_lo, 4, v128
	s_delay_alu instid0(VALU_DEP_2) | instskip(SKIP_1) | instid1(VALU_DEP_2)
	v_cndmask_b32_e32 v133, v133, v38, vcc_lo
	v_cmp_eq_u32_e32 vcc_lo, 5, v128
	;; [unrolled: 5-line block ×14, first 2 shown]
	v_cndmask_b32_e32 v133, v133, v63, vcc_lo
	v_cmp_eq_u32_e32 vcc_lo, 30, v128
	v_add_nc_u64_e32 v[128:129], 1, v[128:129]
	s_delay_alu instid0(VALU_DEP_3) | instskip(SKIP_2) | instid1(VALU_DEP_2)
	v_cndmask_b32_e32 v133, v133, v64, vcc_lo
	v_cmp_eq_u32_e32 vcc_lo, 0, v65
	s_wait_dscnt 0x0
	v_fmac_f32_e32 v132, v133, v134
	s_or_b32 s1, vcc_lo, s1
	s_delay_alu instid0(SALU_CYCLE_1)
	s_and_not1_b32 exec_lo, exec_lo, s1
	s_cbranch_execnz .LBB94_461
; %bb.462:
	s_or_b32 exec_lo, exec_lo, s1
.LBB94_463:
	s_delay_alu instid0(SALU_CYCLE_1)
	s_or_b32 exec_lo, exec_lo, s0
.LBB94_464:
	s_delay_alu instid0(SALU_CYCLE_1)
	s_or_b32 exec_lo, exec_lo, s4
	v_mov_b32_e32 v34, 0
	ds_load_b32 v34, v34
	s_wait_dscnt 0x0
	v_mul_f32_e32 v34, v132, v34
.LBB94_465:
	s_or_b32 exec_lo, exec_lo, s3
	s_delay_alu instid0(SALU_CYCLE_1)
	s_and_b32 vcc_lo, exec_lo, s2
	s_cbranch_vccz .LBB94_769
.LBB94_466:
	v_cmp_eq_u32_e64 s0, 0, v0
	s_wait_loadcnt_dscnt 0x1e1f
	ds_store_b32 v131, v3
	s_wait_loadcnt_dscnt 0x0
	s_barrier_signal -1
	s_barrier_wait -1
	s_and_saveexec_b32 s1, s0
	s_cbranch_execz .LBB94_472
; %bb.467:
	s_and_b32 vcc_lo, exec_lo, s31
	s_cbranch_vccz .LBB94_469
; %bb.468:
	v_cmp_eq_u32_e32 vcc_lo, 1, v0
	ds_load_b32 v33, v131
	v_cndmask_b32_e32 v3, v2, v3, vcc_lo
	v_cmp_eq_u32_e32 vcc_lo, 2, v0
	s_delay_alu instid0(VALU_DEP_2) | instskip(SKIP_1) | instid1(VALU_DEP_2)
	v_cndmask_b32_e32 v3, v3, v4, vcc_lo
	v_cmp_eq_u32_e32 vcc_lo, 3, v0
	v_cndmask_b32_e32 v3, v3, v5, vcc_lo
	v_cmp_eq_u32_e32 vcc_lo, 4, v0
	s_delay_alu instid0(VALU_DEP_2) | instskip(SKIP_1) | instid1(VALU_DEP_2)
	v_cndmask_b32_e32 v3, v3, v6, vcc_lo
	v_cmp_eq_u32_e32 vcc_lo, 5, v0
	;; [unrolled: 5-line block ×14, first 2 shown]
	v_cndmask_b32_e32 v3, v3, v31, vcc_lo
	v_cmp_eq_u32_e32 vcc_lo, 30, v0
	s_delay_alu instid0(VALU_DEP_2) | instskip(SKIP_1) | instid1(VALU_DEP_1)
	v_cndmask_b32_e32 v3, v3, v32, vcc_lo
	s_wait_dscnt 0x0
	v_mul_f32_e32 v3, v3, v33
	s_cbranch_execz .LBB94_470
	s_branch .LBB94_471
.LBB94_469:
                                        ; implicit-def: $vgpr3
.LBB94_470:
	ds_load_b32 v3, v131
.LBB94_471:
	v_mov_b32_e32 v33, 0
	ds_load_b32 v33, v33 offset:4
	s_wait_dscnt 0x0
	v_mul_f32_e32 v3, v3, v33
.LBB94_472:
	s_or_b32 exec_lo, exec_lo, s1
	v_cndmask_b32_e64 v36, 0, 1, s31
	s_mov_b32 s1, exec_lo
	ds_store_b32 v131, v4
	s_wait_dscnt 0x0
	s_barrier_signal -1
	s_barrier_wait -1
	v_cmpx_gt_u32_e32 2, v0
	s_cbranch_execz .LBB94_478
; %bb.473:
	s_and_not1_b32 vcc_lo, exec_lo, s31
	s_cbranch_vccnz .LBB94_475
; %bb.474:
	v_cmp_eq_u32_e32 vcc_lo, 1, v0
	v_cndmask_b32_e32 v33, v2, v3, vcc_lo
	v_cmp_eq_u32_e32 vcc_lo, 2, v0
	s_delay_alu instid0(VALU_DEP_2) | instskip(SKIP_4) | instid1(VALU_DEP_2)
	v_cndmask_b32_e32 v4, v33, v4, vcc_lo
	v_cmp_eq_u32_e32 vcc_lo, 3, v0
	ds_load_b32 v33, v131
	v_cndmask_b32_e32 v4, v4, v5, vcc_lo
	v_cmp_eq_u32_e32 vcc_lo, 4, v0
	v_cndmask_b32_e32 v4, v4, v6, vcc_lo
	v_cmp_eq_u32_e32 vcc_lo, 5, v0
	s_delay_alu instid0(VALU_DEP_2) | instskip(SKIP_1) | instid1(VALU_DEP_2)
	v_cndmask_b32_e32 v4, v4, v7, vcc_lo
	v_cmp_eq_u32_e32 vcc_lo, 6, v0
	v_cndmask_b32_e32 v4, v4, v8, vcc_lo
	v_cmp_eq_u32_e32 vcc_lo, 7, v0
	s_delay_alu instid0(VALU_DEP_2) | instskip(SKIP_1) | instid1(VALU_DEP_2)
	;; [unrolled: 5-line block ×13, first 2 shown]
	v_cndmask_b32_e32 v4, v4, v31, vcc_lo
	v_cmp_eq_u32_e32 vcc_lo, 30, v0
	v_cndmask_b32_e32 v4, v4, v32, vcc_lo
	s_wait_dscnt 0x0
	s_delay_alu instid0(VALU_DEP_1)
	v_mul_f32_e32 v4, v4, v33
	s_cbranch_execz .LBB94_476
	s_branch .LBB94_477
.LBB94_475:
                                        ; implicit-def: $vgpr4
.LBB94_476:
	ds_load_b32 v4, v131
.LBB94_477:
	v_mov_b32_e32 v33, 0
	ds_load_2addr_b32 v[34:35], v33 offset0:2 offset1:33
	s_wait_dscnt 0x0
	v_fma_f32 v33, v3, v35, v4
	s_delay_alu instid0(VALU_DEP_1) | instskip(NEXT) | instid1(VALU_DEP_1)
	v_cndmask_b32_e64 v4, v4, v33, s0
	v_mul_f32_e32 v4, v4, v34
.LBB94_478:
	s_or_b32 exec_lo, exec_lo, s1
	v_add_nc_u32_e32 v37, 1, v0
	v_cmp_gt_u32_e64 s1, 3, v0
	ds_store_b32 v131, v5
	s_wait_dscnt 0x0
	s_barrier_signal -1
	s_barrier_wait -1
	s_and_saveexec_b32 s2, s1
	s_cbranch_execz .LBB94_486
; %bb.479:
	v_cmp_ne_u32_e32 vcc_lo, 1, v36
	s_cbranch_vccnz .LBB94_481
; %bb.480:
	v_cmp_eq_u32_e32 vcc_lo, 1, v0
	ds_load_b32 v34, v131
	v_cndmask_b32_e32 v33, v2, v3, vcc_lo
	v_cmp_eq_u32_e32 vcc_lo, 2, v0
	s_delay_alu instid0(VALU_DEP_2) | instskip(SKIP_1) | instid1(VALU_DEP_2)
	v_cndmask_b32_e32 v33, v33, v4, vcc_lo
	v_cmp_eq_u32_e32 vcc_lo, 3, v0
	v_cndmask_b32_e32 v33, v33, v5, vcc_lo
	v_cmp_eq_u32_e32 vcc_lo, 4, v0
	s_delay_alu instid0(VALU_DEP_2) | instskip(SKIP_1) | instid1(VALU_DEP_2)
	v_cndmask_b32_e32 v33, v33, v6, vcc_lo
	v_cmp_eq_u32_e32 vcc_lo, 5, v0
	;; [unrolled: 5-line block ×14, first 2 shown]
	v_cndmask_b32_e32 v33, v33, v31, vcc_lo
	v_cmp_eq_u32_e32 vcc_lo, 30, v0
	s_delay_alu instid0(VALU_DEP_2) | instskip(SKIP_1) | instid1(VALU_DEP_1)
	v_cndmask_b32_e32 v33, v33, v32, vcc_lo
	s_wait_dscnt 0x0
	v_mul_f32_e32 v33, v33, v34
	s_cbranch_execz .LBB94_482
	s_branch .LBB94_483
.LBB94_481:
                                        ; implicit-def: $vgpr33
.LBB94_482:
	ds_load_b32 v33, v131
.LBB94_483:
	s_mov_b32 s3, exec_lo
	v_cmpx_ne_u32_e32 2, v0
	s_cbranch_execz .LBB94_485
; %bb.484:
	v_cmp_eq_u32_e32 vcc_lo, 1, v37
	v_dual_mov_b32 v35, 0 :: v_dual_cndmask_b32 v34, v2, v3
	v_cmp_eq_u32_e32 vcc_lo, 2, v37
	ds_load_b32 v35, v35 offset:136
	v_cndmask_b32_e32 v34, v34, v4, vcc_lo
	v_cmp_eq_u32_e32 vcc_lo, 3, v37
	s_delay_alu instid0(VALU_DEP_2) | instskip(SKIP_4) | instid1(VALU_DEP_2)
	v_cndmask_b32_e32 v5, v34, v5, vcc_lo
	v_cmp_eq_u32_e32 vcc_lo, 4, v37
	ds_load_b32 v34, v131 offset:4
	v_cndmask_b32_e32 v5, v5, v6, vcc_lo
	v_cmp_eq_u32_e32 vcc_lo, 5, v37
	v_cndmask_b32_e32 v5, v5, v7, vcc_lo
	v_cmp_eq_u32_e32 vcc_lo, 6, v37
	s_delay_alu instid0(VALU_DEP_2) | instskip(SKIP_1) | instid1(VALU_DEP_2)
	v_cndmask_b32_e32 v5, v5, v8, vcc_lo
	v_cmp_eq_u32_e32 vcc_lo, 7, v37
	v_cndmask_b32_e32 v5, v5, v9, vcc_lo
	v_cmp_eq_u32_e32 vcc_lo, 8, v37
	s_delay_alu instid0(VALU_DEP_2) | instskip(SKIP_1) | instid1(VALU_DEP_2)
	v_cndmask_b32_e32 v5, v5, v10, vcc_lo
	v_cmp_eq_u32_e32 vcc_lo, 9, v37
	v_cndmask_b32_e32 v5, v5, v11, vcc_lo
	v_cmp_eq_u32_e32 vcc_lo, 10, v37
	s_delay_alu instid0(VALU_DEP_2) | instskip(SKIP_1) | instid1(VALU_DEP_2)
	v_cndmask_b32_e32 v5, v5, v12, vcc_lo
	v_cmp_eq_u32_e32 vcc_lo, 11, v37
	v_cndmask_b32_e32 v5, v5, v13, vcc_lo
	v_cmp_eq_u32_e32 vcc_lo, 12, v37
	s_delay_alu instid0(VALU_DEP_2) | instskip(SKIP_1) | instid1(VALU_DEP_2)
	v_cndmask_b32_e32 v5, v5, v14, vcc_lo
	v_cmp_eq_u32_e32 vcc_lo, 13, v37
	v_cndmask_b32_e32 v5, v5, v15, vcc_lo
	v_cmp_eq_u32_e32 vcc_lo, 14, v37
	s_delay_alu instid0(VALU_DEP_2) | instskip(SKIP_1) | instid1(VALU_DEP_2)
	v_cndmask_b32_e32 v5, v5, v16, vcc_lo
	v_cmp_eq_u32_e32 vcc_lo, 15, v37
	v_cndmask_b32_e32 v5, v5, v17, vcc_lo
	v_cmp_eq_u32_e32 vcc_lo, 16, v37
	s_delay_alu instid0(VALU_DEP_2) | instskip(SKIP_1) | instid1(VALU_DEP_2)
	v_cndmask_b32_e32 v5, v5, v18, vcc_lo
	v_cmp_eq_u32_e32 vcc_lo, 17, v37
	v_cndmask_b32_e32 v5, v5, v19, vcc_lo
	v_cmp_eq_u32_e32 vcc_lo, 18, v37
	s_delay_alu instid0(VALU_DEP_2) | instskip(SKIP_1) | instid1(VALU_DEP_2)
	v_cndmask_b32_e32 v5, v5, v20, vcc_lo
	v_cmp_eq_u32_e32 vcc_lo, 19, v37
	v_cndmask_b32_e32 v5, v5, v21, vcc_lo
	v_cmp_eq_u32_e32 vcc_lo, 20, v37
	s_delay_alu instid0(VALU_DEP_2) | instskip(SKIP_1) | instid1(VALU_DEP_2)
	v_cndmask_b32_e32 v5, v5, v22, vcc_lo
	v_cmp_eq_u32_e32 vcc_lo, 21, v37
	v_cndmask_b32_e32 v5, v5, v23, vcc_lo
	v_cmp_eq_u32_e32 vcc_lo, 22, v37
	s_delay_alu instid0(VALU_DEP_2) | instskip(SKIP_1) | instid1(VALU_DEP_2)
	v_cndmask_b32_e32 v5, v5, v24, vcc_lo
	v_cmp_eq_u32_e32 vcc_lo, 23, v37
	v_cndmask_b32_e32 v5, v5, v25, vcc_lo
	v_cmp_eq_u32_e32 vcc_lo, 24, v37
	s_delay_alu instid0(VALU_DEP_2) | instskip(SKIP_1) | instid1(VALU_DEP_2)
	v_cndmask_b32_e32 v5, v5, v26, vcc_lo
	v_cmp_eq_u32_e32 vcc_lo, 25, v37
	v_cndmask_b32_e32 v5, v5, v27, vcc_lo
	v_cmp_eq_u32_e32 vcc_lo, 26, v37
	s_delay_alu instid0(VALU_DEP_2) | instskip(SKIP_1) | instid1(VALU_DEP_2)
	v_cndmask_b32_e32 v5, v5, v28, vcc_lo
	v_cmp_eq_u32_e32 vcc_lo, 27, v37
	v_cndmask_b32_e32 v5, v5, v29, vcc_lo
	v_cmp_eq_u32_e32 vcc_lo, 28, v37
	s_delay_alu instid0(VALU_DEP_2) | instskip(SKIP_1) | instid1(VALU_DEP_2)
	v_cndmask_b32_e32 v5, v5, v30, vcc_lo
	v_cmp_eq_u32_e32 vcc_lo, 29, v37
	v_cndmask_b32_e32 v5, v5, v31, vcc_lo
	v_cmp_eq_u32_e32 vcc_lo, 30, v37
	s_delay_alu instid0(VALU_DEP_2) | instskip(SKIP_1) | instid1(VALU_DEP_1)
	v_cndmask_b32_e32 v5, v5, v32, vcc_lo
	s_wait_dscnt 0x0
	v_fmac_f32_e32 v33, v5, v34
	s_delay_alu instid0(VALU_DEP_1) | instskip(NEXT) | instid1(VALU_DEP_1)
	v_fma_f32 v5, v4, v35, v33
	v_cndmask_b32_e64 v33, v33, v5, s0
.LBB94_485:
	s_or_b32 exec_lo, exec_lo, s3
	v_mov_b32_e32 v5, 0
	ds_load_b32 v5, v5 offset:12
	s_wait_dscnt 0x0
	v_mul_f32_e32 v5, v33, v5
.LBB94_486:
	s_or_b32 exec_lo, exec_lo, s2
	s_delay_alu instid0(SALU_CYCLE_1)
	s_mov_b32 s2, exec_lo
	ds_store_b32 v131, v6
	s_wait_dscnt 0x0
	s_barrier_signal -1
	s_barrier_wait -1
	v_cmpx_gt_u32_e32 4, v0
	s_cbranch_execz .LBB94_496
; %bb.487:
	v_cmp_ne_u32_e32 vcc_lo, 1, v36
	s_cbranch_vccnz .LBB94_489
; %bb.488:
	v_cmp_eq_u32_e32 vcc_lo, 1, v0
	ds_load_b32 v34, v131
	v_cndmask_b32_e32 v33, v2, v3, vcc_lo
	v_cmp_eq_u32_e32 vcc_lo, 2, v0
	s_delay_alu instid0(VALU_DEP_2) | instskip(SKIP_1) | instid1(VALU_DEP_2)
	v_cndmask_b32_e32 v33, v33, v4, vcc_lo
	v_cmp_eq_u32_e32 vcc_lo, 3, v0
	v_cndmask_b32_e32 v33, v33, v5, vcc_lo
	v_cmp_eq_u32_e32 vcc_lo, 4, v0
	s_delay_alu instid0(VALU_DEP_2) | instskip(SKIP_1) | instid1(VALU_DEP_2)
	v_cndmask_b32_e32 v33, v33, v6, vcc_lo
	v_cmp_eq_u32_e32 vcc_lo, 5, v0
	;; [unrolled: 5-line block ×14, first 2 shown]
	v_cndmask_b32_e32 v33, v33, v31, vcc_lo
	v_cmp_eq_u32_e32 vcc_lo, 30, v0
	s_delay_alu instid0(VALU_DEP_2) | instskip(SKIP_1) | instid1(VALU_DEP_1)
	v_cndmask_b32_e32 v33, v33, v32, vcc_lo
	s_wait_dscnt 0x0
	v_mul_f32_e32 v33, v33, v34
	s_cbranch_execz .LBB94_490
	s_branch .LBB94_491
.LBB94_489:
                                        ; implicit-def: $vgpr33
.LBB94_490:
	ds_load_b32 v33, v131
.LBB94_491:
	s_mov_b32 s3, exec_lo
	v_cmpx_ne_u32_e32 3, v0
	s_cbranch_execz .LBB94_495
; %bb.492:
	v_mov_b64_e32 v[34:35], v[0:1]
	v_lshl_add_u32 v38, v0, 2, 0x84
	s_mov_b32 s4, 0
.LBB94_493:                             ; =>This Inner Loop Header: Depth=1
	s_delay_alu instid0(VALU_DEP_2)
	v_add_nc_u64_e32 v[34:35], 1, v[34:35]
	ds_load_b32 v40, v38
	v_add_nc_u32_e32 v38, 4, v38
	v_cmp_eq_u32_e32 vcc_lo, 1, v34
	v_cndmask_b32_e32 v39, v2, v3, vcc_lo
	v_cmp_eq_u32_e32 vcc_lo, 2, v34
	s_delay_alu instid0(VALU_DEP_2) | instskip(SKIP_1) | instid1(VALU_DEP_2)
	v_cndmask_b32_e32 v39, v39, v4, vcc_lo
	v_cmp_eq_u32_e32 vcc_lo, 3, v34
	v_cndmask_b32_e32 v39, v39, v5, vcc_lo
	v_cmp_eq_u32_e32 vcc_lo, 4, v34
	s_delay_alu instid0(VALU_DEP_2) | instskip(SKIP_1) | instid1(VALU_DEP_2)
	v_cndmask_b32_e32 v39, v39, v6, vcc_lo
	v_cmp_eq_u32_e32 vcc_lo, 5, v34
	v_cndmask_b32_e32 v39, v39, v7, vcc_lo
	v_cmp_eq_u32_e32 vcc_lo, 6, v34
	s_delay_alu instid0(VALU_DEP_2) | instskip(SKIP_1) | instid1(VALU_DEP_2)
	v_cndmask_b32_e32 v39, v39, v8, vcc_lo
	v_cmp_eq_u32_e32 vcc_lo, 7, v34
	v_cndmask_b32_e32 v39, v39, v9, vcc_lo
	v_cmp_eq_u32_e32 vcc_lo, 8, v34
	s_delay_alu instid0(VALU_DEP_2) | instskip(SKIP_1) | instid1(VALU_DEP_2)
	v_cndmask_b32_e32 v39, v39, v10, vcc_lo
	v_cmp_eq_u32_e32 vcc_lo, 9, v34
	v_cndmask_b32_e32 v39, v39, v11, vcc_lo
	v_cmp_eq_u32_e32 vcc_lo, 10, v34
	s_delay_alu instid0(VALU_DEP_2) | instskip(SKIP_1) | instid1(VALU_DEP_2)
	v_cndmask_b32_e32 v39, v39, v12, vcc_lo
	v_cmp_eq_u32_e32 vcc_lo, 11, v34
	v_cndmask_b32_e32 v39, v39, v13, vcc_lo
	v_cmp_eq_u32_e32 vcc_lo, 12, v34
	s_delay_alu instid0(VALU_DEP_2) | instskip(SKIP_1) | instid1(VALU_DEP_2)
	v_cndmask_b32_e32 v39, v39, v14, vcc_lo
	v_cmp_eq_u32_e32 vcc_lo, 13, v34
	v_cndmask_b32_e32 v39, v39, v15, vcc_lo
	v_cmp_eq_u32_e32 vcc_lo, 14, v34
	s_delay_alu instid0(VALU_DEP_2) | instskip(SKIP_1) | instid1(VALU_DEP_2)
	v_cndmask_b32_e32 v39, v39, v16, vcc_lo
	v_cmp_eq_u32_e32 vcc_lo, 15, v34
	v_cndmask_b32_e32 v39, v39, v17, vcc_lo
	v_cmp_eq_u32_e32 vcc_lo, 16, v34
	s_delay_alu instid0(VALU_DEP_2) | instskip(SKIP_1) | instid1(VALU_DEP_2)
	v_cndmask_b32_e32 v39, v39, v18, vcc_lo
	v_cmp_eq_u32_e32 vcc_lo, 17, v34
	v_cndmask_b32_e32 v39, v39, v19, vcc_lo
	v_cmp_eq_u32_e32 vcc_lo, 18, v34
	s_delay_alu instid0(VALU_DEP_2) | instskip(SKIP_1) | instid1(VALU_DEP_2)
	v_cndmask_b32_e32 v39, v39, v20, vcc_lo
	v_cmp_eq_u32_e32 vcc_lo, 19, v34
	v_cndmask_b32_e32 v39, v39, v21, vcc_lo
	v_cmp_eq_u32_e32 vcc_lo, 20, v34
	s_delay_alu instid0(VALU_DEP_2) | instskip(SKIP_1) | instid1(VALU_DEP_2)
	v_cndmask_b32_e32 v39, v39, v22, vcc_lo
	v_cmp_eq_u32_e32 vcc_lo, 21, v34
	v_cndmask_b32_e32 v39, v39, v23, vcc_lo
	v_cmp_eq_u32_e32 vcc_lo, 22, v34
	s_delay_alu instid0(VALU_DEP_2) | instskip(SKIP_1) | instid1(VALU_DEP_2)
	v_cndmask_b32_e32 v39, v39, v24, vcc_lo
	v_cmp_eq_u32_e32 vcc_lo, 23, v34
	v_cndmask_b32_e32 v39, v39, v25, vcc_lo
	v_cmp_eq_u32_e32 vcc_lo, 24, v34
	s_delay_alu instid0(VALU_DEP_2) | instskip(SKIP_1) | instid1(VALU_DEP_2)
	v_cndmask_b32_e32 v39, v39, v26, vcc_lo
	v_cmp_eq_u32_e32 vcc_lo, 25, v34
	v_cndmask_b32_e32 v39, v39, v27, vcc_lo
	v_cmp_eq_u32_e32 vcc_lo, 26, v34
	s_delay_alu instid0(VALU_DEP_2) | instskip(SKIP_1) | instid1(VALU_DEP_2)
	v_cndmask_b32_e32 v39, v39, v28, vcc_lo
	v_cmp_eq_u32_e32 vcc_lo, 27, v34
	v_cndmask_b32_e32 v39, v39, v29, vcc_lo
	v_cmp_eq_u32_e32 vcc_lo, 28, v34
	s_delay_alu instid0(VALU_DEP_2) | instskip(SKIP_1) | instid1(VALU_DEP_2)
	v_cndmask_b32_e32 v39, v39, v30, vcc_lo
	v_cmp_eq_u32_e32 vcc_lo, 29, v34
	v_cndmask_b32_e32 v39, v39, v31, vcc_lo
	v_cmp_eq_u32_e32 vcc_lo, 30, v34
	s_delay_alu instid0(VALU_DEP_2) | instskip(SKIP_2) | instid1(VALU_DEP_2)
	v_cndmask_b32_e32 v39, v39, v32, vcc_lo
	v_cmp_lt_u32_e32 vcc_lo, 2, v34
	s_wait_dscnt 0x0
	v_fmac_f32_e32 v33, v39, v40
	s_or_b32 s4, vcc_lo, s4
	s_delay_alu instid0(SALU_CYCLE_1)
	s_and_not1_b32 exec_lo, exec_lo, s4
	s_cbranch_execnz .LBB94_493
; %bb.494:
	s_or_b32 exec_lo, exec_lo, s4
.LBB94_495:
	s_delay_alu instid0(SALU_CYCLE_1)
	s_or_b32 exec_lo, exec_lo, s3
	v_mov_b32_e32 v6, 0
	ds_load_b32 v6, v6 offset:16
	s_wait_dscnt 0x0
	v_mul_f32_e32 v6, v33, v6
.LBB94_496:
	s_or_b32 exec_lo, exec_lo, s2
	v_cmp_gt_u32_e64 s2, 5, v0
	ds_store_b32 v131, v7
	s_wait_dscnt 0x0
	s_barrier_signal -1
	s_barrier_wait -1
	s_and_saveexec_b32 s3, s2
	s_cbranch_execz .LBB94_506
; %bb.497:
	v_cmp_ne_u32_e32 vcc_lo, 1, v36
	s_cbranch_vccnz .LBB94_499
; %bb.498:
	v_cmp_eq_u32_e32 vcc_lo, 1, v0
	ds_load_b32 v34, v131
	v_cndmask_b32_e32 v33, v2, v3, vcc_lo
	v_cmp_eq_u32_e32 vcc_lo, 2, v0
	s_delay_alu instid0(VALU_DEP_2) | instskip(SKIP_1) | instid1(VALU_DEP_2)
	v_cndmask_b32_e32 v33, v33, v4, vcc_lo
	v_cmp_eq_u32_e32 vcc_lo, 3, v0
	v_cndmask_b32_e32 v33, v33, v5, vcc_lo
	v_cmp_eq_u32_e32 vcc_lo, 4, v0
	s_delay_alu instid0(VALU_DEP_2) | instskip(SKIP_1) | instid1(VALU_DEP_2)
	v_cndmask_b32_e32 v33, v33, v6, vcc_lo
	v_cmp_eq_u32_e32 vcc_lo, 5, v0
	;; [unrolled: 5-line block ×14, first 2 shown]
	v_cndmask_b32_e32 v33, v33, v31, vcc_lo
	v_cmp_eq_u32_e32 vcc_lo, 30, v0
	s_delay_alu instid0(VALU_DEP_2) | instskip(SKIP_1) | instid1(VALU_DEP_1)
	v_cndmask_b32_e32 v33, v33, v32, vcc_lo
	s_wait_dscnt 0x0
	v_mul_f32_e32 v33, v33, v34
	s_cbranch_execz .LBB94_500
	s_branch .LBB94_501
.LBB94_499:
                                        ; implicit-def: $vgpr33
.LBB94_500:
	ds_load_b32 v33, v131
.LBB94_501:
	s_mov_b32 s4, exec_lo
	v_cmpx_ne_u32_e32 4, v0
	s_cbranch_execz .LBB94_505
; %bb.502:
	v_mov_b64_e32 v[34:35], v[0:1]
	v_lshl_add_u32 v38, v0, 2, 0x84
	s_mov_b32 s5, 0
.LBB94_503:                             ; =>This Inner Loop Header: Depth=1
	s_delay_alu instid0(VALU_DEP_2)
	v_add_nc_u64_e32 v[34:35], 1, v[34:35]
	ds_load_b32 v40, v38
	v_add_nc_u32_e32 v38, 4, v38
	v_cmp_eq_u32_e32 vcc_lo, 1, v34
	v_cndmask_b32_e32 v39, v2, v3, vcc_lo
	v_cmp_eq_u32_e32 vcc_lo, 2, v34
	s_delay_alu instid0(VALU_DEP_2) | instskip(SKIP_1) | instid1(VALU_DEP_2)
	v_cndmask_b32_e32 v39, v39, v4, vcc_lo
	v_cmp_eq_u32_e32 vcc_lo, 3, v34
	v_cndmask_b32_e32 v39, v39, v5, vcc_lo
	v_cmp_eq_u32_e32 vcc_lo, 4, v34
	s_delay_alu instid0(VALU_DEP_2) | instskip(SKIP_1) | instid1(VALU_DEP_2)
	v_cndmask_b32_e32 v39, v39, v6, vcc_lo
	;; [unrolled: 5-line block ×14, first 2 shown]
	v_cmp_eq_u32_e32 vcc_lo, 29, v34
	v_cndmask_b32_e32 v39, v39, v31, vcc_lo
	v_cmp_eq_u32_e32 vcc_lo, 30, v34
	s_delay_alu instid0(VALU_DEP_2) | instskip(SKIP_2) | instid1(VALU_DEP_2)
	v_cndmask_b32_e32 v39, v39, v32, vcc_lo
	v_cmp_lt_u32_e32 vcc_lo, 3, v34
	s_wait_dscnt 0x0
	v_fmac_f32_e32 v33, v39, v40
	s_or_b32 s5, vcc_lo, s5
	s_delay_alu instid0(SALU_CYCLE_1)
	s_and_not1_b32 exec_lo, exec_lo, s5
	s_cbranch_execnz .LBB94_503
; %bb.504:
	s_or_b32 exec_lo, exec_lo, s5
.LBB94_505:
	s_delay_alu instid0(SALU_CYCLE_1)
	s_or_b32 exec_lo, exec_lo, s4
	v_mov_b32_e32 v7, 0
	ds_load_b32 v7, v7 offset:20
	s_wait_dscnt 0x0
	v_mul_f32_e32 v7, v33, v7
.LBB94_506:
	s_or_b32 exec_lo, exec_lo, s3
	s_delay_alu instid0(SALU_CYCLE_1)
	s_mov_b32 s3, exec_lo
	ds_store_b32 v131, v8
	s_wait_dscnt 0x0
	s_barrier_signal -1
	s_barrier_wait -1
	v_cmpx_gt_u32_e32 6, v0
	s_cbranch_execz .LBB94_516
; %bb.507:
	v_cmp_ne_u32_e32 vcc_lo, 1, v36
	s_cbranch_vccnz .LBB94_509
; %bb.508:
	v_cmp_eq_u32_e32 vcc_lo, 1, v0
	ds_load_b32 v34, v131
	v_cndmask_b32_e32 v33, v2, v3, vcc_lo
	v_cmp_eq_u32_e32 vcc_lo, 2, v0
	s_delay_alu instid0(VALU_DEP_2) | instskip(SKIP_1) | instid1(VALU_DEP_2)
	v_cndmask_b32_e32 v33, v33, v4, vcc_lo
	v_cmp_eq_u32_e32 vcc_lo, 3, v0
	v_cndmask_b32_e32 v33, v33, v5, vcc_lo
	v_cmp_eq_u32_e32 vcc_lo, 4, v0
	s_delay_alu instid0(VALU_DEP_2) | instskip(SKIP_1) | instid1(VALU_DEP_2)
	v_cndmask_b32_e32 v33, v33, v6, vcc_lo
	v_cmp_eq_u32_e32 vcc_lo, 5, v0
	v_cndmask_b32_e32 v33, v33, v7, vcc_lo
	v_cmp_eq_u32_e32 vcc_lo, 6, v0
	s_delay_alu instid0(VALU_DEP_2) | instskip(SKIP_1) | instid1(VALU_DEP_2)
	v_cndmask_b32_e32 v33, v33, v8, vcc_lo
	v_cmp_eq_u32_e32 vcc_lo, 7, v0
	v_cndmask_b32_e32 v33, v33, v9, vcc_lo
	v_cmp_eq_u32_e32 vcc_lo, 8, v0
	s_delay_alu instid0(VALU_DEP_2) | instskip(SKIP_1) | instid1(VALU_DEP_2)
	v_cndmask_b32_e32 v33, v33, v10, vcc_lo
	v_cmp_eq_u32_e32 vcc_lo, 9, v0
	v_cndmask_b32_e32 v33, v33, v11, vcc_lo
	v_cmp_eq_u32_e32 vcc_lo, 10, v0
	s_delay_alu instid0(VALU_DEP_2) | instskip(SKIP_1) | instid1(VALU_DEP_2)
	v_cndmask_b32_e32 v33, v33, v12, vcc_lo
	v_cmp_eq_u32_e32 vcc_lo, 11, v0
	v_cndmask_b32_e32 v33, v33, v13, vcc_lo
	v_cmp_eq_u32_e32 vcc_lo, 12, v0
	s_delay_alu instid0(VALU_DEP_2) | instskip(SKIP_1) | instid1(VALU_DEP_2)
	v_cndmask_b32_e32 v33, v33, v14, vcc_lo
	v_cmp_eq_u32_e32 vcc_lo, 13, v0
	v_cndmask_b32_e32 v33, v33, v15, vcc_lo
	v_cmp_eq_u32_e32 vcc_lo, 14, v0
	s_delay_alu instid0(VALU_DEP_2) | instskip(SKIP_1) | instid1(VALU_DEP_2)
	v_cndmask_b32_e32 v33, v33, v16, vcc_lo
	v_cmp_eq_u32_e32 vcc_lo, 15, v0
	v_cndmask_b32_e32 v33, v33, v17, vcc_lo
	v_cmp_eq_u32_e32 vcc_lo, 16, v0
	s_delay_alu instid0(VALU_DEP_2) | instskip(SKIP_1) | instid1(VALU_DEP_2)
	v_cndmask_b32_e32 v33, v33, v18, vcc_lo
	v_cmp_eq_u32_e32 vcc_lo, 17, v0
	v_cndmask_b32_e32 v33, v33, v19, vcc_lo
	v_cmp_eq_u32_e32 vcc_lo, 18, v0
	s_delay_alu instid0(VALU_DEP_2) | instskip(SKIP_1) | instid1(VALU_DEP_2)
	v_cndmask_b32_e32 v33, v33, v20, vcc_lo
	v_cmp_eq_u32_e32 vcc_lo, 19, v0
	v_cndmask_b32_e32 v33, v33, v21, vcc_lo
	v_cmp_eq_u32_e32 vcc_lo, 20, v0
	s_delay_alu instid0(VALU_DEP_2) | instskip(SKIP_1) | instid1(VALU_DEP_2)
	v_cndmask_b32_e32 v33, v33, v22, vcc_lo
	v_cmp_eq_u32_e32 vcc_lo, 21, v0
	v_cndmask_b32_e32 v33, v33, v23, vcc_lo
	v_cmp_eq_u32_e32 vcc_lo, 22, v0
	s_delay_alu instid0(VALU_DEP_2) | instskip(SKIP_1) | instid1(VALU_DEP_2)
	v_cndmask_b32_e32 v33, v33, v24, vcc_lo
	v_cmp_eq_u32_e32 vcc_lo, 23, v0
	v_cndmask_b32_e32 v33, v33, v25, vcc_lo
	v_cmp_eq_u32_e32 vcc_lo, 24, v0
	s_delay_alu instid0(VALU_DEP_2) | instskip(SKIP_1) | instid1(VALU_DEP_2)
	v_cndmask_b32_e32 v33, v33, v26, vcc_lo
	v_cmp_eq_u32_e32 vcc_lo, 25, v0
	v_cndmask_b32_e32 v33, v33, v27, vcc_lo
	v_cmp_eq_u32_e32 vcc_lo, 26, v0
	s_delay_alu instid0(VALU_DEP_2) | instskip(SKIP_1) | instid1(VALU_DEP_2)
	v_cndmask_b32_e32 v33, v33, v28, vcc_lo
	v_cmp_eq_u32_e32 vcc_lo, 27, v0
	v_cndmask_b32_e32 v33, v33, v29, vcc_lo
	v_cmp_eq_u32_e32 vcc_lo, 28, v0
	s_delay_alu instid0(VALU_DEP_2) | instskip(SKIP_1) | instid1(VALU_DEP_2)
	v_cndmask_b32_e32 v33, v33, v30, vcc_lo
	v_cmp_eq_u32_e32 vcc_lo, 29, v0
	v_cndmask_b32_e32 v33, v33, v31, vcc_lo
	v_cmp_eq_u32_e32 vcc_lo, 30, v0
	s_delay_alu instid0(VALU_DEP_2) | instskip(SKIP_1) | instid1(VALU_DEP_1)
	v_cndmask_b32_e32 v33, v33, v32, vcc_lo
	s_wait_dscnt 0x0
	v_mul_f32_e32 v33, v33, v34
	s_cbranch_execz .LBB94_510
	s_branch .LBB94_511
.LBB94_509:
                                        ; implicit-def: $vgpr33
.LBB94_510:
	ds_load_b32 v33, v131
.LBB94_511:
	s_mov_b32 s4, exec_lo
	v_cmpx_ne_u32_e32 5, v0
	s_cbranch_execz .LBB94_515
; %bb.512:
	v_mov_b64_e32 v[34:35], v[0:1]
	v_lshl_add_u32 v38, v0, 2, 0x84
	s_mov_b32 s5, 0
.LBB94_513:                             ; =>This Inner Loop Header: Depth=1
	s_delay_alu instid0(VALU_DEP_2)
	v_add_nc_u64_e32 v[34:35], 1, v[34:35]
	ds_load_b32 v40, v38
	v_add_nc_u32_e32 v38, 4, v38
	v_cmp_eq_u32_e32 vcc_lo, 1, v34
	v_cndmask_b32_e32 v39, v2, v3, vcc_lo
	v_cmp_eq_u32_e32 vcc_lo, 2, v34
	s_delay_alu instid0(VALU_DEP_2) | instskip(SKIP_1) | instid1(VALU_DEP_2)
	v_cndmask_b32_e32 v39, v39, v4, vcc_lo
	v_cmp_eq_u32_e32 vcc_lo, 3, v34
	v_cndmask_b32_e32 v39, v39, v5, vcc_lo
	v_cmp_eq_u32_e32 vcc_lo, 4, v34
	s_delay_alu instid0(VALU_DEP_2) | instskip(SKIP_1) | instid1(VALU_DEP_2)
	v_cndmask_b32_e32 v39, v39, v6, vcc_lo
	;; [unrolled: 5-line block ×14, first 2 shown]
	v_cmp_eq_u32_e32 vcc_lo, 29, v34
	v_cndmask_b32_e32 v39, v39, v31, vcc_lo
	v_cmp_eq_u32_e32 vcc_lo, 30, v34
	s_delay_alu instid0(VALU_DEP_2) | instskip(SKIP_2) | instid1(VALU_DEP_2)
	v_cndmask_b32_e32 v39, v39, v32, vcc_lo
	v_cmp_lt_u32_e32 vcc_lo, 4, v34
	s_wait_dscnt 0x0
	v_fmac_f32_e32 v33, v39, v40
	s_or_b32 s5, vcc_lo, s5
	s_delay_alu instid0(SALU_CYCLE_1)
	s_and_not1_b32 exec_lo, exec_lo, s5
	s_cbranch_execnz .LBB94_513
; %bb.514:
	s_or_b32 exec_lo, exec_lo, s5
.LBB94_515:
	s_delay_alu instid0(SALU_CYCLE_1)
	s_or_b32 exec_lo, exec_lo, s4
	v_mov_b32_e32 v8, 0
	ds_load_b32 v8, v8 offset:24
	s_wait_dscnt 0x0
	v_mul_f32_e32 v8, v33, v8
.LBB94_516:
	s_or_b32 exec_lo, exec_lo, s3
	v_cmp_gt_u32_e64 s3, 7, v0
	ds_store_b32 v131, v9
	s_wait_dscnt 0x0
	s_barrier_signal -1
	s_barrier_wait -1
	s_and_saveexec_b32 s4, s3
	s_cbranch_execz .LBB94_526
; %bb.517:
	v_cmp_ne_u32_e32 vcc_lo, 1, v36
	s_cbranch_vccnz .LBB94_519
; %bb.518:
	v_cmp_eq_u32_e32 vcc_lo, 1, v0
	ds_load_b32 v34, v131
	v_cndmask_b32_e32 v33, v2, v3, vcc_lo
	v_cmp_eq_u32_e32 vcc_lo, 2, v0
	s_delay_alu instid0(VALU_DEP_2) | instskip(SKIP_1) | instid1(VALU_DEP_2)
	v_cndmask_b32_e32 v33, v33, v4, vcc_lo
	v_cmp_eq_u32_e32 vcc_lo, 3, v0
	v_cndmask_b32_e32 v33, v33, v5, vcc_lo
	v_cmp_eq_u32_e32 vcc_lo, 4, v0
	s_delay_alu instid0(VALU_DEP_2) | instskip(SKIP_1) | instid1(VALU_DEP_2)
	v_cndmask_b32_e32 v33, v33, v6, vcc_lo
	v_cmp_eq_u32_e32 vcc_lo, 5, v0
	;; [unrolled: 5-line block ×14, first 2 shown]
	v_cndmask_b32_e32 v33, v33, v31, vcc_lo
	v_cmp_eq_u32_e32 vcc_lo, 30, v0
	s_delay_alu instid0(VALU_DEP_2) | instskip(SKIP_1) | instid1(VALU_DEP_1)
	v_cndmask_b32_e32 v33, v33, v32, vcc_lo
	s_wait_dscnt 0x0
	v_mul_f32_e32 v33, v33, v34
	s_cbranch_execz .LBB94_520
	s_branch .LBB94_521
.LBB94_519:
                                        ; implicit-def: $vgpr33
.LBB94_520:
	ds_load_b32 v33, v131
.LBB94_521:
	s_mov_b32 s5, exec_lo
	v_cmpx_ne_u32_e32 6, v0
	s_cbranch_execz .LBB94_525
; %bb.522:
	v_mov_b64_e32 v[34:35], v[0:1]
	v_lshl_add_u32 v38, v0, 2, 0x84
	s_mov_b32 s6, 0
.LBB94_523:                             ; =>This Inner Loop Header: Depth=1
	s_delay_alu instid0(VALU_DEP_2)
	v_add_nc_u64_e32 v[34:35], 1, v[34:35]
	ds_load_b32 v40, v38
	v_add_nc_u32_e32 v38, 4, v38
	v_cmp_eq_u32_e32 vcc_lo, 1, v34
	v_cndmask_b32_e32 v39, v2, v3, vcc_lo
	v_cmp_eq_u32_e32 vcc_lo, 2, v34
	s_delay_alu instid0(VALU_DEP_2) | instskip(SKIP_1) | instid1(VALU_DEP_2)
	v_cndmask_b32_e32 v39, v39, v4, vcc_lo
	v_cmp_eq_u32_e32 vcc_lo, 3, v34
	v_cndmask_b32_e32 v39, v39, v5, vcc_lo
	v_cmp_eq_u32_e32 vcc_lo, 4, v34
	s_delay_alu instid0(VALU_DEP_2) | instskip(SKIP_1) | instid1(VALU_DEP_2)
	v_cndmask_b32_e32 v39, v39, v6, vcc_lo
	;; [unrolled: 5-line block ×14, first 2 shown]
	v_cmp_eq_u32_e32 vcc_lo, 29, v34
	v_cndmask_b32_e32 v39, v39, v31, vcc_lo
	v_cmp_eq_u32_e32 vcc_lo, 30, v34
	s_delay_alu instid0(VALU_DEP_2) | instskip(SKIP_2) | instid1(VALU_DEP_2)
	v_cndmask_b32_e32 v39, v39, v32, vcc_lo
	v_cmp_lt_u32_e32 vcc_lo, 5, v34
	s_wait_dscnt 0x0
	v_fmac_f32_e32 v33, v39, v40
	s_or_b32 s6, vcc_lo, s6
	s_delay_alu instid0(SALU_CYCLE_1)
	s_and_not1_b32 exec_lo, exec_lo, s6
	s_cbranch_execnz .LBB94_523
; %bb.524:
	s_or_b32 exec_lo, exec_lo, s6
.LBB94_525:
	s_delay_alu instid0(SALU_CYCLE_1)
	s_or_b32 exec_lo, exec_lo, s5
	v_mov_b32_e32 v9, 0
	ds_load_b32 v9, v9 offset:28
	s_wait_dscnt 0x0
	v_mul_f32_e32 v9, v33, v9
.LBB94_526:
	s_or_b32 exec_lo, exec_lo, s4
	s_delay_alu instid0(SALU_CYCLE_1)
	s_mov_b32 s4, exec_lo
	ds_store_b32 v131, v10
	s_wait_dscnt 0x0
	s_barrier_signal -1
	s_barrier_wait -1
	v_cmpx_gt_u32_e32 8, v0
	s_cbranch_execz .LBB94_536
; %bb.527:
	v_cmp_ne_u32_e32 vcc_lo, 1, v36
	s_cbranch_vccnz .LBB94_529
; %bb.528:
	v_cmp_eq_u32_e32 vcc_lo, 1, v0
	ds_load_b32 v34, v131
	v_cndmask_b32_e32 v33, v2, v3, vcc_lo
	v_cmp_eq_u32_e32 vcc_lo, 2, v0
	s_delay_alu instid0(VALU_DEP_2) | instskip(SKIP_1) | instid1(VALU_DEP_2)
	v_cndmask_b32_e32 v33, v33, v4, vcc_lo
	v_cmp_eq_u32_e32 vcc_lo, 3, v0
	v_cndmask_b32_e32 v33, v33, v5, vcc_lo
	v_cmp_eq_u32_e32 vcc_lo, 4, v0
	s_delay_alu instid0(VALU_DEP_2) | instskip(SKIP_1) | instid1(VALU_DEP_2)
	v_cndmask_b32_e32 v33, v33, v6, vcc_lo
	v_cmp_eq_u32_e32 vcc_lo, 5, v0
	;; [unrolled: 5-line block ×14, first 2 shown]
	v_cndmask_b32_e32 v33, v33, v31, vcc_lo
	v_cmp_eq_u32_e32 vcc_lo, 30, v0
	s_delay_alu instid0(VALU_DEP_2) | instskip(SKIP_1) | instid1(VALU_DEP_1)
	v_cndmask_b32_e32 v33, v33, v32, vcc_lo
	s_wait_dscnt 0x0
	v_mul_f32_e32 v33, v33, v34
	s_cbranch_execz .LBB94_530
	s_branch .LBB94_531
.LBB94_529:
                                        ; implicit-def: $vgpr33
.LBB94_530:
	ds_load_b32 v33, v131
.LBB94_531:
	s_mov_b32 s5, exec_lo
	v_cmpx_ne_u32_e32 7, v0
	s_cbranch_execz .LBB94_535
; %bb.532:
	v_mov_b64_e32 v[34:35], v[0:1]
	v_lshl_add_u32 v38, v0, 2, 0x84
	s_mov_b32 s6, 0
.LBB94_533:                             ; =>This Inner Loop Header: Depth=1
	s_delay_alu instid0(VALU_DEP_2)
	v_add_nc_u64_e32 v[34:35], 1, v[34:35]
	ds_load_b32 v40, v38
	v_add_nc_u32_e32 v38, 4, v38
	v_cmp_eq_u32_e32 vcc_lo, 1, v34
	v_cndmask_b32_e32 v39, v2, v3, vcc_lo
	v_cmp_eq_u32_e32 vcc_lo, 2, v34
	s_delay_alu instid0(VALU_DEP_2) | instskip(SKIP_1) | instid1(VALU_DEP_2)
	v_cndmask_b32_e32 v39, v39, v4, vcc_lo
	v_cmp_eq_u32_e32 vcc_lo, 3, v34
	v_cndmask_b32_e32 v39, v39, v5, vcc_lo
	v_cmp_eq_u32_e32 vcc_lo, 4, v34
	s_delay_alu instid0(VALU_DEP_2) | instskip(SKIP_1) | instid1(VALU_DEP_2)
	v_cndmask_b32_e32 v39, v39, v6, vcc_lo
	;; [unrolled: 5-line block ×14, first 2 shown]
	v_cmp_eq_u32_e32 vcc_lo, 29, v34
	v_cndmask_b32_e32 v39, v39, v31, vcc_lo
	v_cmp_eq_u32_e32 vcc_lo, 30, v34
	s_delay_alu instid0(VALU_DEP_2) | instskip(SKIP_2) | instid1(VALU_DEP_2)
	v_cndmask_b32_e32 v39, v39, v32, vcc_lo
	v_cmp_lt_u32_e32 vcc_lo, 6, v34
	s_wait_dscnt 0x0
	v_fmac_f32_e32 v33, v39, v40
	s_or_b32 s6, vcc_lo, s6
	s_delay_alu instid0(SALU_CYCLE_1)
	s_and_not1_b32 exec_lo, exec_lo, s6
	s_cbranch_execnz .LBB94_533
; %bb.534:
	s_or_b32 exec_lo, exec_lo, s6
.LBB94_535:
	s_delay_alu instid0(SALU_CYCLE_1)
	s_or_b32 exec_lo, exec_lo, s5
	v_mov_b32_e32 v10, 0
	ds_load_b32 v10, v10 offset:32
	s_wait_dscnt 0x0
	v_mul_f32_e32 v10, v33, v10
.LBB94_536:
	s_or_b32 exec_lo, exec_lo, s4
	s_delay_alu instid0(SALU_CYCLE_1)
	s_mov_b32 s4, exec_lo
	ds_store_b32 v131, v11
	s_wait_dscnt 0x0
	s_barrier_signal -1
	s_barrier_wait -1
	v_cmpx_gt_u32_e32 9, v0
	s_cbranch_execz .LBB94_558
; %bb.537:
	v_cmp_ne_u32_e32 vcc_lo, 1, v36
	s_cbranch_vccnz .LBB94_539
; %bb.538:
	v_cmp_eq_u32_e32 vcc_lo, 1, v0
	ds_load_b32 v34, v131
	v_cndmask_b32_e32 v33, v2, v3, vcc_lo
	v_cmp_eq_u32_e32 vcc_lo, 2, v0
	s_delay_alu instid0(VALU_DEP_2) | instskip(SKIP_1) | instid1(VALU_DEP_2)
	v_cndmask_b32_e32 v33, v33, v4, vcc_lo
	v_cmp_eq_u32_e32 vcc_lo, 3, v0
	v_cndmask_b32_e32 v33, v33, v5, vcc_lo
	v_cmp_eq_u32_e32 vcc_lo, 4, v0
	s_delay_alu instid0(VALU_DEP_2) | instskip(SKIP_1) | instid1(VALU_DEP_2)
	v_cndmask_b32_e32 v33, v33, v6, vcc_lo
	v_cmp_eq_u32_e32 vcc_lo, 5, v0
	;; [unrolled: 5-line block ×14, first 2 shown]
	v_cndmask_b32_e32 v33, v33, v31, vcc_lo
	v_cmp_eq_u32_e32 vcc_lo, 30, v0
	s_delay_alu instid0(VALU_DEP_2) | instskip(SKIP_1) | instid1(VALU_DEP_1)
	v_cndmask_b32_e32 v33, v33, v32, vcc_lo
	s_wait_dscnt 0x0
	v_mul_f32_e32 v33, v33, v34
	s_cbranch_execz .LBB94_540
	s_branch .LBB94_541
.LBB94_539:
                                        ; implicit-def: $vgpr33
.LBB94_540:
	ds_load_b32 v33, v131
.LBB94_541:
	s_mov_b32 s5, exec_lo
	v_cmpx_ne_u32_e32 8, v0
	s_cbranch_execz .LBB94_557
; %bb.542:
	v_cmp_eq_u32_e32 vcc_lo, 1, v37
	ds_load_b32 v35, v131 offset:4
	v_cndmask_b32_e32 v34, v2, v3, vcc_lo
	v_cmp_eq_u32_e32 vcc_lo, 2, v37
	s_delay_alu instid0(VALU_DEP_2) | instskip(SKIP_1) | instid1(VALU_DEP_2)
	v_cndmask_b32_e32 v34, v34, v4, vcc_lo
	v_cmp_eq_u32_e32 vcc_lo, 3, v37
	v_cndmask_b32_e32 v34, v34, v5, vcc_lo
	v_cmp_eq_u32_e32 vcc_lo, 4, v37
	s_delay_alu instid0(VALU_DEP_2) | instskip(SKIP_1) | instid1(VALU_DEP_2)
	v_cndmask_b32_e32 v34, v34, v6, vcc_lo
	v_cmp_eq_u32_e32 vcc_lo, 5, v37
	;; [unrolled: 5-line block ×14, first 2 shown]
	v_cndmask_b32_e32 v34, v34, v31, vcc_lo
	v_cmp_eq_u32_e32 vcc_lo, 30, v37
	s_delay_alu instid0(VALU_DEP_2) | instskip(SKIP_1) | instid1(VALU_DEP_1)
	v_cndmask_b32_e32 v34, v34, v32, vcc_lo
	s_wait_dscnt 0x0
	v_fmac_f32_e32 v33, v34, v35
	s_and_saveexec_b32 s6, s3
	s_cbranch_execz .LBB94_556
; %bb.543:
	v_add_nc_u32_e32 v34, 2, v0
	ds_load_b32 v37, v131 offset:8
	s_mov_b32 s3, exec_lo
	v_cmp_eq_u32_e32 vcc_lo, 1, v34
	v_cndmask_b32_e32 v35, v2, v3, vcc_lo
	v_cmp_eq_u32_e32 vcc_lo, 2, v34
	s_delay_alu instid0(VALU_DEP_2) | instskip(SKIP_1) | instid1(VALU_DEP_2)
	v_cndmask_b32_e32 v35, v35, v4, vcc_lo
	v_cmp_eq_u32_e32 vcc_lo, 3, v34
	v_cndmask_b32_e32 v35, v35, v5, vcc_lo
	v_cmp_eq_u32_e32 vcc_lo, 4, v34
	s_delay_alu instid0(VALU_DEP_2) | instskip(SKIP_1) | instid1(VALU_DEP_2)
	v_cndmask_b32_e32 v35, v35, v6, vcc_lo
	;; [unrolled: 5-line block ×14, first 2 shown]
	v_cmp_eq_u32_e32 vcc_lo, 29, v34
	v_cndmask_b32_e32 v35, v35, v31, vcc_lo
	v_cmp_eq_u32_e32 vcc_lo, 30, v34
	s_delay_alu instid0(VALU_DEP_2) | instskip(SKIP_1) | instid1(VALU_DEP_1)
	v_cndmask_b32_e32 v34, v35, v32, vcc_lo
	s_wait_dscnt 0x0
	v_fmac_f32_e32 v33, v34, v37
	v_cmpx_ne_u32_e32 6, v0
	s_cbranch_execz .LBB94_555
; %bb.544:
	v_add_nc_u32_e32 v34, 3, v0
	ds_load_b32 v37, v131 offset:12
	v_cmp_eq_u32_e32 vcc_lo, 1, v34
	v_cndmask_b32_e32 v35, v2, v3, vcc_lo
	v_cmp_eq_u32_e32 vcc_lo, 2, v34
	s_delay_alu instid0(VALU_DEP_2) | instskip(SKIP_1) | instid1(VALU_DEP_2)
	v_cndmask_b32_e32 v35, v35, v4, vcc_lo
	v_cmp_eq_u32_e32 vcc_lo, 3, v34
	v_cndmask_b32_e32 v35, v35, v5, vcc_lo
	v_cmp_eq_u32_e32 vcc_lo, 4, v34
	s_delay_alu instid0(VALU_DEP_2) | instskip(SKIP_1) | instid1(VALU_DEP_2)
	v_cndmask_b32_e32 v35, v35, v6, vcc_lo
	;; [unrolled: 5-line block ×14, first 2 shown]
	v_cmp_eq_u32_e32 vcc_lo, 29, v34
	v_cndmask_b32_e32 v35, v35, v31, vcc_lo
	v_cmp_eq_u32_e32 vcc_lo, 30, v34
	s_delay_alu instid0(VALU_DEP_2) | instskip(SKIP_1) | instid1(VALU_DEP_1)
	v_cndmask_b32_e32 v34, v35, v32, vcc_lo
	s_wait_dscnt 0x0
	v_fmac_f32_e32 v33, v34, v37
	s_and_saveexec_b32 s7, s2
	s_cbranch_execz .LBB94_554
; %bb.545:
	v_add_nc_u32_e32 v34, 4, v0
	ds_load_b32 v37, v131 offset:16
	s_mov_b32 s2, exec_lo
	v_cmp_eq_u32_e32 vcc_lo, 1, v34
	v_cndmask_b32_e32 v35, v2, v3, vcc_lo
	v_cmp_eq_u32_e32 vcc_lo, 2, v34
	s_delay_alu instid0(VALU_DEP_2) | instskip(SKIP_1) | instid1(VALU_DEP_2)
	v_cndmask_b32_e32 v35, v35, v4, vcc_lo
	v_cmp_eq_u32_e32 vcc_lo, 3, v34
	v_cndmask_b32_e32 v35, v35, v5, vcc_lo
	v_cmp_eq_u32_e32 vcc_lo, 4, v34
	s_delay_alu instid0(VALU_DEP_2) | instskip(SKIP_1) | instid1(VALU_DEP_2)
	v_cndmask_b32_e32 v35, v35, v6, vcc_lo
	;; [unrolled: 5-line block ×14, first 2 shown]
	v_cmp_eq_u32_e32 vcc_lo, 29, v34
	v_cndmask_b32_e32 v35, v35, v31, vcc_lo
	v_cmp_eq_u32_e32 vcc_lo, 30, v34
	s_delay_alu instid0(VALU_DEP_2) | instskip(SKIP_1) | instid1(VALU_DEP_1)
	v_cndmask_b32_e32 v34, v35, v32, vcc_lo
	s_wait_dscnt 0x0
	v_fmac_f32_e32 v33, v34, v37
	v_cmpx_ne_u32_e32 4, v0
	s_cbranch_execz .LBB94_553
; %bb.546:
	v_add_nc_u32_e32 v34, 5, v0
	ds_load_b32 v37, v131 offset:20
	v_cmp_eq_u32_e32 vcc_lo, 1, v34
	v_cndmask_b32_e32 v35, v2, v3, vcc_lo
	v_cmp_eq_u32_e32 vcc_lo, 2, v34
	s_delay_alu instid0(VALU_DEP_2) | instskip(SKIP_1) | instid1(VALU_DEP_2)
	v_cndmask_b32_e32 v35, v35, v4, vcc_lo
	v_cmp_eq_u32_e32 vcc_lo, 3, v34
	v_cndmask_b32_e32 v35, v35, v5, vcc_lo
	v_cmp_eq_u32_e32 vcc_lo, 4, v34
	s_delay_alu instid0(VALU_DEP_2) | instskip(SKIP_1) | instid1(VALU_DEP_2)
	v_cndmask_b32_e32 v35, v35, v6, vcc_lo
	;; [unrolled: 5-line block ×14, first 2 shown]
	v_cmp_eq_u32_e32 vcc_lo, 29, v34
	v_cndmask_b32_e32 v35, v35, v31, vcc_lo
	v_cmp_eq_u32_e32 vcc_lo, 30, v34
	s_delay_alu instid0(VALU_DEP_2) | instskip(SKIP_1) | instid1(VALU_DEP_1)
	v_cndmask_b32_e32 v34, v35, v32, vcc_lo
	s_wait_dscnt 0x0
	v_fmac_f32_e32 v33, v34, v37
	s_and_saveexec_b32 s8, s1
	s_cbranch_execz .LBB94_552
; %bb.547:
	v_add_nc_u32_e32 v34, 6, v0
	ds_load_b32 v37, v131 offset:24
	s_mov_b32 s1, exec_lo
	v_cmp_eq_u32_e32 vcc_lo, 1, v34
	v_cndmask_b32_e32 v35, v2, v3, vcc_lo
	v_cmp_eq_u32_e32 vcc_lo, 2, v34
	s_delay_alu instid0(VALU_DEP_2) | instskip(SKIP_1) | instid1(VALU_DEP_2)
	v_cndmask_b32_e32 v35, v35, v4, vcc_lo
	v_cmp_eq_u32_e32 vcc_lo, 3, v34
	v_cndmask_b32_e32 v35, v35, v5, vcc_lo
	v_cmp_eq_u32_e32 vcc_lo, 4, v34
	s_delay_alu instid0(VALU_DEP_2) | instskip(SKIP_1) | instid1(VALU_DEP_2)
	v_cndmask_b32_e32 v35, v35, v6, vcc_lo
	;; [unrolled: 5-line block ×14, first 2 shown]
	v_cmp_eq_u32_e32 vcc_lo, 29, v34
	v_cndmask_b32_e32 v35, v35, v31, vcc_lo
	v_cmp_eq_u32_e32 vcc_lo, 30, v34
	s_delay_alu instid0(VALU_DEP_2) | instskip(SKIP_1) | instid1(VALU_DEP_1)
	v_cndmask_b32_e32 v34, v35, v32, vcc_lo
	s_wait_dscnt 0x0
	v_fmac_f32_e32 v33, v34, v37
	v_cmpx_ne_u32_e32 2, v0
	s_cbranch_execz .LBB94_551
; %bb.548:
	v_add_nc_u32_e32 v34, 7, v0
	s_delay_alu instid0(VALU_DEP_1) | instskip(SKIP_2) | instid1(VALU_DEP_2)
	v_cmp_eq_u32_e32 vcc_lo, 1, v34
	v_cndmask_b32_e32 v35, v2, v3, vcc_lo
	v_cmp_eq_u32_e32 vcc_lo, 2, v34
	v_cndmask_b32_e32 v35, v35, v4, vcc_lo
	v_cmp_eq_u32_e32 vcc_lo, 3, v34
	s_delay_alu instid0(VALU_DEP_2) | instskip(SKIP_1) | instid1(VALU_DEP_2)
	v_cndmask_b32_e32 v35, v35, v5, vcc_lo
	v_cmp_eq_u32_e32 vcc_lo, 4, v34
	v_cndmask_b32_e32 v35, v35, v6, vcc_lo
	v_cmp_eq_u32_e32 vcc_lo, 5, v34
	s_delay_alu instid0(VALU_DEP_2) | instskip(SKIP_1) | instid1(VALU_DEP_2)
	;; [unrolled: 5-line block ×3, first 2 shown]
	v_cndmask_b32_e32 v35, v35, v9, vcc_lo
	v_cmp_eq_u32_e32 vcc_lo, 8, v34
	v_cndmask_b32_e32 v35, v35, v10, vcc_lo
	v_cmp_eq_u32_e32 vcc_lo, 9, v34
	s_delay_alu instid0(VALU_DEP_2) | instskip(SKIP_4) | instid1(VALU_DEP_2)
	v_cndmask_b32_e32 v11, v35, v11, vcc_lo
	v_cmp_eq_u32_e32 vcc_lo, 10, v34
	ds_load_b32 v35, v131 offset:28
	v_cndmask_b32_e32 v11, v11, v12, vcc_lo
	v_cmp_eq_u32_e32 vcc_lo, 11, v34
	v_cndmask_b32_e32 v11, v11, v13, vcc_lo
	v_cmp_eq_u32_e32 vcc_lo, 12, v34
	s_delay_alu instid0(VALU_DEP_2) | instskip(SKIP_1) | instid1(VALU_DEP_2)
	v_cndmask_b32_e32 v11, v11, v14, vcc_lo
	v_cmp_eq_u32_e32 vcc_lo, 13, v34
	v_cndmask_b32_e32 v11, v11, v15, vcc_lo
	v_cmp_eq_u32_e32 vcc_lo, 14, v34
	s_delay_alu instid0(VALU_DEP_2) | instskip(SKIP_1) | instid1(VALU_DEP_2)
	;; [unrolled: 5-line block ×9, first 2 shown]
	v_cndmask_b32_e32 v11, v11, v30, vcc_lo
	v_cmp_eq_u32_e32 vcc_lo, 29, v34
	v_cndmask_b32_e32 v11, v11, v31, vcc_lo
	v_cmp_eq_u32_e32 vcc_lo, 30, v34
	s_delay_alu instid0(VALU_DEP_2) | instskip(SKIP_1) | instid1(VALU_DEP_1)
	v_cndmask_b32_e32 v11, v11, v32, vcc_lo
	s_wait_dscnt 0x0
	v_fmac_f32_e32 v33, v11, v35
	s_and_saveexec_b32 s9, s0
	s_cbranch_execz .LBB94_550
; %bb.549:
	ds_load_b32 v11, v131 offset:32
	s_wait_dscnt 0x0
	v_fmac_f32_e32 v33, v10, v11
.LBB94_550:
	s_or_b32 exec_lo, exec_lo, s9
.LBB94_551:
	s_delay_alu instid0(SALU_CYCLE_1)
	s_or_b32 exec_lo, exec_lo, s1
.LBB94_552:
	s_delay_alu instid0(SALU_CYCLE_1)
	s_or_b32 exec_lo, exec_lo, s8
.LBB94_553:
	s_delay_alu instid0(SALU_CYCLE_1)
	s_or_b32 exec_lo, exec_lo, s2
.LBB94_554:
	s_delay_alu instid0(SALU_CYCLE_1)
	s_or_b32 exec_lo, exec_lo, s7
.LBB94_555:
	s_delay_alu instid0(SALU_CYCLE_1)
	s_or_b32 exec_lo, exec_lo, s3
.LBB94_556:
	s_delay_alu instid0(SALU_CYCLE_1)
	s_or_b32 exec_lo, exec_lo, s6
.LBB94_557:
	s_delay_alu instid0(SALU_CYCLE_1)
	s_or_b32 exec_lo, exec_lo, s5
	v_mov_b32_e32 v11, 0
	ds_load_b32 v11, v11 offset:36
	s_wait_dscnt 0x0
	v_mul_f32_e32 v11, v33, v11
.LBB94_558:
	s_or_b32 exec_lo, exec_lo, s4
	s_delay_alu instid0(SALU_CYCLE_1)
	s_mov_b32 s0, exec_lo
	ds_store_b32 v131, v12
	s_wait_dscnt 0x0
	s_barrier_signal -1
	s_barrier_wait -1
	v_cmpx_gt_u32_e32 10, v0
	s_cbranch_execz .LBB94_568
; %bb.559:
	v_cmp_ne_u32_e32 vcc_lo, 1, v36
	s_cbranch_vccnz .LBB94_561
; %bb.560:
	v_cmp_eq_u32_e32 vcc_lo, 1, v0
	ds_load_b32 v34, v131
	v_cndmask_b32_e32 v33, v2, v3, vcc_lo
	v_cmp_eq_u32_e32 vcc_lo, 2, v0
	s_delay_alu instid0(VALU_DEP_2) | instskip(SKIP_1) | instid1(VALU_DEP_2)
	v_cndmask_b32_e32 v33, v33, v4, vcc_lo
	v_cmp_eq_u32_e32 vcc_lo, 3, v0
	v_cndmask_b32_e32 v33, v33, v5, vcc_lo
	v_cmp_eq_u32_e32 vcc_lo, 4, v0
	s_delay_alu instid0(VALU_DEP_2) | instskip(SKIP_1) | instid1(VALU_DEP_2)
	v_cndmask_b32_e32 v33, v33, v6, vcc_lo
	v_cmp_eq_u32_e32 vcc_lo, 5, v0
	;; [unrolled: 5-line block ×14, first 2 shown]
	v_cndmask_b32_e32 v33, v33, v31, vcc_lo
	v_cmp_eq_u32_e32 vcc_lo, 30, v0
	s_delay_alu instid0(VALU_DEP_2) | instskip(SKIP_1) | instid1(VALU_DEP_1)
	v_cndmask_b32_e32 v33, v33, v32, vcc_lo
	s_wait_dscnt 0x0
	v_mul_f32_e32 v33, v33, v34
	s_cbranch_execz .LBB94_562
	s_branch .LBB94_563
.LBB94_561:
                                        ; implicit-def: $vgpr33
.LBB94_562:
	ds_load_b32 v33, v131
.LBB94_563:
	s_mov_b32 s1, exec_lo
	v_cmpx_ne_u32_e32 9, v0
	s_cbranch_execz .LBB94_567
; %bb.564:
	v_mov_b64_e32 v[34:35], v[0:1]
	v_lshl_add_u32 v37, v0, 2, 0x84
	s_mov_b32 s2, 0
.LBB94_565:                             ; =>This Inner Loop Header: Depth=1
	s_delay_alu instid0(VALU_DEP_2)
	v_add_nc_u64_e32 v[34:35], 1, v[34:35]
	ds_load_b32 v39, v37
	v_add_nc_u32_e32 v37, 4, v37
	v_cmp_eq_u32_e32 vcc_lo, 1, v34
	v_cndmask_b32_e32 v38, v2, v3, vcc_lo
	v_cmp_eq_u32_e32 vcc_lo, 2, v34
	s_delay_alu instid0(VALU_DEP_2) | instskip(SKIP_1) | instid1(VALU_DEP_2)
	v_cndmask_b32_e32 v38, v38, v4, vcc_lo
	v_cmp_eq_u32_e32 vcc_lo, 3, v34
	v_cndmask_b32_e32 v38, v38, v5, vcc_lo
	v_cmp_eq_u32_e32 vcc_lo, 4, v34
	s_delay_alu instid0(VALU_DEP_2) | instskip(SKIP_1) | instid1(VALU_DEP_2)
	v_cndmask_b32_e32 v38, v38, v6, vcc_lo
	;; [unrolled: 5-line block ×14, first 2 shown]
	v_cmp_eq_u32_e32 vcc_lo, 29, v34
	v_cndmask_b32_e32 v38, v38, v31, vcc_lo
	v_cmp_eq_u32_e32 vcc_lo, 30, v34
	s_delay_alu instid0(VALU_DEP_2) | instskip(SKIP_2) | instid1(VALU_DEP_2)
	v_cndmask_b32_e32 v38, v38, v32, vcc_lo
	v_cmp_lt_u32_e32 vcc_lo, 8, v34
	s_wait_dscnt 0x0
	v_fmac_f32_e32 v33, v38, v39
	s_or_b32 s2, vcc_lo, s2
	s_delay_alu instid0(SALU_CYCLE_1)
	s_and_not1_b32 exec_lo, exec_lo, s2
	s_cbranch_execnz .LBB94_565
; %bb.566:
	s_or_b32 exec_lo, exec_lo, s2
.LBB94_567:
	s_delay_alu instid0(SALU_CYCLE_1)
	s_or_b32 exec_lo, exec_lo, s1
	v_mov_b32_e32 v12, 0
	ds_load_b32 v12, v12 offset:40
	s_wait_dscnt 0x0
	v_mul_f32_e32 v12, v33, v12
.LBB94_568:
	s_or_b32 exec_lo, exec_lo, s0
	s_delay_alu instid0(SALU_CYCLE_1)
	s_mov_b32 s0, exec_lo
	ds_store_b32 v131, v13
	s_wait_dscnt 0x0
	s_barrier_signal -1
	s_barrier_wait -1
	v_cmpx_gt_u32_e32 11, v0
	s_cbranch_execz .LBB94_578
; %bb.569:
	v_cmp_ne_u32_e32 vcc_lo, 1, v36
	s_cbranch_vccnz .LBB94_571
; %bb.570:
	v_cmp_eq_u32_e32 vcc_lo, 1, v0
	ds_load_b32 v34, v131
	v_cndmask_b32_e32 v33, v2, v3, vcc_lo
	v_cmp_eq_u32_e32 vcc_lo, 2, v0
	s_delay_alu instid0(VALU_DEP_2) | instskip(SKIP_1) | instid1(VALU_DEP_2)
	v_cndmask_b32_e32 v33, v33, v4, vcc_lo
	v_cmp_eq_u32_e32 vcc_lo, 3, v0
	v_cndmask_b32_e32 v33, v33, v5, vcc_lo
	v_cmp_eq_u32_e32 vcc_lo, 4, v0
	s_delay_alu instid0(VALU_DEP_2) | instskip(SKIP_1) | instid1(VALU_DEP_2)
	v_cndmask_b32_e32 v33, v33, v6, vcc_lo
	v_cmp_eq_u32_e32 vcc_lo, 5, v0
	;; [unrolled: 5-line block ×14, first 2 shown]
	v_cndmask_b32_e32 v33, v33, v31, vcc_lo
	v_cmp_eq_u32_e32 vcc_lo, 30, v0
	s_delay_alu instid0(VALU_DEP_2) | instskip(SKIP_1) | instid1(VALU_DEP_1)
	v_cndmask_b32_e32 v33, v33, v32, vcc_lo
	s_wait_dscnt 0x0
	v_mul_f32_e32 v33, v33, v34
	s_cbranch_execz .LBB94_572
	s_branch .LBB94_573
.LBB94_571:
                                        ; implicit-def: $vgpr33
.LBB94_572:
	ds_load_b32 v33, v131
.LBB94_573:
	s_mov_b32 s1, exec_lo
	v_cmpx_ne_u32_e32 10, v0
	s_cbranch_execz .LBB94_577
; %bb.574:
	v_mov_b64_e32 v[34:35], v[0:1]
	v_lshl_add_u32 v37, v0, 2, 0x84
	s_mov_b32 s2, 0
.LBB94_575:                             ; =>This Inner Loop Header: Depth=1
	s_delay_alu instid0(VALU_DEP_2)
	v_add_nc_u64_e32 v[34:35], 1, v[34:35]
	ds_load_b32 v39, v37
	v_add_nc_u32_e32 v37, 4, v37
	v_cmp_eq_u32_e32 vcc_lo, 1, v34
	v_cndmask_b32_e32 v38, v2, v3, vcc_lo
	v_cmp_eq_u32_e32 vcc_lo, 2, v34
	s_delay_alu instid0(VALU_DEP_2) | instskip(SKIP_1) | instid1(VALU_DEP_2)
	v_cndmask_b32_e32 v38, v38, v4, vcc_lo
	v_cmp_eq_u32_e32 vcc_lo, 3, v34
	v_cndmask_b32_e32 v38, v38, v5, vcc_lo
	v_cmp_eq_u32_e32 vcc_lo, 4, v34
	s_delay_alu instid0(VALU_DEP_2) | instskip(SKIP_1) | instid1(VALU_DEP_2)
	v_cndmask_b32_e32 v38, v38, v6, vcc_lo
	;; [unrolled: 5-line block ×14, first 2 shown]
	v_cmp_eq_u32_e32 vcc_lo, 29, v34
	v_cndmask_b32_e32 v38, v38, v31, vcc_lo
	v_cmp_eq_u32_e32 vcc_lo, 30, v34
	s_delay_alu instid0(VALU_DEP_2) | instskip(SKIP_2) | instid1(VALU_DEP_2)
	v_cndmask_b32_e32 v38, v38, v32, vcc_lo
	v_cmp_lt_u32_e32 vcc_lo, 9, v34
	s_wait_dscnt 0x0
	v_fmac_f32_e32 v33, v38, v39
	s_or_b32 s2, vcc_lo, s2
	s_delay_alu instid0(SALU_CYCLE_1)
	s_and_not1_b32 exec_lo, exec_lo, s2
	s_cbranch_execnz .LBB94_575
; %bb.576:
	s_or_b32 exec_lo, exec_lo, s2
.LBB94_577:
	s_delay_alu instid0(SALU_CYCLE_1)
	s_or_b32 exec_lo, exec_lo, s1
	v_mov_b32_e32 v13, 0
	ds_load_b32 v13, v13 offset:44
	s_wait_dscnt 0x0
	v_mul_f32_e32 v13, v33, v13
.LBB94_578:
	s_or_b32 exec_lo, exec_lo, s0
	s_delay_alu instid0(SALU_CYCLE_1)
	s_mov_b32 s0, exec_lo
	ds_store_b32 v131, v14
	s_wait_dscnt 0x0
	s_barrier_signal -1
	s_barrier_wait -1
	v_cmpx_gt_u32_e32 12, v0
	s_cbranch_execz .LBB94_588
; %bb.579:
	v_cmp_ne_u32_e32 vcc_lo, 1, v36
	s_cbranch_vccnz .LBB94_581
; %bb.580:
	v_cmp_eq_u32_e32 vcc_lo, 1, v0
	ds_load_b32 v34, v131
	v_cndmask_b32_e32 v33, v2, v3, vcc_lo
	v_cmp_eq_u32_e32 vcc_lo, 2, v0
	s_delay_alu instid0(VALU_DEP_2) | instskip(SKIP_1) | instid1(VALU_DEP_2)
	v_cndmask_b32_e32 v33, v33, v4, vcc_lo
	v_cmp_eq_u32_e32 vcc_lo, 3, v0
	v_cndmask_b32_e32 v33, v33, v5, vcc_lo
	v_cmp_eq_u32_e32 vcc_lo, 4, v0
	s_delay_alu instid0(VALU_DEP_2) | instskip(SKIP_1) | instid1(VALU_DEP_2)
	v_cndmask_b32_e32 v33, v33, v6, vcc_lo
	v_cmp_eq_u32_e32 vcc_lo, 5, v0
	;; [unrolled: 5-line block ×14, first 2 shown]
	v_cndmask_b32_e32 v33, v33, v31, vcc_lo
	v_cmp_eq_u32_e32 vcc_lo, 30, v0
	s_delay_alu instid0(VALU_DEP_2) | instskip(SKIP_1) | instid1(VALU_DEP_1)
	v_cndmask_b32_e32 v33, v33, v32, vcc_lo
	s_wait_dscnt 0x0
	v_mul_f32_e32 v33, v33, v34
	s_cbranch_execz .LBB94_582
	s_branch .LBB94_583
.LBB94_581:
                                        ; implicit-def: $vgpr33
.LBB94_582:
	ds_load_b32 v33, v131
.LBB94_583:
	s_mov_b32 s1, exec_lo
	v_cmpx_ne_u32_e32 11, v0
	s_cbranch_execz .LBB94_587
; %bb.584:
	v_mov_b64_e32 v[34:35], v[0:1]
	v_lshl_add_u32 v37, v0, 2, 0x84
	s_mov_b32 s2, 0
.LBB94_585:                             ; =>This Inner Loop Header: Depth=1
	s_delay_alu instid0(VALU_DEP_2)
	v_add_nc_u64_e32 v[34:35], 1, v[34:35]
	ds_load_b32 v39, v37
	v_add_nc_u32_e32 v37, 4, v37
	v_cmp_eq_u32_e32 vcc_lo, 1, v34
	v_cndmask_b32_e32 v38, v2, v3, vcc_lo
	v_cmp_eq_u32_e32 vcc_lo, 2, v34
	s_delay_alu instid0(VALU_DEP_2) | instskip(SKIP_1) | instid1(VALU_DEP_2)
	v_cndmask_b32_e32 v38, v38, v4, vcc_lo
	v_cmp_eq_u32_e32 vcc_lo, 3, v34
	v_cndmask_b32_e32 v38, v38, v5, vcc_lo
	v_cmp_eq_u32_e32 vcc_lo, 4, v34
	s_delay_alu instid0(VALU_DEP_2) | instskip(SKIP_1) | instid1(VALU_DEP_2)
	v_cndmask_b32_e32 v38, v38, v6, vcc_lo
	;; [unrolled: 5-line block ×14, first 2 shown]
	v_cmp_eq_u32_e32 vcc_lo, 29, v34
	v_cndmask_b32_e32 v38, v38, v31, vcc_lo
	v_cmp_eq_u32_e32 vcc_lo, 30, v34
	s_delay_alu instid0(VALU_DEP_2) | instskip(SKIP_2) | instid1(VALU_DEP_2)
	v_cndmask_b32_e32 v38, v38, v32, vcc_lo
	v_cmp_lt_u32_e32 vcc_lo, 10, v34
	s_wait_dscnt 0x0
	v_fmac_f32_e32 v33, v38, v39
	s_or_b32 s2, vcc_lo, s2
	s_delay_alu instid0(SALU_CYCLE_1)
	s_and_not1_b32 exec_lo, exec_lo, s2
	s_cbranch_execnz .LBB94_585
; %bb.586:
	s_or_b32 exec_lo, exec_lo, s2
.LBB94_587:
	s_delay_alu instid0(SALU_CYCLE_1)
	s_or_b32 exec_lo, exec_lo, s1
	v_mov_b32_e32 v14, 0
	ds_load_b32 v14, v14 offset:48
	s_wait_dscnt 0x0
	v_mul_f32_e32 v14, v33, v14
.LBB94_588:
	s_or_b32 exec_lo, exec_lo, s0
	s_delay_alu instid0(SALU_CYCLE_1)
	s_mov_b32 s0, exec_lo
	ds_store_b32 v131, v15
	s_wait_dscnt 0x0
	s_barrier_signal -1
	s_barrier_wait -1
	v_cmpx_gt_u32_e32 13, v0
	s_cbranch_execz .LBB94_598
; %bb.589:
	v_cmp_ne_u32_e32 vcc_lo, 1, v36
	s_cbranch_vccnz .LBB94_591
; %bb.590:
	v_cmp_eq_u32_e32 vcc_lo, 1, v0
	ds_load_b32 v34, v131
	v_cndmask_b32_e32 v33, v2, v3, vcc_lo
	v_cmp_eq_u32_e32 vcc_lo, 2, v0
	s_delay_alu instid0(VALU_DEP_2) | instskip(SKIP_1) | instid1(VALU_DEP_2)
	v_cndmask_b32_e32 v33, v33, v4, vcc_lo
	v_cmp_eq_u32_e32 vcc_lo, 3, v0
	v_cndmask_b32_e32 v33, v33, v5, vcc_lo
	v_cmp_eq_u32_e32 vcc_lo, 4, v0
	s_delay_alu instid0(VALU_DEP_2) | instskip(SKIP_1) | instid1(VALU_DEP_2)
	v_cndmask_b32_e32 v33, v33, v6, vcc_lo
	v_cmp_eq_u32_e32 vcc_lo, 5, v0
	;; [unrolled: 5-line block ×14, first 2 shown]
	v_cndmask_b32_e32 v33, v33, v31, vcc_lo
	v_cmp_eq_u32_e32 vcc_lo, 30, v0
	s_delay_alu instid0(VALU_DEP_2) | instskip(SKIP_1) | instid1(VALU_DEP_1)
	v_cndmask_b32_e32 v33, v33, v32, vcc_lo
	s_wait_dscnt 0x0
	v_mul_f32_e32 v33, v33, v34
	s_cbranch_execz .LBB94_592
	s_branch .LBB94_593
.LBB94_591:
                                        ; implicit-def: $vgpr33
.LBB94_592:
	ds_load_b32 v33, v131
.LBB94_593:
	s_mov_b32 s1, exec_lo
	v_cmpx_ne_u32_e32 12, v0
	s_cbranch_execz .LBB94_597
; %bb.594:
	v_mov_b64_e32 v[34:35], v[0:1]
	v_lshl_add_u32 v37, v0, 2, 0x84
	s_mov_b32 s2, 0
.LBB94_595:                             ; =>This Inner Loop Header: Depth=1
	s_delay_alu instid0(VALU_DEP_2)
	v_add_nc_u64_e32 v[34:35], 1, v[34:35]
	ds_load_b32 v39, v37
	v_add_nc_u32_e32 v37, 4, v37
	v_cmp_eq_u32_e32 vcc_lo, 1, v34
	v_cndmask_b32_e32 v38, v2, v3, vcc_lo
	v_cmp_eq_u32_e32 vcc_lo, 2, v34
	s_delay_alu instid0(VALU_DEP_2) | instskip(SKIP_1) | instid1(VALU_DEP_2)
	v_cndmask_b32_e32 v38, v38, v4, vcc_lo
	v_cmp_eq_u32_e32 vcc_lo, 3, v34
	v_cndmask_b32_e32 v38, v38, v5, vcc_lo
	v_cmp_eq_u32_e32 vcc_lo, 4, v34
	s_delay_alu instid0(VALU_DEP_2) | instskip(SKIP_1) | instid1(VALU_DEP_2)
	v_cndmask_b32_e32 v38, v38, v6, vcc_lo
	;; [unrolled: 5-line block ×14, first 2 shown]
	v_cmp_eq_u32_e32 vcc_lo, 29, v34
	v_cndmask_b32_e32 v38, v38, v31, vcc_lo
	v_cmp_eq_u32_e32 vcc_lo, 30, v34
	s_delay_alu instid0(VALU_DEP_2) | instskip(SKIP_2) | instid1(VALU_DEP_2)
	v_cndmask_b32_e32 v38, v38, v32, vcc_lo
	v_cmp_lt_u32_e32 vcc_lo, 11, v34
	s_wait_dscnt 0x0
	v_fmac_f32_e32 v33, v38, v39
	s_or_b32 s2, vcc_lo, s2
	s_delay_alu instid0(SALU_CYCLE_1)
	s_and_not1_b32 exec_lo, exec_lo, s2
	s_cbranch_execnz .LBB94_595
; %bb.596:
	s_or_b32 exec_lo, exec_lo, s2
.LBB94_597:
	s_delay_alu instid0(SALU_CYCLE_1)
	s_or_b32 exec_lo, exec_lo, s1
	v_mov_b32_e32 v15, 0
	ds_load_b32 v15, v15 offset:52
	s_wait_dscnt 0x0
	v_mul_f32_e32 v15, v33, v15
.LBB94_598:
	s_or_b32 exec_lo, exec_lo, s0
	s_delay_alu instid0(SALU_CYCLE_1)
	s_mov_b32 s0, exec_lo
	ds_store_b32 v131, v16
	s_wait_dscnt 0x0
	s_barrier_signal -1
	s_barrier_wait -1
	v_cmpx_gt_u32_e32 14, v0
	s_cbranch_execz .LBB94_608
; %bb.599:
	v_cmp_ne_u32_e32 vcc_lo, 1, v36
	s_cbranch_vccnz .LBB94_601
; %bb.600:
	v_cmp_eq_u32_e32 vcc_lo, 1, v0
	ds_load_b32 v34, v131
	v_cndmask_b32_e32 v33, v2, v3, vcc_lo
	v_cmp_eq_u32_e32 vcc_lo, 2, v0
	s_delay_alu instid0(VALU_DEP_2) | instskip(SKIP_1) | instid1(VALU_DEP_2)
	v_cndmask_b32_e32 v33, v33, v4, vcc_lo
	v_cmp_eq_u32_e32 vcc_lo, 3, v0
	v_cndmask_b32_e32 v33, v33, v5, vcc_lo
	v_cmp_eq_u32_e32 vcc_lo, 4, v0
	s_delay_alu instid0(VALU_DEP_2) | instskip(SKIP_1) | instid1(VALU_DEP_2)
	v_cndmask_b32_e32 v33, v33, v6, vcc_lo
	v_cmp_eq_u32_e32 vcc_lo, 5, v0
	;; [unrolled: 5-line block ×14, first 2 shown]
	v_cndmask_b32_e32 v33, v33, v31, vcc_lo
	v_cmp_eq_u32_e32 vcc_lo, 30, v0
	s_delay_alu instid0(VALU_DEP_2) | instskip(SKIP_1) | instid1(VALU_DEP_1)
	v_cndmask_b32_e32 v33, v33, v32, vcc_lo
	s_wait_dscnt 0x0
	v_mul_f32_e32 v33, v33, v34
	s_cbranch_execz .LBB94_602
	s_branch .LBB94_603
.LBB94_601:
                                        ; implicit-def: $vgpr33
.LBB94_602:
	ds_load_b32 v33, v131
.LBB94_603:
	s_mov_b32 s1, exec_lo
	v_cmpx_ne_u32_e32 13, v0
	s_cbranch_execz .LBB94_607
; %bb.604:
	v_mov_b64_e32 v[34:35], v[0:1]
	v_lshl_add_u32 v37, v0, 2, 0x84
	s_mov_b32 s2, 0
.LBB94_605:                             ; =>This Inner Loop Header: Depth=1
	s_delay_alu instid0(VALU_DEP_2)
	v_add_nc_u64_e32 v[34:35], 1, v[34:35]
	ds_load_b32 v39, v37
	v_add_nc_u32_e32 v37, 4, v37
	v_cmp_eq_u32_e32 vcc_lo, 1, v34
	v_cndmask_b32_e32 v38, v2, v3, vcc_lo
	v_cmp_eq_u32_e32 vcc_lo, 2, v34
	s_delay_alu instid0(VALU_DEP_2) | instskip(SKIP_1) | instid1(VALU_DEP_2)
	v_cndmask_b32_e32 v38, v38, v4, vcc_lo
	v_cmp_eq_u32_e32 vcc_lo, 3, v34
	v_cndmask_b32_e32 v38, v38, v5, vcc_lo
	v_cmp_eq_u32_e32 vcc_lo, 4, v34
	s_delay_alu instid0(VALU_DEP_2) | instskip(SKIP_1) | instid1(VALU_DEP_2)
	v_cndmask_b32_e32 v38, v38, v6, vcc_lo
	v_cmp_eq_u32_e32 vcc_lo, 5, v34
	v_cndmask_b32_e32 v38, v38, v7, vcc_lo
	v_cmp_eq_u32_e32 vcc_lo, 6, v34
	s_delay_alu instid0(VALU_DEP_2) | instskip(SKIP_1) | instid1(VALU_DEP_2)
	v_cndmask_b32_e32 v38, v38, v8, vcc_lo
	v_cmp_eq_u32_e32 vcc_lo, 7, v34
	v_cndmask_b32_e32 v38, v38, v9, vcc_lo
	v_cmp_eq_u32_e32 vcc_lo, 8, v34
	s_delay_alu instid0(VALU_DEP_2) | instskip(SKIP_1) | instid1(VALU_DEP_2)
	v_cndmask_b32_e32 v38, v38, v10, vcc_lo
	v_cmp_eq_u32_e32 vcc_lo, 9, v34
	v_cndmask_b32_e32 v38, v38, v11, vcc_lo
	v_cmp_eq_u32_e32 vcc_lo, 10, v34
	s_delay_alu instid0(VALU_DEP_2) | instskip(SKIP_1) | instid1(VALU_DEP_2)
	v_cndmask_b32_e32 v38, v38, v12, vcc_lo
	v_cmp_eq_u32_e32 vcc_lo, 11, v34
	v_cndmask_b32_e32 v38, v38, v13, vcc_lo
	v_cmp_eq_u32_e32 vcc_lo, 12, v34
	s_delay_alu instid0(VALU_DEP_2) | instskip(SKIP_1) | instid1(VALU_DEP_2)
	v_cndmask_b32_e32 v38, v38, v14, vcc_lo
	v_cmp_eq_u32_e32 vcc_lo, 13, v34
	v_cndmask_b32_e32 v38, v38, v15, vcc_lo
	v_cmp_eq_u32_e32 vcc_lo, 14, v34
	s_delay_alu instid0(VALU_DEP_2) | instskip(SKIP_1) | instid1(VALU_DEP_2)
	v_cndmask_b32_e32 v38, v38, v16, vcc_lo
	v_cmp_eq_u32_e32 vcc_lo, 15, v34
	v_cndmask_b32_e32 v38, v38, v17, vcc_lo
	v_cmp_eq_u32_e32 vcc_lo, 16, v34
	s_delay_alu instid0(VALU_DEP_2) | instskip(SKIP_1) | instid1(VALU_DEP_2)
	v_cndmask_b32_e32 v38, v38, v18, vcc_lo
	v_cmp_eq_u32_e32 vcc_lo, 17, v34
	v_cndmask_b32_e32 v38, v38, v19, vcc_lo
	v_cmp_eq_u32_e32 vcc_lo, 18, v34
	s_delay_alu instid0(VALU_DEP_2) | instskip(SKIP_1) | instid1(VALU_DEP_2)
	v_cndmask_b32_e32 v38, v38, v20, vcc_lo
	v_cmp_eq_u32_e32 vcc_lo, 19, v34
	v_cndmask_b32_e32 v38, v38, v21, vcc_lo
	v_cmp_eq_u32_e32 vcc_lo, 20, v34
	s_delay_alu instid0(VALU_DEP_2) | instskip(SKIP_1) | instid1(VALU_DEP_2)
	v_cndmask_b32_e32 v38, v38, v22, vcc_lo
	v_cmp_eq_u32_e32 vcc_lo, 21, v34
	v_cndmask_b32_e32 v38, v38, v23, vcc_lo
	v_cmp_eq_u32_e32 vcc_lo, 22, v34
	s_delay_alu instid0(VALU_DEP_2) | instskip(SKIP_1) | instid1(VALU_DEP_2)
	v_cndmask_b32_e32 v38, v38, v24, vcc_lo
	v_cmp_eq_u32_e32 vcc_lo, 23, v34
	v_cndmask_b32_e32 v38, v38, v25, vcc_lo
	v_cmp_eq_u32_e32 vcc_lo, 24, v34
	s_delay_alu instid0(VALU_DEP_2) | instskip(SKIP_1) | instid1(VALU_DEP_2)
	v_cndmask_b32_e32 v38, v38, v26, vcc_lo
	v_cmp_eq_u32_e32 vcc_lo, 25, v34
	v_cndmask_b32_e32 v38, v38, v27, vcc_lo
	v_cmp_eq_u32_e32 vcc_lo, 26, v34
	s_delay_alu instid0(VALU_DEP_2) | instskip(SKIP_1) | instid1(VALU_DEP_2)
	v_cndmask_b32_e32 v38, v38, v28, vcc_lo
	v_cmp_eq_u32_e32 vcc_lo, 27, v34
	v_cndmask_b32_e32 v38, v38, v29, vcc_lo
	v_cmp_eq_u32_e32 vcc_lo, 28, v34
	s_delay_alu instid0(VALU_DEP_2) | instskip(SKIP_1) | instid1(VALU_DEP_2)
	v_cndmask_b32_e32 v38, v38, v30, vcc_lo
	v_cmp_eq_u32_e32 vcc_lo, 29, v34
	v_cndmask_b32_e32 v38, v38, v31, vcc_lo
	v_cmp_eq_u32_e32 vcc_lo, 30, v34
	s_delay_alu instid0(VALU_DEP_2) | instskip(SKIP_2) | instid1(VALU_DEP_2)
	v_cndmask_b32_e32 v38, v38, v32, vcc_lo
	v_cmp_lt_u32_e32 vcc_lo, 12, v34
	s_wait_dscnt 0x0
	v_fmac_f32_e32 v33, v38, v39
	s_or_b32 s2, vcc_lo, s2
	s_delay_alu instid0(SALU_CYCLE_1)
	s_and_not1_b32 exec_lo, exec_lo, s2
	s_cbranch_execnz .LBB94_605
; %bb.606:
	s_or_b32 exec_lo, exec_lo, s2
.LBB94_607:
	s_delay_alu instid0(SALU_CYCLE_1)
	s_or_b32 exec_lo, exec_lo, s1
	v_mov_b32_e32 v16, 0
	ds_load_b32 v16, v16 offset:56
	s_wait_dscnt 0x0
	v_mul_f32_e32 v16, v33, v16
.LBB94_608:
	s_or_b32 exec_lo, exec_lo, s0
	s_delay_alu instid0(SALU_CYCLE_1)
	s_mov_b32 s0, exec_lo
	ds_store_b32 v131, v17
	s_wait_dscnt 0x0
	s_barrier_signal -1
	s_barrier_wait -1
	v_cmpx_gt_u32_e32 15, v0
	s_cbranch_execz .LBB94_618
; %bb.609:
	v_cmp_ne_u32_e32 vcc_lo, 1, v36
	s_cbranch_vccnz .LBB94_611
; %bb.610:
	v_cmp_eq_u32_e32 vcc_lo, 1, v0
	ds_load_b32 v34, v131
	v_cndmask_b32_e32 v33, v2, v3, vcc_lo
	v_cmp_eq_u32_e32 vcc_lo, 2, v0
	s_delay_alu instid0(VALU_DEP_2) | instskip(SKIP_1) | instid1(VALU_DEP_2)
	v_cndmask_b32_e32 v33, v33, v4, vcc_lo
	v_cmp_eq_u32_e32 vcc_lo, 3, v0
	v_cndmask_b32_e32 v33, v33, v5, vcc_lo
	v_cmp_eq_u32_e32 vcc_lo, 4, v0
	s_delay_alu instid0(VALU_DEP_2) | instskip(SKIP_1) | instid1(VALU_DEP_2)
	v_cndmask_b32_e32 v33, v33, v6, vcc_lo
	v_cmp_eq_u32_e32 vcc_lo, 5, v0
	v_cndmask_b32_e32 v33, v33, v7, vcc_lo
	v_cmp_eq_u32_e32 vcc_lo, 6, v0
	s_delay_alu instid0(VALU_DEP_2) | instskip(SKIP_1) | instid1(VALU_DEP_2)
	v_cndmask_b32_e32 v33, v33, v8, vcc_lo
	v_cmp_eq_u32_e32 vcc_lo, 7, v0
	v_cndmask_b32_e32 v33, v33, v9, vcc_lo
	v_cmp_eq_u32_e32 vcc_lo, 8, v0
	s_delay_alu instid0(VALU_DEP_2) | instskip(SKIP_1) | instid1(VALU_DEP_2)
	v_cndmask_b32_e32 v33, v33, v10, vcc_lo
	v_cmp_eq_u32_e32 vcc_lo, 9, v0
	v_cndmask_b32_e32 v33, v33, v11, vcc_lo
	v_cmp_eq_u32_e32 vcc_lo, 10, v0
	s_delay_alu instid0(VALU_DEP_2) | instskip(SKIP_1) | instid1(VALU_DEP_2)
	v_cndmask_b32_e32 v33, v33, v12, vcc_lo
	v_cmp_eq_u32_e32 vcc_lo, 11, v0
	v_cndmask_b32_e32 v33, v33, v13, vcc_lo
	v_cmp_eq_u32_e32 vcc_lo, 12, v0
	s_delay_alu instid0(VALU_DEP_2) | instskip(SKIP_1) | instid1(VALU_DEP_2)
	v_cndmask_b32_e32 v33, v33, v14, vcc_lo
	v_cmp_eq_u32_e32 vcc_lo, 13, v0
	v_cndmask_b32_e32 v33, v33, v15, vcc_lo
	v_cmp_eq_u32_e32 vcc_lo, 14, v0
	s_delay_alu instid0(VALU_DEP_2) | instskip(SKIP_1) | instid1(VALU_DEP_2)
	v_cndmask_b32_e32 v33, v33, v16, vcc_lo
	v_cmp_eq_u32_e32 vcc_lo, 15, v0
	v_cndmask_b32_e32 v33, v33, v17, vcc_lo
	v_cmp_eq_u32_e32 vcc_lo, 16, v0
	s_delay_alu instid0(VALU_DEP_2) | instskip(SKIP_1) | instid1(VALU_DEP_2)
	v_cndmask_b32_e32 v33, v33, v18, vcc_lo
	v_cmp_eq_u32_e32 vcc_lo, 17, v0
	v_cndmask_b32_e32 v33, v33, v19, vcc_lo
	v_cmp_eq_u32_e32 vcc_lo, 18, v0
	s_delay_alu instid0(VALU_DEP_2) | instskip(SKIP_1) | instid1(VALU_DEP_2)
	v_cndmask_b32_e32 v33, v33, v20, vcc_lo
	v_cmp_eq_u32_e32 vcc_lo, 19, v0
	v_cndmask_b32_e32 v33, v33, v21, vcc_lo
	v_cmp_eq_u32_e32 vcc_lo, 20, v0
	s_delay_alu instid0(VALU_DEP_2) | instskip(SKIP_1) | instid1(VALU_DEP_2)
	v_cndmask_b32_e32 v33, v33, v22, vcc_lo
	v_cmp_eq_u32_e32 vcc_lo, 21, v0
	v_cndmask_b32_e32 v33, v33, v23, vcc_lo
	v_cmp_eq_u32_e32 vcc_lo, 22, v0
	s_delay_alu instid0(VALU_DEP_2) | instskip(SKIP_1) | instid1(VALU_DEP_2)
	v_cndmask_b32_e32 v33, v33, v24, vcc_lo
	v_cmp_eq_u32_e32 vcc_lo, 23, v0
	v_cndmask_b32_e32 v33, v33, v25, vcc_lo
	v_cmp_eq_u32_e32 vcc_lo, 24, v0
	s_delay_alu instid0(VALU_DEP_2) | instskip(SKIP_1) | instid1(VALU_DEP_2)
	v_cndmask_b32_e32 v33, v33, v26, vcc_lo
	v_cmp_eq_u32_e32 vcc_lo, 25, v0
	v_cndmask_b32_e32 v33, v33, v27, vcc_lo
	v_cmp_eq_u32_e32 vcc_lo, 26, v0
	s_delay_alu instid0(VALU_DEP_2) | instskip(SKIP_1) | instid1(VALU_DEP_2)
	v_cndmask_b32_e32 v33, v33, v28, vcc_lo
	v_cmp_eq_u32_e32 vcc_lo, 27, v0
	v_cndmask_b32_e32 v33, v33, v29, vcc_lo
	v_cmp_eq_u32_e32 vcc_lo, 28, v0
	s_delay_alu instid0(VALU_DEP_2) | instskip(SKIP_1) | instid1(VALU_DEP_2)
	v_cndmask_b32_e32 v33, v33, v30, vcc_lo
	v_cmp_eq_u32_e32 vcc_lo, 29, v0
	v_cndmask_b32_e32 v33, v33, v31, vcc_lo
	v_cmp_eq_u32_e32 vcc_lo, 30, v0
	s_delay_alu instid0(VALU_DEP_2) | instskip(SKIP_1) | instid1(VALU_DEP_1)
	v_cndmask_b32_e32 v33, v33, v32, vcc_lo
	s_wait_dscnt 0x0
	v_mul_f32_e32 v33, v33, v34
	s_cbranch_execz .LBB94_612
	s_branch .LBB94_613
.LBB94_611:
                                        ; implicit-def: $vgpr33
.LBB94_612:
	ds_load_b32 v33, v131
.LBB94_613:
	s_mov_b32 s1, exec_lo
	v_cmpx_ne_u32_e32 14, v0
	s_cbranch_execz .LBB94_617
; %bb.614:
	v_mov_b64_e32 v[34:35], v[0:1]
	v_lshl_add_u32 v37, v0, 2, 0x84
	s_mov_b32 s2, 0
.LBB94_615:                             ; =>This Inner Loop Header: Depth=1
	s_delay_alu instid0(VALU_DEP_2)
	v_add_nc_u64_e32 v[34:35], 1, v[34:35]
	ds_load_b32 v39, v37
	v_add_nc_u32_e32 v37, 4, v37
	v_cmp_eq_u32_e32 vcc_lo, 1, v34
	v_cndmask_b32_e32 v38, v2, v3, vcc_lo
	v_cmp_eq_u32_e32 vcc_lo, 2, v34
	s_delay_alu instid0(VALU_DEP_2) | instskip(SKIP_1) | instid1(VALU_DEP_2)
	v_cndmask_b32_e32 v38, v38, v4, vcc_lo
	v_cmp_eq_u32_e32 vcc_lo, 3, v34
	v_cndmask_b32_e32 v38, v38, v5, vcc_lo
	v_cmp_eq_u32_e32 vcc_lo, 4, v34
	s_delay_alu instid0(VALU_DEP_2) | instskip(SKIP_1) | instid1(VALU_DEP_2)
	v_cndmask_b32_e32 v38, v38, v6, vcc_lo
	v_cmp_eq_u32_e32 vcc_lo, 5, v34
	v_cndmask_b32_e32 v38, v38, v7, vcc_lo
	v_cmp_eq_u32_e32 vcc_lo, 6, v34
	s_delay_alu instid0(VALU_DEP_2) | instskip(SKIP_1) | instid1(VALU_DEP_2)
	v_cndmask_b32_e32 v38, v38, v8, vcc_lo
	v_cmp_eq_u32_e32 vcc_lo, 7, v34
	v_cndmask_b32_e32 v38, v38, v9, vcc_lo
	v_cmp_eq_u32_e32 vcc_lo, 8, v34
	s_delay_alu instid0(VALU_DEP_2) | instskip(SKIP_1) | instid1(VALU_DEP_2)
	v_cndmask_b32_e32 v38, v38, v10, vcc_lo
	v_cmp_eq_u32_e32 vcc_lo, 9, v34
	v_cndmask_b32_e32 v38, v38, v11, vcc_lo
	v_cmp_eq_u32_e32 vcc_lo, 10, v34
	s_delay_alu instid0(VALU_DEP_2) | instskip(SKIP_1) | instid1(VALU_DEP_2)
	v_cndmask_b32_e32 v38, v38, v12, vcc_lo
	v_cmp_eq_u32_e32 vcc_lo, 11, v34
	v_cndmask_b32_e32 v38, v38, v13, vcc_lo
	v_cmp_eq_u32_e32 vcc_lo, 12, v34
	s_delay_alu instid0(VALU_DEP_2) | instskip(SKIP_1) | instid1(VALU_DEP_2)
	v_cndmask_b32_e32 v38, v38, v14, vcc_lo
	v_cmp_eq_u32_e32 vcc_lo, 13, v34
	v_cndmask_b32_e32 v38, v38, v15, vcc_lo
	v_cmp_eq_u32_e32 vcc_lo, 14, v34
	s_delay_alu instid0(VALU_DEP_2) | instskip(SKIP_1) | instid1(VALU_DEP_2)
	v_cndmask_b32_e32 v38, v38, v16, vcc_lo
	v_cmp_eq_u32_e32 vcc_lo, 15, v34
	v_cndmask_b32_e32 v38, v38, v17, vcc_lo
	v_cmp_eq_u32_e32 vcc_lo, 16, v34
	s_delay_alu instid0(VALU_DEP_2) | instskip(SKIP_1) | instid1(VALU_DEP_2)
	v_cndmask_b32_e32 v38, v38, v18, vcc_lo
	v_cmp_eq_u32_e32 vcc_lo, 17, v34
	v_cndmask_b32_e32 v38, v38, v19, vcc_lo
	v_cmp_eq_u32_e32 vcc_lo, 18, v34
	s_delay_alu instid0(VALU_DEP_2) | instskip(SKIP_1) | instid1(VALU_DEP_2)
	v_cndmask_b32_e32 v38, v38, v20, vcc_lo
	v_cmp_eq_u32_e32 vcc_lo, 19, v34
	v_cndmask_b32_e32 v38, v38, v21, vcc_lo
	v_cmp_eq_u32_e32 vcc_lo, 20, v34
	s_delay_alu instid0(VALU_DEP_2) | instskip(SKIP_1) | instid1(VALU_DEP_2)
	v_cndmask_b32_e32 v38, v38, v22, vcc_lo
	v_cmp_eq_u32_e32 vcc_lo, 21, v34
	v_cndmask_b32_e32 v38, v38, v23, vcc_lo
	v_cmp_eq_u32_e32 vcc_lo, 22, v34
	s_delay_alu instid0(VALU_DEP_2) | instskip(SKIP_1) | instid1(VALU_DEP_2)
	v_cndmask_b32_e32 v38, v38, v24, vcc_lo
	v_cmp_eq_u32_e32 vcc_lo, 23, v34
	v_cndmask_b32_e32 v38, v38, v25, vcc_lo
	v_cmp_eq_u32_e32 vcc_lo, 24, v34
	s_delay_alu instid0(VALU_DEP_2) | instskip(SKIP_1) | instid1(VALU_DEP_2)
	v_cndmask_b32_e32 v38, v38, v26, vcc_lo
	v_cmp_eq_u32_e32 vcc_lo, 25, v34
	v_cndmask_b32_e32 v38, v38, v27, vcc_lo
	v_cmp_eq_u32_e32 vcc_lo, 26, v34
	s_delay_alu instid0(VALU_DEP_2) | instskip(SKIP_1) | instid1(VALU_DEP_2)
	v_cndmask_b32_e32 v38, v38, v28, vcc_lo
	v_cmp_eq_u32_e32 vcc_lo, 27, v34
	v_cndmask_b32_e32 v38, v38, v29, vcc_lo
	v_cmp_eq_u32_e32 vcc_lo, 28, v34
	s_delay_alu instid0(VALU_DEP_2) | instskip(SKIP_1) | instid1(VALU_DEP_2)
	v_cndmask_b32_e32 v38, v38, v30, vcc_lo
	v_cmp_eq_u32_e32 vcc_lo, 29, v34
	v_cndmask_b32_e32 v38, v38, v31, vcc_lo
	v_cmp_eq_u32_e32 vcc_lo, 30, v34
	s_delay_alu instid0(VALU_DEP_2) | instskip(SKIP_2) | instid1(VALU_DEP_2)
	v_cndmask_b32_e32 v38, v38, v32, vcc_lo
	v_cmp_lt_u32_e32 vcc_lo, 13, v34
	s_wait_dscnt 0x0
	v_fmac_f32_e32 v33, v38, v39
	s_or_b32 s2, vcc_lo, s2
	s_delay_alu instid0(SALU_CYCLE_1)
	s_and_not1_b32 exec_lo, exec_lo, s2
	s_cbranch_execnz .LBB94_615
; %bb.616:
	s_or_b32 exec_lo, exec_lo, s2
.LBB94_617:
	s_delay_alu instid0(SALU_CYCLE_1)
	s_or_b32 exec_lo, exec_lo, s1
	v_mov_b32_e32 v17, 0
	ds_load_b32 v17, v17 offset:60
	s_wait_dscnt 0x0
	v_mul_f32_e32 v17, v33, v17
.LBB94_618:
	s_or_b32 exec_lo, exec_lo, s0
	s_delay_alu instid0(SALU_CYCLE_1)
	s_mov_b32 s0, exec_lo
	ds_store_b32 v131, v18
	s_wait_dscnt 0x0
	s_barrier_signal -1
	s_barrier_wait -1
	v_cmpx_gt_u32_e32 16, v0
	s_cbranch_execz .LBB94_628
; %bb.619:
	v_cmp_ne_u32_e32 vcc_lo, 1, v36
	s_cbranch_vccnz .LBB94_621
; %bb.620:
	v_cmp_eq_u32_e32 vcc_lo, 1, v0
	ds_load_b32 v34, v131
	v_cndmask_b32_e32 v33, v2, v3, vcc_lo
	v_cmp_eq_u32_e32 vcc_lo, 2, v0
	s_delay_alu instid0(VALU_DEP_2) | instskip(SKIP_1) | instid1(VALU_DEP_2)
	v_cndmask_b32_e32 v33, v33, v4, vcc_lo
	v_cmp_eq_u32_e32 vcc_lo, 3, v0
	v_cndmask_b32_e32 v33, v33, v5, vcc_lo
	v_cmp_eq_u32_e32 vcc_lo, 4, v0
	s_delay_alu instid0(VALU_DEP_2) | instskip(SKIP_1) | instid1(VALU_DEP_2)
	v_cndmask_b32_e32 v33, v33, v6, vcc_lo
	v_cmp_eq_u32_e32 vcc_lo, 5, v0
	;; [unrolled: 5-line block ×14, first 2 shown]
	v_cndmask_b32_e32 v33, v33, v31, vcc_lo
	v_cmp_eq_u32_e32 vcc_lo, 30, v0
	s_delay_alu instid0(VALU_DEP_2) | instskip(SKIP_1) | instid1(VALU_DEP_1)
	v_cndmask_b32_e32 v33, v33, v32, vcc_lo
	s_wait_dscnt 0x0
	v_mul_f32_e32 v33, v33, v34
	s_cbranch_execz .LBB94_622
	s_branch .LBB94_623
.LBB94_621:
                                        ; implicit-def: $vgpr33
.LBB94_622:
	ds_load_b32 v33, v131
.LBB94_623:
	s_mov_b32 s1, exec_lo
	v_cmpx_ne_u32_e32 15, v0
	s_cbranch_execz .LBB94_627
; %bb.624:
	v_mov_b64_e32 v[34:35], v[0:1]
	v_lshl_add_u32 v37, v0, 2, 0x84
	s_mov_b32 s2, 0
.LBB94_625:                             ; =>This Inner Loop Header: Depth=1
	s_delay_alu instid0(VALU_DEP_2)
	v_add_nc_u64_e32 v[34:35], 1, v[34:35]
	ds_load_b32 v39, v37
	v_add_nc_u32_e32 v37, 4, v37
	v_cmp_eq_u32_e32 vcc_lo, 1, v34
	v_cndmask_b32_e32 v38, v2, v3, vcc_lo
	v_cmp_eq_u32_e32 vcc_lo, 2, v34
	s_delay_alu instid0(VALU_DEP_2) | instskip(SKIP_1) | instid1(VALU_DEP_2)
	v_cndmask_b32_e32 v38, v38, v4, vcc_lo
	v_cmp_eq_u32_e32 vcc_lo, 3, v34
	v_cndmask_b32_e32 v38, v38, v5, vcc_lo
	v_cmp_eq_u32_e32 vcc_lo, 4, v34
	s_delay_alu instid0(VALU_DEP_2) | instskip(SKIP_1) | instid1(VALU_DEP_2)
	v_cndmask_b32_e32 v38, v38, v6, vcc_lo
	;; [unrolled: 5-line block ×14, first 2 shown]
	v_cmp_eq_u32_e32 vcc_lo, 29, v34
	v_cndmask_b32_e32 v38, v38, v31, vcc_lo
	v_cmp_eq_u32_e32 vcc_lo, 30, v34
	s_delay_alu instid0(VALU_DEP_2) | instskip(SKIP_2) | instid1(VALU_DEP_2)
	v_cndmask_b32_e32 v38, v38, v32, vcc_lo
	v_cmp_lt_u32_e32 vcc_lo, 14, v34
	s_wait_dscnt 0x0
	v_fmac_f32_e32 v33, v38, v39
	s_or_b32 s2, vcc_lo, s2
	s_delay_alu instid0(SALU_CYCLE_1)
	s_and_not1_b32 exec_lo, exec_lo, s2
	s_cbranch_execnz .LBB94_625
; %bb.626:
	s_or_b32 exec_lo, exec_lo, s2
.LBB94_627:
	s_delay_alu instid0(SALU_CYCLE_1)
	s_or_b32 exec_lo, exec_lo, s1
	v_mov_b32_e32 v18, 0
	ds_load_b32 v18, v18 offset:64
	s_wait_dscnt 0x0
	v_mul_f32_e32 v18, v33, v18
.LBB94_628:
	s_or_b32 exec_lo, exec_lo, s0
	s_delay_alu instid0(SALU_CYCLE_1)
	s_mov_b32 s0, exec_lo
	ds_store_b32 v131, v19
	s_wait_dscnt 0x0
	s_barrier_signal -1
	s_barrier_wait -1
	v_cmpx_gt_u32_e32 17, v0
	s_cbranch_execz .LBB94_638
; %bb.629:
	v_cmp_ne_u32_e32 vcc_lo, 1, v36
	s_cbranch_vccnz .LBB94_631
; %bb.630:
	v_cmp_eq_u32_e32 vcc_lo, 1, v0
	ds_load_b32 v34, v131
	v_cndmask_b32_e32 v33, v2, v3, vcc_lo
	v_cmp_eq_u32_e32 vcc_lo, 2, v0
	s_delay_alu instid0(VALU_DEP_2) | instskip(SKIP_1) | instid1(VALU_DEP_2)
	v_cndmask_b32_e32 v33, v33, v4, vcc_lo
	v_cmp_eq_u32_e32 vcc_lo, 3, v0
	v_cndmask_b32_e32 v33, v33, v5, vcc_lo
	v_cmp_eq_u32_e32 vcc_lo, 4, v0
	s_delay_alu instid0(VALU_DEP_2) | instskip(SKIP_1) | instid1(VALU_DEP_2)
	v_cndmask_b32_e32 v33, v33, v6, vcc_lo
	v_cmp_eq_u32_e32 vcc_lo, 5, v0
	;; [unrolled: 5-line block ×14, first 2 shown]
	v_cndmask_b32_e32 v33, v33, v31, vcc_lo
	v_cmp_eq_u32_e32 vcc_lo, 30, v0
	s_delay_alu instid0(VALU_DEP_2) | instskip(SKIP_1) | instid1(VALU_DEP_1)
	v_cndmask_b32_e32 v33, v33, v32, vcc_lo
	s_wait_dscnt 0x0
	v_mul_f32_e32 v33, v33, v34
	s_cbranch_execz .LBB94_632
	s_branch .LBB94_633
.LBB94_631:
                                        ; implicit-def: $vgpr33
.LBB94_632:
	ds_load_b32 v33, v131
.LBB94_633:
	s_mov_b32 s1, exec_lo
	v_cmpx_ne_u32_e32 16, v0
	s_cbranch_execz .LBB94_637
; %bb.634:
	v_mov_b64_e32 v[34:35], v[0:1]
	v_lshl_add_u32 v37, v0, 2, 0x84
	s_mov_b32 s2, 0
.LBB94_635:                             ; =>This Inner Loop Header: Depth=1
	s_delay_alu instid0(VALU_DEP_2)
	v_add_nc_u64_e32 v[34:35], 1, v[34:35]
	ds_load_b32 v39, v37
	v_add_nc_u32_e32 v37, 4, v37
	v_cmp_eq_u32_e32 vcc_lo, 1, v34
	v_cndmask_b32_e32 v38, v2, v3, vcc_lo
	v_cmp_eq_u32_e32 vcc_lo, 2, v34
	s_delay_alu instid0(VALU_DEP_2) | instskip(SKIP_1) | instid1(VALU_DEP_2)
	v_cndmask_b32_e32 v38, v38, v4, vcc_lo
	v_cmp_eq_u32_e32 vcc_lo, 3, v34
	v_cndmask_b32_e32 v38, v38, v5, vcc_lo
	v_cmp_eq_u32_e32 vcc_lo, 4, v34
	s_delay_alu instid0(VALU_DEP_2) | instskip(SKIP_1) | instid1(VALU_DEP_2)
	v_cndmask_b32_e32 v38, v38, v6, vcc_lo
	;; [unrolled: 5-line block ×14, first 2 shown]
	v_cmp_eq_u32_e32 vcc_lo, 29, v34
	v_cndmask_b32_e32 v38, v38, v31, vcc_lo
	v_cmp_eq_u32_e32 vcc_lo, 30, v34
	s_delay_alu instid0(VALU_DEP_2) | instskip(SKIP_2) | instid1(VALU_DEP_2)
	v_cndmask_b32_e32 v38, v38, v32, vcc_lo
	v_cmp_lt_u32_e32 vcc_lo, 15, v34
	s_wait_dscnt 0x0
	v_fmac_f32_e32 v33, v38, v39
	s_or_b32 s2, vcc_lo, s2
	s_delay_alu instid0(SALU_CYCLE_1)
	s_and_not1_b32 exec_lo, exec_lo, s2
	s_cbranch_execnz .LBB94_635
; %bb.636:
	s_or_b32 exec_lo, exec_lo, s2
.LBB94_637:
	s_delay_alu instid0(SALU_CYCLE_1)
	s_or_b32 exec_lo, exec_lo, s1
	v_mov_b32_e32 v19, 0
	ds_load_b32 v19, v19 offset:68
	s_wait_dscnt 0x0
	v_mul_f32_e32 v19, v33, v19
.LBB94_638:
	s_or_b32 exec_lo, exec_lo, s0
	s_delay_alu instid0(SALU_CYCLE_1)
	s_mov_b32 s0, exec_lo
	ds_store_b32 v131, v20
	s_wait_dscnt 0x0
	s_barrier_signal -1
	s_barrier_wait -1
	v_cmpx_gt_u32_e32 18, v0
	s_cbranch_execz .LBB94_648
; %bb.639:
	v_cmp_ne_u32_e32 vcc_lo, 1, v36
	s_cbranch_vccnz .LBB94_641
; %bb.640:
	v_cmp_eq_u32_e32 vcc_lo, 1, v0
	ds_load_b32 v34, v131
	v_cndmask_b32_e32 v33, v2, v3, vcc_lo
	v_cmp_eq_u32_e32 vcc_lo, 2, v0
	s_delay_alu instid0(VALU_DEP_2) | instskip(SKIP_1) | instid1(VALU_DEP_2)
	v_cndmask_b32_e32 v33, v33, v4, vcc_lo
	v_cmp_eq_u32_e32 vcc_lo, 3, v0
	v_cndmask_b32_e32 v33, v33, v5, vcc_lo
	v_cmp_eq_u32_e32 vcc_lo, 4, v0
	s_delay_alu instid0(VALU_DEP_2) | instskip(SKIP_1) | instid1(VALU_DEP_2)
	v_cndmask_b32_e32 v33, v33, v6, vcc_lo
	v_cmp_eq_u32_e32 vcc_lo, 5, v0
	;; [unrolled: 5-line block ×14, first 2 shown]
	v_cndmask_b32_e32 v33, v33, v31, vcc_lo
	v_cmp_eq_u32_e32 vcc_lo, 30, v0
	s_delay_alu instid0(VALU_DEP_2) | instskip(SKIP_1) | instid1(VALU_DEP_1)
	v_cndmask_b32_e32 v33, v33, v32, vcc_lo
	s_wait_dscnt 0x0
	v_mul_f32_e32 v33, v33, v34
	s_cbranch_execz .LBB94_642
	s_branch .LBB94_643
.LBB94_641:
                                        ; implicit-def: $vgpr33
.LBB94_642:
	ds_load_b32 v33, v131
.LBB94_643:
	s_mov_b32 s1, exec_lo
	v_cmpx_ne_u32_e32 17, v0
	s_cbranch_execz .LBB94_647
; %bb.644:
	v_mov_b64_e32 v[34:35], v[0:1]
	v_lshl_add_u32 v37, v0, 2, 0x84
	s_mov_b32 s2, 0
.LBB94_645:                             ; =>This Inner Loop Header: Depth=1
	s_delay_alu instid0(VALU_DEP_2)
	v_add_nc_u64_e32 v[34:35], 1, v[34:35]
	ds_load_b32 v39, v37
	v_add_nc_u32_e32 v37, 4, v37
	v_cmp_eq_u32_e32 vcc_lo, 1, v34
	v_cndmask_b32_e32 v38, v2, v3, vcc_lo
	v_cmp_eq_u32_e32 vcc_lo, 2, v34
	s_delay_alu instid0(VALU_DEP_2) | instskip(SKIP_1) | instid1(VALU_DEP_2)
	v_cndmask_b32_e32 v38, v38, v4, vcc_lo
	v_cmp_eq_u32_e32 vcc_lo, 3, v34
	v_cndmask_b32_e32 v38, v38, v5, vcc_lo
	v_cmp_eq_u32_e32 vcc_lo, 4, v34
	s_delay_alu instid0(VALU_DEP_2) | instskip(SKIP_1) | instid1(VALU_DEP_2)
	v_cndmask_b32_e32 v38, v38, v6, vcc_lo
	;; [unrolled: 5-line block ×14, first 2 shown]
	v_cmp_eq_u32_e32 vcc_lo, 29, v34
	v_cndmask_b32_e32 v38, v38, v31, vcc_lo
	v_cmp_eq_u32_e32 vcc_lo, 30, v34
	s_delay_alu instid0(VALU_DEP_2) | instskip(SKIP_2) | instid1(VALU_DEP_2)
	v_cndmask_b32_e32 v38, v38, v32, vcc_lo
	v_cmp_lt_u32_e32 vcc_lo, 16, v34
	s_wait_dscnt 0x0
	v_fmac_f32_e32 v33, v38, v39
	s_or_b32 s2, vcc_lo, s2
	s_delay_alu instid0(SALU_CYCLE_1)
	s_and_not1_b32 exec_lo, exec_lo, s2
	s_cbranch_execnz .LBB94_645
; %bb.646:
	s_or_b32 exec_lo, exec_lo, s2
.LBB94_647:
	s_delay_alu instid0(SALU_CYCLE_1)
	s_or_b32 exec_lo, exec_lo, s1
	v_mov_b32_e32 v20, 0
	ds_load_b32 v20, v20 offset:72
	s_wait_dscnt 0x0
	v_mul_f32_e32 v20, v33, v20
.LBB94_648:
	s_or_b32 exec_lo, exec_lo, s0
	s_delay_alu instid0(SALU_CYCLE_1)
	s_mov_b32 s0, exec_lo
	ds_store_b32 v131, v21
	s_wait_dscnt 0x0
	s_barrier_signal -1
	s_barrier_wait -1
	v_cmpx_gt_u32_e32 19, v0
	s_cbranch_execz .LBB94_658
; %bb.649:
	v_cmp_ne_u32_e32 vcc_lo, 1, v36
	s_cbranch_vccnz .LBB94_651
; %bb.650:
	v_cmp_eq_u32_e32 vcc_lo, 1, v0
	ds_load_b32 v34, v131
	v_cndmask_b32_e32 v33, v2, v3, vcc_lo
	v_cmp_eq_u32_e32 vcc_lo, 2, v0
	s_delay_alu instid0(VALU_DEP_2) | instskip(SKIP_1) | instid1(VALU_DEP_2)
	v_cndmask_b32_e32 v33, v33, v4, vcc_lo
	v_cmp_eq_u32_e32 vcc_lo, 3, v0
	v_cndmask_b32_e32 v33, v33, v5, vcc_lo
	v_cmp_eq_u32_e32 vcc_lo, 4, v0
	s_delay_alu instid0(VALU_DEP_2) | instskip(SKIP_1) | instid1(VALU_DEP_2)
	v_cndmask_b32_e32 v33, v33, v6, vcc_lo
	v_cmp_eq_u32_e32 vcc_lo, 5, v0
	;; [unrolled: 5-line block ×14, first 2 shown]
	v_cndmask_b32_e32 v33, v33, v31, vcc_lo
	v_cmp_eq_u32_e32 vcc_lo, 30, v0
	s_delay_alu instid0(VALU_DEP_2) | instskip(SKIP_1) | instid1(VALU_DEP_1)
	v_cndmask_b32_e32 v33, v33, v32, vcc_lo
	s_wait_dscnt 0x0
	v_mul_f32_e32 v33, v33, v34
	s_cbranch_execz .LBB94_652
	s_branch .LBB94_653
.LBB94_651:
                                        ; implicit-def: $vgpr33
.LBB94_652:
	ds_load_b32 v33, v131
.LBB94_653:
	s_mov_b32 s1, exec_lo
	v_cmpx_ne_u32_e32 18, v0
	s_cbranch_execz .LBB94_657
; %bb.654:
	v_mov_b64_e32 v[34:35], v[0:1]
	v_lshl_add_u32 v37, v0, 2, 0x84
	s_mov_b32 s2, 0
.LBB94_655:                             ; =>This Inner Loop Header: Depth=1
	s_delay_alu instid0(VALU_DEP_2)
	v_add_nc_u64_e32 v[34:35], 1, v[34:35]
	ds_load_b32 v39, v37
	v_add_nc_u32_e32 v37, 4, v37
	v_cmp_eq_u32_e32 vcc_lo, 1, v34
	v_cndmask_b32_e32 v38, v2, v3, vcc_lo
	v_cmp_eq_u32_e32 vcc_lo, 2, v34
	s_delay_alu instid0(VALU_DEP_2) | instskip(SKIP_1) | instid1(VALU_DEP_2)
	v_cndmask_b32_e32 v38, v38, v4, vcc_lo
	v_cmp_eq_u32_e32 vcc_lo, 3, v34
	v_cndmask_b32_e32 v38, v38, v5, vcc_lo
	v_cmp_eq_u32_e32 vcc_lo, 4, v34
	s_delay_alu instid0(VALU_DEP_2) | instskip(SKIP_1) | instid1(VALU_DEP_2)
	v_cndmask_b32_e32 v38, v38, v6, vcc_lo
	;; [unrolled: 5-line block ×14, first 2 shown]
	v_cmp_eq_u32_e32 vcc_lo, 29, v34
	v_cndmask_b32_e32 v38, v38, v31, vcc_lo
	v_cmp_eq_u32_e32 vcc_lo, 30, v34
	s_delay_alu instid0(VALU_DEP_2) | instskip(SKIP_2) | instid1(VALU_DEP_2)
	v_cndmask_b32_e32 v38, v38, v32, vcc_lo
	v_cmp_lt_u32_e32 vcc_lo, 17, v34
	s_wait_dscnt 0x0
	v_fmac_f32_e32 v33, v38, v39
	s_or_b32 s2, vcc_lo, s2
	s_delay_alu instid0(SALU_CYCLE_1)
	s_and_not1_b32 exec_lo, exec_lo, s2
	s_cbranch_execnz .LBB94_655
; %bb.656:
	s_or_b32 exec_lo, exec_lo, s2
.LBB94_657:
	s_delay_alu instid0(SALU_CYCLE_1)
	s_or_b32 exec_lo, exec_lo, s1
	v_mov_b32_e32 v21, 0
	ds_load_b32 v21, v21 offset:76
	s_wait_dscnt 0x0
	v_mul_f32_e32 v21, v33, v21
.LBB94_658:
	s_or_b32 exec_lo, exec_lo, s0
	s_delay_alu instid0(SALU_CYCLE_1)
	s_mov_b32 s0, exec_lo
	ds_store_b32 v131, v22
	s_wait_dscnt 0x0
	s_barrier_signal -1
	s_barrier_wait -1
	v_cmpx_gt_u32_e32 20, v0
	s_cbranch_execz .LBB94_668
; %bb.659:
	v_cmp_ne_u32_e32 vcc_lo, 1, v36
	s_cbranch_vccnz .LBB94_661
; %bb.660:
	v_cmp_eq_u32_e32 vcc_lo, 1, v0
	ds_load_b32 v34, v131
	v_cndmask_b32_e32 v33, v2, v3, vcc_lo
	v_cmp_eq_u32_e32 vcc_lo, 2, v0
	s_delay_alu instid0(VALU_DEP_2) | instskip(SKIP_1) | instid1(VALU_DEP_2)
	v_cndmask_b32_e32 v33, v33, v4, vcc_lo
	v_cmp_eq_u32_e32 vcc_lo, 3, v0
	v_cndmask_b32_e32 v33, v33, v5, vcc_lo
	v_cmp_eq_u32_e32 vcc_lo, 4, v0
	s_delay_alu instid0(VALU_DEP_2) | instskip(SKIP_1) | instid1(VALU_DEP_2)
	v_cndmask_b32_e32 v33, v33, v6, vcc_lo
	v_cmp_eq_u32_e32 vcc_lo, 5, v0
	;; [unrolled: 5-line block ×14, first 2 shown]
	v_cndmask_b32_e32 v33, v33, v31, vcc_lo
	v_cmp_eq_u32_e32 vcc_lo, 30, v0
	s_delay_alu instid0(VALU_DEP_2) | instskip(SKIP_1) | instid1(VALU_DEP_1)
	v_cndmask_b32_e32 v33, v33, v32, vcc_lo
	s_wait_dscnt 0x0
	v_mul_f32_e32 v33, v33, v34
	s_cbranch_execz .LBB94_662
	s_branch .LBB94_663
.LBB94_661:
                                        ; implicit-def: $vgpr33
.LBB94_662:
	ds_load_b32 v33, v131
.LBB94_663:
	s_mov_b32 s1, exec_lo
	v_cmpx_ne_u32_e32 19, v0
	s_cbranch_execz .LBB94_667
; %bb.664:
	v_mov_b64_e32 v[34:35], v[0:1]
	v_lshl_add_u32 v37, v0, 2, 0x84
	s_mov_b32 s2, 0
.LBB94_665:                             ; =>This Inner Loop Header: Depth=1
	s_delay_alu instid0(VALU_DEP_2)
	v_add_nc_u64_e32 v[34:35], 1, v[34:35]
	ds_load_b32 v39, v37
	v_add_nc_u32_e32 v37, 4, v37
	v_cmp_eq_u32_e32 vcc_lo, 1, v34
	v_cndmask_b32_e32 v38, v2, v3, vcc_lo
	v_cmp_eq_u32_e32 vcc_lo, 2, v34
	s_delay_alu instid0(VALU_DEP_2) | instskip(SKIP_1) | instid1(VALU_DEP_2)
	v_cndmask_b32_e32 v38, v38, v4, vcc_lo
	v_cmp_eq_u32_e32 vcc_lo, 3, v34
	v_cndmask_b32_e32 v38, v38, v5, vcc_lo
	v_cmp_eq_u32_e32 vcc_lo, 4, v34
	s_delay_alu instid0(VALU_DEP_2) | instskip(SKIP_1) | instid1(VALU_DEP_2)
	v_cndmask_b32_e32 v38, v38, v6, vcc_lo
	;; [unrolled: 5-line block ×14, first 2 shown]
	v_cmp_eq_u32_e32 vcc_lo, 29, v34
	v_cndmask_b32_e32 v38, v38, v31, vcc_lo
	v_cmp_eq_u32_e32 vcc_lo, 30, v34
	s_delay_alu instid0(VALU_DEP_2) | instskip(SKIP_2) | instid1(VALU_DEP_2)
	v_cndmask_b32_e32 v38, v38, v32, vcc_lo
	v_cmp_lt_u32_e32 vcc_lo, 18, v34
	s_wait_dscnt 0x0
	v_fmac_f32_e32 v33, v38, v39
	s_or_b32 s2, vcc_lo, s2
	s_delay_alu instid0(SALU_CYCLE_1)
	s_and_not1_b32 exec_lo, exec_lo, s2
	s_cbranch_execnz .LBB94_665
; %bb.666:
	s_or_b32 exec_lo, exec_lo, s2
.LBB94_667:
	s_delay_alu instid0(SALU_CYCLE_1)
	s_or_b32 exec_lo, exec_lo, s1
	v_mov_b32_e32 v22, 0
	ds_load_b32 v22, v22 offset:80
	s_wait_dscnt 0x0
	v_mul_f32_e32 v22, v33, v22
.LBB94_668:
	s_or_b32 exec_lo, exec_lo, s0
	s_delay_alu instid0(SALU_CYCLE_1)
	s_mov_b32 s0, exec_lo
	ds_store_b32 v131, v23
	s_wait_dscnt 0x0
	s_barrier_signal -1
	s_barrier_wait -1
	v_cmpx_gt_u32_e32 21, v0
	s_cbranch_execz .LBB94_678
; %bb.669:
	v_cmp_ne_u32_e32 vcc_lo, 1, v36
	s_cbranch_vccnz .LBB94_671
; %bb.670:
	v_cmp_eq_u32_e32 vcc_lo, 1, v0
	ds_load_b32 v34, v131
	v_cndmask_b32_e32 v33, v2, v3, vcc_lo
	v_cmp_eq_u32_e32 vcc_lo, 2, v0
	s_delay_alu instid0(VALU_DEP_2) | instskip(SKIP_1) | instid1(VALU_DEP_2)
	v_cndmask_b32_e32 v33, v33, v4, vcc_lo
	v_cmp_eq_u32_e32 vcc_lo, 3, v0
	v_cndmask_b32_e32 v33, v33, v5, vcc_lo
	v_cmp_eq_u32_e32 vcc_lo, 4, v0
	s_delay_alu instid0(VALU_DEP_2) | instskip(SKIP_1) | instid1(VALU_DEP_2)
	v_cndmask_b32_e32 v33, v33, v6, vcc_lo
	v_cmp_eq_u32_e32 vcc_lo, 5, v0
	;; [unrolled: 5-line block ×14, first 2 shown]
	v_cndmask_b32_e32 v33, v33, v31, vcc_lo
	v_cmp_eq_u32_e32 vcc_lo, 30, v0
	s_delay_alu instid0(VALU_DEP_2) | instskip(SKIP_1) | instid1(VALU_DEP_1)
	v_cndmask_b32_e32 v33, v33, v32, vcc_lo
	s_wait_dscnt 0x0
	v_mul_f32_e32 v33, v33, v34
	s_cbranch_execz .LBB94_672
	s_branch .LBB94_673
.LBB94_671:
                                        ; implicit-def: $vgpr33
.LBB94_672:
	ds_load_b32 v33, v131
.LBB94_673:
	s_mov_b32 s1, exec_lo
	v_cmpx_ne_u32_e32 20, v0
	s_cbranch_execz .LBB94_677
; %bb.674:
	v_mov_b64_e32 v[34:35], v[0:1]
	v_lshl_add_u32 v37, v0, 2, 0x84
	s_mov_b32 s2, 0
.LBB94_675:                             ; =>This Inner Loop Header: Depth=1
	s_delay_alu instid0(VALU_DEP_2)
	v_add_nc_u64_e32 v[34:35], 1, v[34:35]
	ds_load_b32 v39, v37
	v_add_nc_u32_e32 v37, 4, v37
	v_cmp_eq_u32_e32 vcc_lo, 1, v34
	v_cndmask_b32_e32 v38, v2, v3, vcc_lo
	v_cmp_eq_u32_e32 vcc_lo, 2, v34
	s_delay_alu instid0(VALU_DEP_2) | instskip(SKIP_1) | instid1(VALU_DEP_2)
	v_cndmask_b32_e32 v38, v38, v4, vcc_lo
	v_cmp_eq_u32_e32 vcc_lo, 3, v34
	v_cndmask_b32_e32 v38, v38, v5, vcc_lo
	v_cmp_eq_u32_e32 vcc_lo, 4, v34
	s_delay_alu instid0(VALU_DEP_2) | instskip(SKIP_1) | instid1(VALU_DEP_2)
	v_cndmask_b32_e32 v38, v38, v6, vcc_lo
	;; [unrolled: 5-line block ×14, first 2 shown]
	v_cmp_eq_u32_e32 vcc_lo, 29, v34
	v_cndmask_b32_e32 v38, v38, v31, vcc_lo
	v_cmp_eq_u32_e32 vcc_lo, 30, v34
	s_delay_alu instid0(VALU_DEP_2) | instskip(SKIP_2) | instid1(VALU_DEP_2)
	v_cndmask_b32_e32 v38, v38, v32, vcc_lo
	v_cmp_lt_u32_e32 vcc_lo, 19, v34
	s_wait_dscnt 0x0
	v_fmac_f32_e32 v33, v38, v39
	s_or_b32 s2, vcc_lo, s2
	s_delay_alu instid0(SALU_CYCLE_1)
	s_and_not1_b32 exec_lo, exec_lo, s2
	s_cbranch_execnz .LBB94_675
; %bb.676:
	s_or_b32 exec_lo, exec_lo, s2
.LBB94_677:
	s_delay_alu instid0(SALU_CYCLE_1)
	s_or_b32 exec_lo, exec_lo, s1
	v_mov_b32_e32 v23, 0
	ds_load_b32 v23, v23 offset:84
	s_wait_dscnt 0x0
	v_mul_f32_e32 v23, v33, v23
.LBB94_678:
	s_or_b32 exec_lo, exec_lo, s0
	s_delay_alu instid0(SALU_CYCLE_1)
	s_mov_b32 s0, exec_lo
	ds_store_b32 v131, v24
	s_wait_dscnt 0x0
	s_barrier_signal -1
	s_barrier_wait -1
	v_cmpx_gt_u32_e32 22, v0
	s_cbranch_execz .LBB94_688
; %bb.679:
	v_cmp_ne_u32_e32 vcc_lo, 1, v36
	s_cbranch_vccnz .LBB94_681
; %bb.680:
	v_cmp_eq_u32_e32 vcc_lo, 1, v0
	ds_load_b32 v34, v131
	v_cndmask_b32_e32 v33, v2, v3, vcc_lo
	v_cmp_eq_u32_e32 vcc_lo, 2, v0
	s_delay_alu instid0(VALU_DEP_2) | instskip(SKIP_1) | instid1(VALU_DEP_2)
	v_cndmask_b32_e32 v33, v33, v4, vcc_lo
	v_cmp_eq_u32_e32 vcc_lo, 3, v0
	v_cndmask_b32_e32 v33, v33, v5, vcc_lo
	v_cmp_eq_u32_e32 vcc_lo, 4, v0
	s_delay_alu instid0(VALU_DEP_2) | instskip(SKIP_1) | instid1(VALU_DEP_2)
	v_cndmask_b32_e32 v33, v33, v6, vcc_lo
	v_cmp_eq_u32_e32 vcc_lo, 5, v0
	;; [unrolled: 5-line block ×14, first 2 shown]
	v_cndmask_b32_e32 v33, v33, v31, vcc_lo
	v_cmp_eq_u32_e32 vcc_lo, 30, v0
	s_delay_alu instid0(VALU_DEP_2) | instskip(SKIP_1) | instid1(VALU_DEP_1)
	v_cndmask_b32_e32 v33, v33, v32, vcc_lo
	s_wait_dscnt 0x0
	v_mul_f32_e32 v33, v33, v34
	s_cbranch_execz .LBB94_682
	s_branch .LBB94_683
.LBB94_681:
                                        ; implicit-def: $vgpr33
.LBB94_682:
	ds_load_b32 v33, v131
.LBB94_683:
	s_mov_b32 s1, exec_lo
	v_cmpx_ne_u32_e32 21, v0
	s_cbranch_execz .LBB94_687
; %bb.684:
	v_mov_b64_e32 v[34:35], v[0:1]
	v_lshl_add_u32 v37, v0, 2, 0x84
	s_mov_b32 s2, 0
.LBB94_685:                             ; =>This Inner Loop Header: Depth=1
	s_delay_alu instid0(VALU_DEP_2)
	v_add_nc_u64_e32 v[34:35], 1, v[34:35]
	ds_load_b32 v39, v37
	v_add_nc_u32_e32 v37, 4, v37
	v_cmp_eq_u32_e32 vcc_lo, 1, v34
	v_cndmask_b32_e32 v38, v2, v3, vcc_lo
	v_cmp_eq_u32_e32 vcc_lo, 2, v34
	s_delay_alu instid0(VALU_DEP_2) | instskip(SKIP_1) | instid1(VALU_DEP_2)
	v_cndmask_b32_e32 v38, v38, v4, vcc_lo
	v_cmp_eq_u32_e32 vcc_lo, 3, v34
	v_cndmask_b32_e32 v38, v38, v5, vcc_lo
	v_cmp_eq_u32_e32 vcc_lo, 4, v34
	s_delay_alu instid0(VALU_DEP_2) | instskip(SKIP_1) | instid1(VALU_DEP_2)
	v_cndmask_b32_e32 v38, v38, v6, vcc_lo
	;; [unrolled: 5-line block ×14, first 2 shown]
	v_cmp_eq_u32_e32 vcc_lo, 29, v34
	v_cndmask_b32_e32 v38, v38, v31, vcc_lo
	v_cmp_eq_u32_e32 vcc_lo, 30, v34
	s_delay_alu instid0(VALU_DEP_2) | instskip(SKIP_2) | instid1(VALU_DEP_2)
	v_cndmask_b32_e32 v38, v38, v32, vcc_lo
	v_cmp_lt_u32_e32 vcc_lo, 20, v34
	s_wait_dscnt 0x0
	v_fmac_f32_e32 v33, v38, v39
	s_or_b32 s2, vcc_lo, s2
	s_delay_alu instid0(SALU_CYCLE_1)
	s_and_not1_b32 exec_lo, exec_lo, s2
	s_cbranch_execnz .LBB94_685
; %bb.686:
	s_or_b32 exec_lo, exec_lo, s2
.LBB94_687:
	s_delay_alu instid0(SALU_CYCLE_1)
	s_or_b32 exec_lo, exec_lo, s1
	v_mov_b32_e32 v24, 0
	ds_load_b32 v24, v24 offset:88
	s_wait_dscnt 0x0
	v_mul_f32_e32 v24, v33, v24
.LBB94_688:
	s_or_b32 exec_lo, exec_lo, s0
	s_delay_alu instid0(SALU_CYCLE_1)
	s_mov_b32 s0, exec_lo
	ds_store_b32 v131, v25
	s_wait_dscnt 0x0
	s_barrier_signal -1
	s_barrier_wait -1
	v_cmpx_gt_u32_e32 23, v0
	s_cbranch_execz .LBB94_698
; %bb.689:
	v_cmp_ne_u32_e32 vcc_lo, 1, v36
	s_cbranch_vccnz .LBB94_691
; %bb.690:
	v_cmp_eq_u32_e32 vcc_lo, 1, v0
	ds_load_b32 v34, v131
	v_cndmask_b32_e32 v33, v2, v3, vcc_lo
	v_cmp_eq_u32_e32 vcc_lo, 2, v0
	s_delay_alu instid0(VALU_DEP_2) | instskip(SKIP_1) | instid1(VALU_DEP_2)
	v_cndmask_b32_e32 v33, v33, v4, vcc_lo
	v_cmp_eq_u32_e32 vcc_lo, 3, v0
	v_cndmask_b32_e32 v33, v33, v5, vcc_lo
	v_cmp_eq_u32_e32 vcc_lo, 4, v0
	s_delay_alu instid0(VALU_DEP_2) | instskip(SKIP_1) | instid1(VALU_DEP_2)
	v_cndmask_b32_e32 v33, v33, v6, vcc_lo
	v_cmp_eq_u32_e32 vcc_lo, 5, v0
	;; [unrolled: 5-line block ×14, first 2 shown]
	v_cndmask_b32_e32 v33, v33, v31, vcc_lo
	v_cmp_eq_u32_e32 vcc_lo, 30, v0
	s_delay_alu instid0(VALU_DEP_2) | instskip(SKIP_1) | instid1(VALU_DEP_1)
	v_cndmask_b32_e32 v33, v33, v32, vcc_lo
	s_wait_dscnt 0x0
	v_mul_f32_e32 v33, v33, v34
	s_cbranch_execz .LBB94_692
	s_branch .LBB94_693
.LBB94_691:
                                        ; implicit-def: $vgpr33
.LBB94_692:
	ds_load_b32 v33, v131
.LBB94_693:
	s_mov_b32 s1, exec_lo
	v_cmpx_ne_u32_e32 22, v0
	s_cbranch_execz .LBB94_697
; %bb.694:
	v_mov_b64_e32 v[34:35], v[0:1]
	v_lshl_add_u32 v37, v0, 2, 0x84
	s_mov_b32 s2, 0
.LBB94_695:                             ; =>This Inner Loop Header: Depth=1
	s_delay_alu instid0(VALU_DEP_2)
	v_add_nc_u64_e32 v[34:35], 1, v[34:35]
	ds_load_b32 v39, v37
	v_add_nc_u32_e32 v37, 4, v37
	v_cmp_eq_u32_e32 vcc_lo, 1, v34
	v_cndmask_b32_e32 v38, v2, v3, vcc_lo
	v_cmp_eq_u32_e32 vcc_lo, 2, v34
	s_delay_alu instid0(VALU_DEP_2) | instskip(SKIP_1) | instid1(VALU_DEP_2)
	v_cndmask_b32_e32 v38, v38, v4, vcc_lo
	v_cmp_eq_u32_e32 vcc_lo, 3, v34
	v_cndmask_b32_e32 v38, v38, v5, vcc_lo
	v_cmp_eq_u32_e32 vcc_lo, 4, v34
	s_delay_alu instid0(VALU_DEP_2) | instskip(SKIP_1) | instid1(VALU_DEP_2)
	v_cndmask_b32_e32 v38, v38, v6, vcc_lo
	;; [unrolled: 5-line block ×14, first 2 shown]
	v_cmp_eq_u32_e32 vcc_lo, 29, v34
	v_cndmask_b32_e32 v38, v38, v31, vcc_lo
	v_cmp_eq_u32_e32 vcc_lo, 30, v34
	s_delay_alu instid0(VALU_DEP_2) | instskip(SKIP_2) | instid1(VALU_DEP_2)
	v_cndmask_b32_e32 v38, v38, v32, vcc_lo
	v_cmp_lt_u32_e32 vcc_lo, 21, v34
	s_wait_dscnt 0x0
	v_fmac_f32_e32 v33, v38, v39
	s_or_b32 s2, vcc_lo, s2
	s_delay_alu instid0(SALU_CYCLE_1)
	s_and_not1_b32 exec_lo, exec_lo, s2
	s_cbranch_execnz .LBB94_695
; %bb.696:
	s_or_b32 exec_lo, exec_lo, s2
.LBB94_697:
	s_delay_alu instid0(SALU_CYCLE_1)
	s_or_b32 exec_lo, exec_lo, s1
	v_mov_b32_e32 v25, 0
	ds_load_b32 v25, v25 offset:92
	s_wait_dscnt 0x0
	v_mul_f32_e32 v25, v33, v25
.LBB94_698:
	s_or_b32 exec_lo, exec_lo, s0
	s_delay_alu instid0(SALU_CYCLE_1)
	s_mov_b32 s0, exec_lo
	ds_store_b32 v131, v26
	s_wait_dscnt 0x0
	s_barrier_signal -1
	s_barrier_wait -1
	v_cmpx_gt_u32_e32 24, v0
	s_cbranch_execz .LBB94_708
; %bb.699:
	v_cmp_ne_u32_e32 vcc_lo, 1, v36
	s_cbranch_vccnz .LBB94_701
; %bb.700:
	v_cmp_eq_u32_e32 vcc_lo, 1, v0
	ds_load_b32 v34, v131
	v_cndmask_b32_e32 v33, v2, v3, vcc_lo
	v_cmp_eq_u32_e32 vcc_lo, 2, v0
	s_delay_alu instid0(VALU_DEP_2) | instskip(SKIP_1) | instid1(VALU_DEP_2)
	v_cndmask_b32_e32 v33, v33, v4, vcc_lo
	v_cmp_eq_u32_e32 vcc_lo, 3, v0
	v_cndmask_b32_e32 v33, v33, v5, vcc_lo
	v_cmp_eq_u32_e32 vcc_lo, 4, v0
	s_delay_alu instid0(VALU_DEP_2) | instskip(SKIP_1) | instid1(VALU_DEP_2)
	v_cndmask_b32_e32 v33, v33, v6, vcc_lo
	v_cmp_eq_u32_e32 vcc_lo, 5, v0
	;; [unrolled: 5-line block ×14, first 2 shown]
	v_cndmask_b32_e32 v33, v33, v31, vcc_lo
	v_cmp_eq_u32_e32 vcc_lo, 30, v0
	s_delay_alu instid0(VALU_DEP_2) | instskip(SKIP_1) | instid1(VALU_DEP_1)
	v_cndmask_b32_e32 v33, v33, v32, vcc_lo
	s_wait_dscnt 0x0
	v_mul_f32_e32 v33, v33, v34
	s_cbranch_execz .LBB94_702
	s_branch .LBB94_703
.LBB94_701:
                                        ; implicit-def: $vgpr33
.LBB94_702:
	ds_load_b32 v33, v131
.LBB94_703:
	s_mov_b32 s1, exec_lo
	v_cmpx_ne_u32_e32 23, v0
	s_cbranch_execz .LBB94_707
; %bb.704:
	v_mov_b64_e32 v[34:35], v[0:1]
	v_lshl_add_u32 v37, v0, 2, 0x84
	s_mov_b32 s2, 0
.LBB94_705:                             ; =>This Inner Loop Header: Depth=1
	s_delay_alu instid0(VALU_DEP_2)
	v_add_nc_u64_e32 v[34:35], 1, v[34:35]
	ds_load_b32 v39, v37
	v_add_nc_u32_e32 v37, 4, v37
	v_cmp_eq_u32_e32 vcc_lo, 1, v34
	v_cndmask_b32_e32 v38, v2, v3, vcc_lo
	v_cmp_eq_u32_e32 vcc_lo, 2, v34
	s_delay_alu instid0(VALU_DEP_2) | instskip(SKIP_1) | instid1(VALU_DEP_2)
	v_cndmask_b32_e32 v38, v38, v4, vcc_lo
	v_cmp_eq_u32_e32 vcc_lo, 3, v34
	v_cndmask_b32_e32 v38, v38, v5, vcc_lo
	v_cmp_eq_u32_e32 vcc_lo, 4, v34
	s_delay_alu instid0(VALU_DEP_2) | instskip(SKIP_1) | instid1(VALU_DEP_2)
	v_cndmask_b32_e32 v38, v38, v6, vcc_lo
	v_cmp_eq_u32_e32 vcc_lo, 5, v34
	v_cndmask_b32_e32 v38, v38, v7, vcc_lo
	v_cmp_eq_u32_e32 vcc_lo, 6, v34
	s_delay_alu instid0(VALU_DEP_2) | instskip(SKIP_1) | instid1(VALU_DEP_2)
	v_cndmask_b32_e32 v38, v38, v8, vcc_lo
	v_cmp_eq_u32_e32 vcc_lo, 7, v34
	v_cndmask_b32_e32 v38, v38, v9, vcc_lo
	v_cmp_eq_u32_e32 vcc_lo, 8, v34
	s_delay_alu instid0(VALU_DEP_2) | instskip(SKIP_1) | instid1(VALU_DEP_2)
	v_cndmask_b32_e32 v38, v38, v10, vcc_lo
	v_cmp_eq_u32_e32 vcc_lo, 9, v34
	v_cndmask_b32_e32 v38, v38, v11, vcc_lo
	v_cmp_eq_u32_e32 vcc_lo, 10, v34
	s_delay_alu instid0(VALU_DEP_2) | instskip(SKIP_1) | instid1(VALU_DEP_2)
	v_cndmask_b32_e32 v38, v38, v12, vcc_lo
	v_cmp_eq_u32_e32 vcc_lo, 11, v34
	v_cndmask_b32_e32 v38, v38, v13, vcc_lo
	v_cmp_eq_u32_e32 vcc_lo, 12, v34
	s_delay_alu instid0(VALU_DEP_2) | instskip(SKIP_1) | instid1(VALU_DEP_2)
	v_cndmask_b32_e32 v38, v38, v14, vcc_lo
	v_cmp_eq_u32_e32 vcc_lo, 13, v34
	v_cndmask_b32_e32 v38, v38, v15, vcc_lo
	v_cmp_eq_u32_e32 vcc_lo, 14, v34
	s_delay_alu instid0(VALU_DEP_2) | instskip(SKIP_1) | instid1(VALU_DEP_2)
	v_cndmask_b32_e32 v38, v38, v16, vcc_lo
	v_cmp_eq_u32_e32 vcc_lo, 15, v34
	v_cndmask_b32_e32 v38, v38, v17, vcc_lo
	v_cmp_eq_u32_e32 vcc_lo, 16, v34
	s_delay_alu instid0(VALU_DEP_2) | instskip(SKIP_1) | instid1(VALU_DEP_2)
	v_cndmask_b32_e32 v38, v38, v18, vcc_lo
	v_cmp_eq_u32_e32 vcc_lo, 17, v34
	v_cndmask_b32_e32 v38, v38, v19, vcc_lo
	v_cmp_eq_u32_e32 vcc_lo, 18, v34
	s_delay_alu instid0(VALU_DEP_2) | instskip(SKIP_1) | instid1(VALU_DEP_2)
	v_cndmask_b32_e32 v38, v38, v20, vcc_lo
	v_cmp_eq_u32_e32 vcc_lo, 19, v34
	v_cndmask_b32_e32 v38, v38, v21, vcc_lo
	v_cmp_eq_u32_e32 vcc_lo, 20, v34
	s_delay_alu instid0(VALU_DEP_2) | instskip(SKIP_1) | instid1(VALU_DEP_2)
	v_cndmask_b32_e32 v38, v38, v22, vcc_lo
	v_cmp_eq_u32_e32 vcc_lo, 21, v34
	v_cndmask_b32_e32 v38, v38, v23, vcc_lo
	v_cmp_eq_u32_e32 vcc_lo, 22, v34
	s_delay_alu instid0(VALU_DEP_2) | instskip(SKIP_1) | instid1(VALU_DEP_2)
	v_cndmask_b32_e32 v38, v38, v24, vcc_lo
	v_cmp_eq_u32_e32 vcc_lo, 23, v34
	v_cndmask_b32_e32 v38, v38, v25, vcc_lo
	v_cmp_eq_u32_e32 vcc_lo, 24, v34
	s_delay_alu instid0(VALU_DEP_2) | instskip(SKIP_1) | instid1(VALU_DEP_2)
	v_cndmask_b32_e32 v38, v38, v26, vcc_lo
	v_cmp_eq_u32_e32 vcc_lo, 25, v34
	v_cndmask_b32_e32 v38, v38, v27, vcc_lo
	v_cmp_eq_u32_e32 vcc_lo, 26, v34
	s_delay_alu instid0(VALU_DEP_2) | instskip(SKIP_1) | instid1(VALU_DEP_2)
	v_cndmask_b32_e32 v38, v38, v28, vcc_lo
	v_cmp_eq_u32_e32 vcc_lo, 27, v34
	v_cndmask_b32_e32 v38, v38, v29, vcc_lo
	v_cmp_eq_u32_e32 vcc_lo, 28, v34
	s_delay_alu instid0(VALU_DEP_2) | instskip(SKIP_1) | instid1(VALU_DEP_2)
	v_cndmask_b32_e32 v38, v38, v30, vcc_lo
	v_cmp_eq_u32_e32 vcc_lo, 29, v34
	v_cndmask_b32_e32 v38, v38, v31, vcc_lo
	v_cmp_eq_u32_e32 vcc_lo, 30, v34
	s_delay_alu instid0(VALU_DEP_2) | instskip(SKIP_2) | instid1(VALU_DEP_2)
	v_cndmask_b32_e32 v38, v38, v32, vcc_lo
	v_cmp_lt_u32_e32 vcc_lo, 22, v34
	s_wait_dscnt 0x0
	v_fmac_f32_e32 v33, v38, v39
	s_or_b32 s2, vcc_lo, s2
	s_delay_alu instid0(SALU_CYCLE_1)
	s_and_not1_b32 exec_lo, exec_lo, s2
	s_cbranch_execnz .LBB94_705
; %bb.706:
	s_or_b32 exec_lo, exec_lo, s2
.LBB94_707:
	s_delay_alu instid0(SALU_CYCLE_1)
	s_or_b32 exec_lo, exec_lo, s1
	v_mov_b32_e32 v26, 0
	ds_load_b32 v26, v26 offset:96
	s_wait_dscnt 0x0
	v_mul_f32_e32 v26, v33, v26
.LBB94_708:
	s_or_b32 exec_lo, exec_lo, s0
	s_delay_alu instid0(SALU_CYCLE_1)
	s_mov_b32 s0, exec_lo
	ds_store_b32 v131, v27
	s_wait_dscnt 0x0
	s_barrier_signal -1
	s_barrier_wait -1
	v_cmpx_gt_u32_e32 25, v0
	s_cbranch_execz .LBB94_718
; %bb.709:
	v_cmp_ne_u32_e32 vcc_lo, 1, v36
	s_cbranch_vccnz .LBB94_711
; %bb.710:
	v_cmp_eq_u32_e32 vcc_lo, 1, v0
	ds_load_b32 v34, v131
	v_cndmask_b32_e32 v33, v2, v3, vcc_lo
	v_cmp_eq_u32_e32 vcc_lo, 2, v0
	s_delay_alu instid0(VALU_DEP_2) | instskip(SKIP_1) | instid1(VALU_DEP_2)
	v_cndmask_b32_e32 v33, v33, v4, vcc_lo
	v_cmp_eq_u32_e32 vcc_lo, 3, v0
	v_cndmask_b32_e32 v33, v33, v5, vcc_lo
	v_cmp_eq_u32_e32 vcc_lo, 4, v0
	s_delay_alu instid0(VALU_DEP_2) | instskip(SKIP_1) | instid1(VALU_DEP_2)
	v_cndmask_b32_e32 v33, v33, v6, vcc_lo
	v_cmp_eq_u32_e32 vcc_lo, 5, v0
	;; [unrolled: 5-line block ×14, first 2 shown]
	v_cndmask_b32_e32 v33, v33, v31, vcc_lo
	v_cmp_eq_u32_e32 vcc_lo, 30, v0
	s_delay_alu instid0(VALU_DEP_2) | instskip(SKIP_1) | instid1(VALU_DEP_1)
	v_cndmask_b32_e32 v33, v33, v32, vcc_lo
	s_wait_dscnt 0x0
	v_mul_f32_e32 v33, v33, v34
	s_cbranch_execz .LBB94_712
	s_branch .LBB94_713
.LBB94_711:
                                        ; implicit-def: $vgpr33
.LBB94_712:
	ds_load_b32 v33, v131
.LBB94_713:
	s_mov_b32 s1, exec_lo
	v_cmpx_ne_u32_e32 24, v0
	s_cbranch_execz .LBB94_717
; %bb.714:
	v_mov_b64_e32 v[34:35], v[0:1]
	v_lshl_add_u32 v37, v0, 2, 0x84
	s_mov_b32 s2, 0
.LBB94_715:                             ; =>This Inner Loop Header: Depth=1
	s_delay_alu instid0(VALU_DEP_2)
	v_add_nc_u64_e32 v[34:35], 1, v[34:35]
	ds_load_b32 v39, v37
	v_add_nc_u32_e32 v37, 4, v37
	v_cmp_eq_u32_e32 vcc_lo, 1, v34
	v_cndmask_b32_e32 v38, v2, v3, vcc_lo
	v_cmp_eq_u32_e32 vcc_lo, 2, v34
	s_delay_alu instid0(VALU_DEP_2) | instskip(SKIP_1) | instid1(VALU_DEP_2)
	v_cndmask_b32_e32 v38, v38, v4, vcc_lo
	v_cmp_eq_u32_e32 vcc_lo, 3, v34
	v_cndmask_b32_e32 v38, v38, v5, vcc_lo
	v_cmp_eq_u32_e32 vcc_lo, 4, v34
	s_delay_alu instid0(VALU_DEP_2) | instskip(SKIP_1) | instid1(VALU_DEP_2)
	v_cndmask_b32_e32 v38, v38, v6, vcc_lo
	;; [unrolled: 5-line block ×14, first 2 shown]
	v_cmp_eq_u32_e32 vcc_lo, 29, v34
	v_cndmask_b32_e32 v38, v38, v31, vcc_lo
	v_cmp_eq_u32_e32 vcc_lo, 30, v34
	s_delay_alu instid0(VALU_DEP_2) | instskip(SKIP_2) | instid1(VALU_DEP_2)
	v_cndmask_b32_e32 v38, v38, v32, vcc_lo
	v_cmp_lt_u32_e32 vcc_lo, 23, v34
	s_wait_dscnt 0x0
	v_fmac_f32_e32 v33, v38, v39
	s_or_b32 s2, vcc_lo, s2
	s_delay_alu instid0(SALU_CYCLE_1)
	s_and_not1_b32 exec_lo, exec_lo, s2
	s_cbranch_execnz .LBB94_715
; %bb.716:
	s_or_b32 exec_lo, exec_lo, s2
.LBB94_717:
	s_delay_alu instid0(SALU_CYCLE_1)
	s_or_b32 exec_lo, exec_lo, s1
	v_mov_b32_e32 v27, 0
	ds_load_b32 v27, v27 offset:100
	s_wait_dscnt 0x0
	v_mul_f32_e32 v27, v33, v27
.LBB94_718:
	s_or_b32 exec_lo, exec_lo, s0
	s_delay_alu instid0(SALU_CYCLE_1)
	s_mov_b32 s0, exec_lo
	ds_store_b32 v131, v28
	s_wait_dscnt 0x0
	s_barrier_signal -1
	s_barrier_wait -1
	v_cmpx_gt_u32_e32 26, v0
	s_cbranch_execz .LBB94_728
; %bb.719:
	v_cmp_ne_u32_e32 vcc_lo, 1, v36
	s_cbranch_vccnz .LBB94_721
; %bb.720:
	v_cmp_eq_u32_e32 vcc_lo, 1, v0
	ds_load_b32 v34, v131
	v_cndmask_b32_e32 v33, v2, v3, vcc_lo
	v_cmp_eq_u32_e32 vcc_lo, 2, v0
	s_delay_alu instid0(VALU_DEP_2) | instskip(SKIP_1) | instid1(VALU_DEP_2)
	v_cndmask_b32_e32 v33, v33, v4, vcc_lo
	v_cmp_eq_u32_e32 vcc_lo, 3, v0
	v_cndmask_b32_e32 v33, v33, v5, vcc_lo
	v_cmp_eq_u32_e32 vcc_lo, 4, v0
	s_delay_alu instid0(VALU_DEP_2) | instskip(SKIP_1) | instid1(VALU_DEP_2)
	v_cndmask_b32_e32 v33, v33, v6, vcc_lo
	v_cmp_eq_u32_e32 vcc_lo, 5, v0
	;; [unrolled: 5-line block ×14, first 2 shown]
	v_cndmask_b32_e32 v33, v33, v31, vcc_lo
	v_cmp_eq_u32_e32 vcc_lo, 30, v0
	s_delay_alu instid0(VALU_DEP_2) | instskip(SKIP_1) | instid1(VALU_DEP_1)
	v_cndmask_b32_e32 v33, v33, v32, vcc_lo
	s_wait_dscnt 0x0
	v_mul_f32_e32 v33, v33, v34
	s_cbranch_execz .LBB94_722
	s_branch .LBB94_723
.LBB94_721:
                                        ; implicit-def: $vgpr33
.LBB94_722:
	ds_load_b32 v33, v131
.LBB94_723:
	s_mov_b32 s1, exec_lo
	v_cmpx_ne_u32_e32 25, v0
	s_cbranch_execz .LBB94_727
; %bb.724:
	v_mov_b64_e32 v[34:35], v[0:1]
	v_lshl_add_u32 v37, v0, 2, 0x84
	s_mov_b32 s2, 0
.LBB94_725:                             ; =>This Inner Loop Header: Depth=1
	s_delay_alu instid0(VALU_DEP_2)
	v_add_nc_u64_e32 v[34:35], 1, v[34:35]
	ds_load_b32 v39, v37
	v_add_nc_u32_e32 v37, 4, v37
	v_cmp_eq_u32_e32 vcc_lo, 1, v34
	v_cndmask_b32_e32 v38, v2, v3, vcc_lo
	v_cmp_eq_u32_e32 vcc_lo, 2, v34
	s_delay_alu instid0(VALU_DEP_2) | instskip(SKIP_1) | instid1(VALU_DEP_2)
	v_cndmask_b32_e32 v38, v38, v4, vcc_lo
	v_cmp_eq_u32_e32 vcc_lo, 3, v34
	v_cndmask_b32_e32 v38, v38, v5, vcc_lo
	v_cmp_eq_u32_e32 vcc_lo, 4, v34
	s_delay_alu instid0(VALU_DEP_2) | instskip(SKIP_1) | instid1(VALU_DEP_2)
	v_cndmask_b32_e32 v38, v38, v6, vcc_lo
	;; [unrolled: 5-line block ×14, first 2 shown]
	v_cmp_eq_u32_e32 vcc_lo, 29, v34
	v_cndmask_b32_e32 v38, v38, v31, vcc_lo
	v_cmp_eq_u32_e32 vcc_lo, 30, v34
	s_delay_alu instid0(VALU_DEP_2) | instskip(SKIP_2) | instid1(VALU_DEP_2)
	v_cndmask_b32_e32 v38, v38, v32, vcc_lo
	v_cmp_lt_u32_e32 vcc_lo, 24, v34
	s_wait_dscnt 0x0
	v_fmac_f32_e32 v33, v38, v39
	s_or_b32 s2, vcc_lo, s2
	s_delay_alu instid0(SALU_CYCLE_1)
	s_and_not1_b32 exec_lo, exec_lo, s2
	s_cbranch_execnz .LBB94_725
; %bb.726:
	s_or_b32 exec_lo, exec_lo, s2
.LBB94_727:
	s_delay_alu instid0(SALU_CYCLE_1)
	s_or_b32 exec_lo, exec_lo, s1
	v_mov_b32_e32 v28, 0
	ds_load_b32 v28, v28 offset:104
	s_wait_dscnt 0x0
	v_mul_f32_e32 v28, v33, v28
.LBB94_728:
	s_or_b32 exec_lo, exec_lo, s0
	s_delay_alu instid0(SALU_CYCLE_1)
	s_mov_b32 s0, exec_lo
	ds_store_b32 v131, v29
	s_wait_dscnt 0x0
	s_barrier_signal -1
	s_barrier_wait -1
	v_cmpx_gt_u32_e32 27, v0
	s_cbranch_execz .LBB94_738
; %bb.729:
	v_cmp_ne_u32_e32 vcc_lo, 1, v36
	s_cbranch_vccnz .LBB94_731
; %bb.730:
	v_cmp_eq_u32_e32 vcc_lo, 1, v0
	ds_load_b32 v34, v131
	v_cndmask_b32_e32 v33, v2, v3, vcc_lo
	v_cmp_eq_u32_e32 vcc_lo, 2, v0
	s_delay_alu instid0(VALU_DEP_2) | instskip(SKIP_1) | instid1(VALU_DEP_2)
	v_cndmask_b32_e32 v33, v33, v4, vcc_lo
	v_cmp_eq_u32_e32 vcc_lo, 3, v0
	v_cndmask_b32_e32 v33, v33, v5, vcc_lo
	v_cmp_eq_u32_e32 vcc_lo, 4, v0
	s_delay_alu instid0(VALU_DEP_2) | instskip(SKIP_1) | instid1(VALU_DEP_2)
	v_cndmask_b32_e32 v33, v33, v6, vcc_lo
	v_cmp_eq_u32_e32 vcc_lo, 5, v0
	;; [unrolled: 5-line block ×14, first 2 shown]
	v_cndmask_b32_e32 v33, v33, v31, vcc_lo
	v_cmp_eq_u32_e32 vcc_lo, 30, v0
	s_delay_alu instid0(VALU_DEP_2) | instskip(SKIP_1) | instid1(VALU_DEP_1)
	v_cndmask_b32_e32 v33, v33, v32, vcc_lo
	s_wait_dscnt 0x0
	v_mul_f32_e32 v33, v33, v34
	s_cbranch_execz .LBB94_732
	s_branch .LBB94_733
.LBB94_731:
                                        ; implicit-def: $vgpr33
.LBB94_732:
	ds_load_b32 v33, v131
.LBB94_733:
	s_mov_b32 s1, exec_lo
	v_cmpx_ne_u32_e32 26, v0
	s_cbranch_execz .LBB94_737
; %bb.734:
	v_mov_b64_e32 v[34:35], v[0:1]
	v_lshl_add_u32 v37, v0, 2, 0x84
	s_mov_b32 s2, 0
.LBB94_735:                             ; =>This Inner Loop Header: Depth=1
	s_delay_alu instid0(VALU_DEP_2)
	v_add_nc_u64_e32 v[34:35], 1, v[34:35]
	ds_load_b32 v39, v37
	v_add_nc_u32_e32 v37, 4, v37
	v_cmp_eq_u32_e32 vcc_lo, 1, v34
	v_cndmask_b32_e32 v38, v2, v3, vcc_lo
	v_cmp_eq_u32_e32 vcc_lo, 2, v34
	s_delay_alu instid0(VALU_DEP_2) | instskip(SKIP_1) | instid1(VALU_DEP_2)
	v_cndmask_b32_e32 v38, v38, v4, vcc_lo
	v_cmp_eq_u32_e32 vcc_lo, 3, v34
	v_cndmask_b32_e32 v38, v38, v5, vcc_lo
	v_cmp_eq_u32_e32 vcc_lo, 4, v34
	s_delay_alu instid0(VALU_DEP_2) | instskip(SKIP_1) | instid1(VALU_DEP_2)
	v_cndmask_b32_e32 v38, v38, v6, vcc_lo
	;; [unrolled: 5-line block ×14, first 2 shown]
	v_cmp_eq_u32_e32 vcc_lo, 29, v34
	v_cndmask_b32_e32 v38, v38, v31, vcc_lo
	v_cmp_eq_u32_e32 vcc_lo, 30, v34
	s_delay_alu instid0(VALU_DEP_2) | instskip(SKIP_2) | instid1(VALU_DEP_2)
	v_cndmask_b32_e32 v38, v38, v32, vcc_lo
	v_cmp_lt_u32_e32 vcc_lo, 25, v34
	s_wait_dscnt 0x0
	v_fmac_f32_e32 v33, v38, v39
	s_or_b32 s2, vcc_lo, s2
	s_delay_alu instid0(SALU_CYCLE_1)
	s_and_not1_b32 exec_lo, exec_lo, s2
	s_cbranch_execnz .LBB94_735
; %bb.736:
	s_or_b32 exec_lo, exec_lo, s2
.LBB94_737:
	s_delay_alu instid0(SALU_CYCLE_1)
	s_or_b32 exec_lo, exec_lo, s1
	v_mov_b32_e32 v29, 0
	ds_load_b32 v29, v29 offset:108
	s_wait_dscnt 0x0
	v_mul_f32_e32 v29, v33, v29
.LBB94_738:
	s_or_b32 exec_lo, exec_lo, s0
	s_delay_alu instid0(SALU_CYCLE_1)
	s_mov_b32 s0, exec_lo
	ds_store_b32 v131, v30
	s_wait_dscnt 0x0
	s_barrier_signal -1
	s_barrier_wait -1
	v_cmpx_gt_u32_e32 28, v0
	s_cbranch_execz .LBB94_748
; %bb.739:
	v_cmp_ne_u32_e32 vcc_lo, 1, v36
	s_cbranch_vccnz .LBB94_741
; %bb.740:
	v_cmp_eq_u32_e32 vcc_lo, 1, v0
	ds_load_b32 v34, v131
	v_cndmask_b32_e32 v33, v2, v3, vcc_lo
	v_cmp_eq_u32_e32 vcc_lo, 2, v0
	s_delay_alu instid0(VALU_DEP_2) | instskip(SKIP_1) | instid1(VALU_DEP_2)
	v_cndmask_b32_e32 v33, v33, v4, vcc_lo
	v_cmp_eq_u32_e32 vcc_lo, 3, v0
	v_cndmask_b32_e32 v33, v33, v5, vcc_lo
	v_cmp_eq_u32_e32 vcc_lo, 4, v0
	s_delay_alu instid0(VALU_DEP_2) | instskip(SKIP_1) | instid1(VALU_DEP_2)
	v_cndmask_b32_e32 v33, v33, v6, vcc_lo
	v_cmp_eq_u32_e32 vcc_lo, 5, v0
	;; [unrolled: 5-line block ×14, first 2 shown]
	v_cndmask_b32_e32 v33, v33, v31, vcc_lo
	v_cmp_eq_u32_e32 vcc_lo, 30, v0
	s_delay_alu instid0(VALU_DEP_2) | instskip(SKIP_1) | instid1(VALU_DEP_1)
	v_cndmask_b32_e32 v33, v33, v32, vcc_lo
	s_wait_dscnt 0x0
	v_mul_f32_e32 v33, v33, v34
	s_cbranch_execz .LBB94_742
	s_branch .LBB94_743
.LBB94_741:
                                        ; implicit-def: $vgpr33
.LBB94_742:
	ds_load_b32 v33, v131
.LBB94_743:
	s_mov_b32 s1, exec_lo
	v_cmpx_ne_u32_e32 27, v0
	s_cbranch_execz .LBB94_747
; %bb.744:
	v_mov_b64_e32 v[34:35], v[0:1]
	v_lshl_add_u32 v37, v0, 2, 0x84
	s_mov_b32 s2, 0
.LBB94_745:                             ; =>This Inner Loop Header: Depth=1
	s_delay_alu instid0(VALU_DEP_2)
	v_add_nc_u64_e32 v[34:35], 1, v[34:35]
	ds_load_b32 v39, v37
	v_add_nc_u32_e32 v37, 4, v37
	v_cmp_eq_u32_e32 vcc_lo, 1, v34
	v_cndmask_b32_e32 v38, v2, v3, vcc_lo
	v_cmp_eq_u32_e32 vcc_lo, 2, v34
	s_delay_alu instid0(VALU_DEP_2) | instskip(SKIP_1) | instid1(VALU_DEP_2)
	v_cndmask_b32_e32 v38, v38, v4, vcc_lo
	v_cmp_eq_u32_e32 vcc_lo, 3, v34
	v_cndmask_b32_e32 v38, v38, v5, vcc_lo
	v_cmp_eq_u32_e32 vcc_lo, 4, v34
	s_delay_alu instid0(VALU_DEP_2) | instskip(SKIP_1) | instid1(VALU_DEP_2)
	v_cndmask_b32_e32 v38, v38, v6, vcc_lo
	;; [unrolled: 5-line block ×14, first 2 shown]
	v_cmp_eq_u32_e32 vcc_lo, 29, v34
	v_cndmask_b32_e32 v38, v38, v31, vcc_lo
	v_cmp_eq_u32_e32 vcc_lo, 30, v34
	s_delay_alu instid0(VALU_DEP_2) | instskip(SKIP_2) | instid1(VALU_DEP_2)
	v_cndmask_b32_e32 v38, v38, v32, vcc_lo
	v_cmp_lt_u32_e32 vcc_lo, 26, v34
	s_wait_dscnt 0x0
	v_fmac_f32_e32 v33, v38, v39
	s_or_b32 s2, vcc_lo, s2
	s_delay_alu instid0(SALU_CYCLE_1)
	s_and_not1_b32 exec_lo, exec_lo, s2
	s_cbranch_execnz .LBB94_745
; %bb.746:
	s_or_b32 exec_lo, exec_lo, s2
.LBB94_747:
	s_delay_alu instid0(SALU_CYCLE_1)
	s_or_b32 exec_lo, exec_lo, s1
	v_mov_b32_e32 v30, 0
	ds_load_b32 v30, v30 offset:112
	s_wait_dscnt 0x0
	v_mul_f32_e32 v30, v33, v30
.LBB94_748:
	s_or_b32 exec_lo, exec_lo, s0
	v_cmp_gt_u32_e64 s0, 29, v0
	ds_store_b32 v131, v31
	s_wait_dscnt 0x0
	s_barrier_signal -1
	s_barrier_wait -1
	s_and_saveexec_b32 s1, s0
	s_cbranch_execz .LBB94_758
; %bb.749:
	v_cmp_ne_u32_e32 vcc_lo, 1, v36
	s_cbranch_vccnz .LBB94_751
; %bb.750:
	v_cmp_eq_u32_e32 vcc_lo, 1, v0
	ds_load_b32 v34, v131
	v_cndmask_b32_e32 v33, v2, v3, vcc_lo
	v_cmp_eq_u32_e32 vcc_lo, 2, v0
	s_delay_alu instid0(VALU_DEP_2) | instskip(SKIP_1) | instid1(VALU_DEP_2)
	v_cndmask_b32_e32 v33, v33, v4, vcc_lo
	v_cmp_eq_u32_e32 vcc_lo, 3, v0
	v_cndmask_b32_e32 v33, v33, v5, vcc_lo
	v_cmp_eq_u32_e32 vcc_lo, 4, v0
	s_delay_alu instid0(VALU_DEP_2) | instskip(SKIP_1) | instid1(VALU_DEP_2)
	v_cndmask_b32_e32 v33, v33, v6, vcc_lo
	v_cmp_eq_u32_e32 vcc_lo, 5, v0
	;; [unrolled: 5-line block ×14, first 2 shown]
	v_cndmask_b32_e32 v33, v33, v31, vcc_lo
	v_cmp_eq_u32_e32 vcc_lo, 30, v0
	s_delay_alu instid0(VALU_DEP_2) | instskip(SKIP_1) | instid1(VALU_DEP_1)
	v_cndmask_b32_e32 v33, v33, v32, vcc_lo
	s_wait_dscnt 0x0
	v_mul_f32_e32 v33, v33, v34
	s_cbranch_execz .LBB94_752
	s_branch .LBB94_753
.LBB94_751:
                                        ; implicit-def: $vgpr33
.LBB94_752:
	ds_load_b32 v33, v131
.LBB94_753:
	s_mov_b32 s2, exec_lo
	v_cmpx_ne_u32_e32 28, v0
	s_cbranch_execz .LBB94_757
; %bb.754:
	v_mov_b64_e32 v[34:35], v[0:1]
	v_lshl_add_u32 v37, v0, 2, 0x84
	s_mov_b32 s3, 0
.LBB94_755:                             ; =>This Inner Loop Header: Depth=1
	s_delay_alu instid0(VALU_DEP_2)
	v_add_nc_u64_e32 v[34:35], 1, v[34:35]
	ds_load_b32 v39, v37
	v_add_nc_u32_e32 v37, 4, v37
	v_cmp_eq_u32_e32 vcc_lo, 1, v34
	v_cndmask_b32_e32 v38, v2, v3, vcc_lo
	v_cmp_eq_u32_e32 vcc_lo, 2, v34
	s_delay_alu instid0(VALU_DEP_2) | instskip(SKIP_1) | instid1(VALU_DEP_2)
	v_cndmask_b32_e32 v38, v38, v4, vcc_lo
	v_cmp_eq_u32_e32 vcc_lo, 3, v34
	v_cndmask_b32_e32 v38, v38, v5, vcc_lo
	v_cmp_eq_u32_e32 vcc_lo, 4, v34
	s_delay_alu instid0(VALU_DEP_2) | instskip(SKIP_1) | instid1(VALU_DEP_2)
	v_cndmask_b32_e32 v38, v38, v6, vcc_lo
	;; [unrolled: 5-line block ×14, first 2 shown]
	v_cmp_eq_u32_e32 vcc_lo, 29, v34
	v_cndmask_b32_e32 v38, v38, v31, vcc_lo
	v_cmp_eq_u32_e32 vcc_lo, 30, v34
	s_delay_alu instid0(VALU_DEP_2) | instskip(SKIP_2) | instid1(VALU_DEP_2)
	v_cndmask_b32_e32 v38, v38, v32, vcc_lo
	v_cmp_lt_u32_e32 vcc_lo, 27, v34
	s_wait_dscnt 0x0
	v_fmac_f32_e32 v33, v38, v39
	s_or_b32 s3, vcc_lo, s3
	s_delay_alu instid0(SALU_CYCLE_1)
	s_and_not1_b32 exec_lo, exec_lo, s3
	s_cbranch_execnz .LBB94_755
; %bb.756:
	s_or_b32 exec_lo, exec_lo, s3
.LBB94_757:
	s_delay_alu instid0(SALU_CYCLE_1)
	s_or_b32 exec_lo, exec_lo, s2
	v_mov_b32_e32 v31, 0
	ds_load_b32 v31, v31 offset:116
	s_wait_dscnt 0x0
	v_mul_f32_e32 v31, v33, v31
.LBB94_758:
	s_or_b32 exec_lo, exec_lo, s1
	s_delay_alu instid0(SALU_CYCLE_1)
	s_mov_b32 s1, exec_lo
	ds_store_b32 v131, v32
	s_wait_dscnt 0x0
	s_barrier_signal -1
	s_barrier_wait -1
	v_cmpx_ne_u32_e32 30, v0
	s_cbranch_execz .LBB94_768
; %bb.759:
	v_cmp_ne_u32_e32 vcc_lo, 1, v36
	s_cbranch_vccnz .LBB94_761
; %bb.760:
	v_cmp_eq_u32_e32 vcc_lo, 1, v0
	ds_load_b32 v34, v131
	v_cndmask_b32_e32 v33, v2, v3, vcc_lo
	v_cmp_eq_u32_e32 vcc_lo, 2, v0
	s_delay_alu instid0(VALU_DEP_2) | instskip(SKIP_1) | instid1(VALU_DEP_2)
	v_cndmask_b32_e32 v33, v33, v4, vcc_lo
	v_cmp_eq_u32_e32 vcc_lo, 3, v0
	v_cndmask_b32_e32 v33, v33, v5, vcc_lo
	v_cmp_eq_u32_e32 vcc_lo, 4, v0
	s_delay_alu instid0(VALU_DEP_2) | instskip(SKIP_1) | instid1(VALU_DEP_2)
	v_cndmask_b32_e32 v33, v33, v6, vcc_lo
	v_cmp_eq_u32_e32 vcc_lo, 5, v0
	;; [unrolled: 5-line block ×14, first 2 shown]
	v_cndmask_b32_e32 v33, v33, v31, vcc_lo
	v_cmp_eq_u32_e32 vcc_lo, 30, v0
	s_delay_alu instid0(VALU_DEP_2) | instskip(SKIP_1) | instid1(VALU_DEP_1)
	v_cndmask_b32_e32 v33, v33, v32, vcc_lo
	s_wait_dscnt 0x0
	v_mul_f32_e32 v33, v33, v34
	s_cbranch_execz .LBB94_762
	s_branch .LBB94_763
.LBB94_761:
                                        ; implicit-def: $vgpr33
.LBB94_762:
	ds_load_b32 v33, v131
.LBB94_763:
	s_and_saveexec_b32 s2, s0
	s_cbranch_execz .LBB94_767
; %bb.764:
	v_lshl_add_u32 v34, v0, 2, 0x84
	s_mov_b32 s0, 0
.LBB94_765:                             ; =>This Inner Loop Header: Depth=1
	v_add_nc_u64_e32 v[0:1], 1, v[0:1]
	ds_load_b32 v36, v34
	v_add_nc_u32_e32 v34, 4, v34
	v_cmp_eq_u32_e32 vcc_lo, 1, v0
	v_cndmask_b32_e32 v35, v2, v3, vcc_lo
	v_cmp_eq_u32_e32 vcc_lo, 2, v0
	s_delay_alu instid0(VALU_DEP_2) | instskip(SKIP_1) | instid1(VALU_DEP_2)
	v_cndmask_b32_e32 v35, v35, v4, vcc_lo
	v_cmp_eq_u32_e32 vcc_lo, 3, v0
	v_cndmask_b32_e32 v35, v35, v5, vcc_lo
	v_cmp_eq_u32_e32 vcc_lo, 4, v0
	s_delay_alu instid0(VALU_DEP_2) | instskip(SKIP_1) | instid1(VALU_DEP_2)
	v_cndmask_b32_e32 v35, v35, v6, vcc_lo
	;; [unrolled: 5-line block ×14, first 2 shown]
	v_cmp_eq_u32_e32 vcc_lo, 29, v0
	v_cndmask_b32_e32 v35, v35, v31, vcc_lo
	v_cmp_eq_u32_e32 vcc_lo, 30, v0
	s_delay_alu instid0(VALU_DEP_2) | instskip(SKIP_2) | instid1(VALU_DEP_2)
	v_cndmask_b32_e32 v35, v35, v32, vcc_lo
	v_cmp_lt_u32_e32 vcc_lo, 28, v0
	s_wait_dscnt 0x0
	v_fmac_f32_e32 v33, v35, v36
	s_or_b32 s0, vcc_lo, s0
	s_delay_alu instid0(SALU_CYCLE_1)
	s_and_not1_b32 exec_lo, exec_lo, s0
	s_cbranch_execnz .LBB94_765
; %bb.766:
	s_or_b32 exec_lo, exec_lo, s0
.LBB94_767:
	s_delay_alu instid0(SALU_CYCLE_1)
	s_or_b32 exec_lo, exec_lo, s2
	v_mov_b32_e32 v0, 0
	ds_load_b32 v0, v0 offset:120
	s_wait_dscnt 0x0
	v_mul_f32_e32 v32, v33, v0
.LBB94_768:
	s_or_b32 exec_lo, exec_lo, s1
	s_delay_alu instid0(VALU_DEP_1)
	v_mov_b64_e32 v[64:65], v[32:33]
	v_mov_b64_e32 v[62:63], v[30:31]
	v_mov_b64_e32 v[60:61], v[28:29]
	v_mov_b64_e32 v[58:59], v[26:27]
	v_mov_b64_e32 v[56:57], v[24:25]
	v_mov_b64_e32 v[54:55], v[22:23]
	v_mov_b64_e32 v[52:53], v[20:21]
	v_mov_b64_e32 v[50:51], v[18:19]
	v_mov_b64_e32 v[48:49], v[16:17]
	v_mov_b64_e32 v[46:47], v[14:15]
	v_mov_b64_e32 v[44:45], v[12:13]
	v_mov_b64_e32 v[42:43], v[10:11]
	v_mov_b64_e32 v[40:41], v[8:9]
	v_mov_b64_e32 v[38:39], v[6:7]
	v_mov_b64_e32 v[36:37], v[4:5]
	v_mov_b64_e32 v[34:35], v[2:3]
.LBB94_769:
	s_wait_xcnt 0x6
	v_lshl_add_u64 v[0:1], v[66:67], 2, s[34:35]
	s_wait_loadcnt_dscnt 0x607
	v_lshl_add_u64 v[2:3], v[68:69], 2, s[34:35]
	v_lshl_add_u64 v[4:5], v[70:71], 2, s[34:35]
	;; [unrolled: 1-line block ×12, first 2 shown]
	s_wait_loadcnt_dscnt 0x506
	v_lshl_add_u64 v[26:27], v[92:93], 2, s[34:35]
	s_wait_loadcnt_dscnt 0x304
	v_lshl_add_u64 v[28:29], v[94:95], 2, s[34:35]
	;; [unrolled: 2-line block ×4, first 2 shown]
	v_lshl_add_u64 v[66:67], v[100:101], 2, s[34:35]
	v_lshl_add_u64 v[68:69], v[102:103], 2, s[34:35]
	;; [unrolled: 1-line block ×12, first 2 shown]
	s_clause 0x1e
	flat_store_b32 v[106:107], v34
	flat_store_b32 v[112:113], v35
	;; [unrolled: 1-line block ×31, first 2 shown]
.LBB94_770:
	s_sendmsg sendmsg(MSG_DEALLOC_VGPRS)
	s_endpgm
	.section	.rodata,"a",@progbits
	.p2align	6, 0x0
	.amdhsa_kernel _ZN9rocsolver6v33100L18trti2_kernel_smallILi31EfPKPfEEv13rocblas_fill_17rocblas_diagonal_T1_iil
		.amdhsa_group_segment_fixed_size 252
		.amdhsa_private_segment_fixed_size 0
		.amdhsa_kernarg_size 32
		.amdhsa_user_sgpr_count 2
		.amdhsa_user_sgpr_dispatch_ptr 0
		.amdhsa_user_sgpr_queue_ptr 0
		.amdhsa_user_sgpr_kernarg_segment_ptr 1
		.amdhsa_user_sgpr_dispatch_id 0
		.amdhsa_user_sgpr_kernarg_preload_length 0
		.amdhsa_user_sgpr_kernarg_preload_offset 0
		.amdhsa_user_sgpr_private_segment_size 0
		.amdhsa_wavefront_size32 1
		.amdhsa_uses_dynamic_stack 0
		.amdhsa_enable_private_segment 0
		.amdhsa_system_sgpr_workgroup_id_x 1
		.amdhsa_system_sgpr_workgroup_id_y 0
		.amdhsa_system_sgpr_workgroup_id_z 0
		.amdhsa_system_sgpr_workgroup_info 0
		.amdhsa_system_vgpr_workitem_id 0
		.amdhsa_next_free_vgpr 143
		.amdhsa_next_free_sgpr 40
		.amdhsa_named_barrier_count 0
		.amdhsa_reserve_vcc 1
		.amdhsa_float_round_mode_32 0
		.amdhsa_float_round_mode_16_64 0
		.amdhsa_float_denorm_mode_32 3
		.amdhsa_float_denorm_mode_16_64 3
		.amdhsa_fp16_overflow 0
		.amdhsa_memory_ordered 1
		.amdhsa_forward_progress 1
		.amdhsa_inst_pref_size 255
		.amdhsa_round_robin_scheduling 0
		.amdhsa_exception_fp_ieee_invalid_op 0
		.amdhsa_exception_fp_denorm_src 0
		.amdhsa_exception_fp_ieee_div_zero 0
		.amdhsa_exception_fp_ieee_overflow 0
		.amdhsa_exception_fp_ieee_underflow 0
		.amdhsa_exception_fp_ieee_inexact 0
		.amdhsa_exception_int_div_zero 0
	.end_amdhsa_kernel
	.section	.text._ZN9rocsolver6v33100L18trti2_kernel_smallILi31EfPKPfEEv13rocblas_fill_17rocblas_diagonal_T1_iil,"axG",@progbits,_ZN9rocsolver6v33100L18trti2_kernel_smallILi31EfPKPfEEv13rocblas_fill_17rocblas_diagonal_T1_iil,comdat
.Lfunc_end94:
	.size	_ZN9rocsolver6v33100L18trti2_kernel_smallILi31EfPKPfEEv13rocblas_fill_17rocblas_diagonal_T1_iil, .Lfunc_end94-_ZN9rocsolver6v33100L18trti2_kernel_smallILi31EfPKPfEEv13rocblas_fill_17rocblas_diagonal_T1_iil
                                        ; -- End function
	.set _ZN9rocsolver6v33100L18trti2_kernel_smallILi31EfPKPfEEv13rocblas_fill_17rocblas_diagonal_T1_iil.num_vgpr, 143
	.set _ZN9rocsolver6v33100L18trti2_kernel_smallILi31EfPKPfEEv13rocblas_fill_17rocblas_diagonal_T1_iil.num_agpr, 0
	.set _ZN9rocsolver6v33100L18trti2_kernel_smallILi31EfPKPfEEv13rocblas_fill_17rocblas_diagonal_T1_iil.numbered_sgpr, 40
	.set _ZN9rocsolver6v33100L18trti2_kernel_smallILi31EfPKPfEEv13rocblas_fill_17rocblas_diagonal_T1_iil.num_named_barrier, 0
	.set _ZN9rocsolver6v33100L18trti2_kernel_smallILi31EfPKPfEEv13rocblas_fill_17rocblas_diagonal_T1_iil.private_seg_size, 0
	.set _ZN9rocsolver6v33100L18trti2_kernel_smallILi31EfPKPfEEv13rocblas_fill_17rocblas_diagonal_T1_iil.uses_vcc, 1
	.set _ZN9rocsolver6v33100L18trti2_kernel_smallILi31EfPKPfEEv13rocblas_fill_17rocblas_diagonal_T1_iil.uses_flat_scratch, 1
	.set _ZN9rocsolver6v33100L18trti2_kernel_smallILi31EfPKPfEEv13rocblas_fill_17rocblas_diagonal_T1_iil.has_dyn_sized_stack, 0
	.set _ZN9rocsolver6v33100L18trti2_kernel_smallILi31EfPKPfEEv13rocblas_fill_17rocblas_diagonal_T1_iil.has_recursion, 0
	.set _ZN9rocsolver6v33100L18trti2_kernel_smallILi31EfPKPfEEv13rocblas_fill_17rocblas_diagonal_T1_iil.has_indirect_call, 0
	.section	.AMDGPU.csdata,"",@progbits
; Kernel info:
; codeLenInByte = 58568
; TotalNumSgprs: 42
; NumVgprs: 143
; ScratchSize: 0
; MemoryBound: 0
; FloatMode: 240
; IeeeMode: 1
; LDSByteSize: 252 bytes/workgroup (compile time only)
; SGPRBlocks: 0
; VGPRBlocks: 8
; NumSGPRsForWavesPerEU: 42
; NumVGPRsForWavesPerEU: 143
; NamedBarCnt: 0
; Occupancy: 7
; WaveLimiterHint : 1
; COMPUTE_PGM_RSRC2:SCRATCH_EN: 0
; COMPUTE_PGM_RSRC2:USER_SGPR: 2
; COMPUTE_PGM_RSRC2:TRAP_HANDLER: 0
; COMPUTE_PGM_RSRC2:TGID_X_EN: 1
; COMPUTE_PGM_RSRC2:TGID_Y_EN: 0
; COMPUTE_PGM_RSRC2:TGID_Z_EN: 0
; COMPUTE_PGM_RSRC2:TIDIG_COMP_CNT: 0
	.section	.text._ZN9rocsolver6v33100L18trti2_kernel_smallILi32EfPKPfEEv13rocblas_fill_17rocblas_diagonal_T1_iil,"axG",@progbits,_ZN9rocsolver6v33100L18trti2_kernel_smallILi32EfPKPfEEv13rocblas_fill_17rocblas_diagonal_T1_iil,comdat
	.globl	_ZN9rocsolver6v33100L18trti2_kernel_smallILi32EfPKPfEEv13rocblas_fill_17rocblas_diagonal_T1_iil ; -- Begin function _ZN9rocsolver6v33100L18trti2_kernel_smallILi32EfPKPfEEv13rocblas_fill_17rocblas_diagonal_T1_iil
	.p2align	8
	.type	_ZN9rocsolver6v33100L18trti2_kernel_smallILi32EfPKPfEEv13rocblas_fill_17rocblas_diagonal_T1_iil,@function
_ZN9rocsolver6v33100L18trti2_kernel_smallILi32EfPKPfEEv13rocblas_fill_17rocblas_diagonal_T1_iil: ; @_ZN9rocsolver6v33100L18trti2_kernel_smallILi32EfPKPfEEv13rocblas_fill_17rocblas_diagonal_T1_iil
; %bb.0:
	s_mov_b32 s2, exec_lo
	v_cmpx_gt_u32_e32 32, v0
	s_cbranch_execz .LBB95_796
; %bb.1:
	s_clause 0x1
	s_load_b64 s[2:3], s[0:1], 0x10
	s_load_b128 s[36:39], s[0:1], 0x0
	s_wait_xcnt 0x0
	s_bfe_u32 s0, ttmp6, 0x4000c
	s_and_b32 s1, ttmp6, 15
	s_add_co_i32 s0, s0, 1
	s_getreg_b32 s4, hwreg(HW_REG_IB_STS2, 6, 4)
	s_mul_i32 s0, ttmp9, s0
	v_mov_b32_e32 v1, 0
	s_add_co_i32 s0, s1, s0
	v_lshlrev_b32_e32 v34, 2, v0
	s_wait_kmcnt 0x0
	v_add3_u32 v66, s3, s3, v0
	s_ashr_i32 s1, s2, 31
	s_cmp_eq_u32 s4, 0
	s_cselect_b32 s4, ttmp9, s0
	s_delay_alu instid0(VALU_DEP_1)
	v_add_nc_u32_e32 v68, s3, v66
	s_ashr_i32 s5, s4, 31
	s_mov_b32 s0, s2
	s_lshl_b64 s[4:5], s[4:5], 3
	s_lshl_b64 s[0:1], s[0:1], 2
	v_add_nc_u32_e32 v70, s3, v68
	s_add_nc_u64 s[4:5], s[38:39], s[4:5]
	s_load_b64 s[4:5], s[4:5], 0x0
	s_delay_alu instid0(VALU_DEP_1) | instskip(NEXT) | instid1(VALU_DEP_1)
	v_add_nc_u32_e32 v72, s3, v70
	v_add_nc_u32_e32 v74, s3, v72
	s_delay_alu instid0(VALU_DEP_1) | instskip(NEXT) | instid1(VALU_DEP_1)
	v_add_nc_u32_e32 v76, s3, v74
	v_add_nc_u32_e32 v78, s3, v76
	s_wait_kmcnt 0x0
	s_add_nc_u64 s[34:35], s[4:5], s[0:1]
	s_mov_b32 s0, s3
	s_delay_alu instid0(VALU_DEP_1) | instskip(SKIP_3) | instid1(VALU_DEP_1)
	v_add_nc_u32_e32 v80, s3, v78
	s_ashr_i32 s1, s3, 31
	s_cmp_lg_u32 s37, 0x84
	s_cselect_b32 s33, -1, 0
	v_add_nc_u32_e32 v82, s3, v80
	s_cmp_eq_u32 s37, 0x84
	s_delay_alu instid0(VALU_DEP_1) | instskip(NEXT) | instid1(VALU_DEP_1)
	v_add_nc_u32_e32 v84, s3, v82
	v_add_nc_u32_e32 v86, s3, v84
	s_delay_alu instid0(VALU_DEP_1) | instskip(NEXT) | instid1(VALU_DEP_1)
	v_add_nc_u32_e32 v88, s3, v86
	v_add_nc_u32_e32 v90, s3, v88
	;; [unrolled: 3-line block ×6, first 2 shown]
	s_delay_alu instid0(VALU_DEP_1) | instskip(NEXT) | instid1(VALU_DEP_1)
	v_add_nc_u32_e32 v110, s3, v106
	v_dual_mov_b32 v35, v1 :: v_dual_add_nc_u32 v112, s3, v110
	s_delay_alu instid0(VALU_DEP_1) | instskip(NEXT) | instid1(VALU_DEP_2)
	v_add_nc_u32_e32 v116, s3, v112
	v_add_nc_u64_e32 v[108:109], s[34:35], v[34:35]
	s_delay_alu instid0(VALU_DEP_2) | instskip(NEXT) | instid1(VALU_DEP_2)
	v_dual_mov_b32 v35, -1.0 :: v_dual_add_nc_u32 v118, s3, v116
	v_lshl_add_u64 v[114:115], s[0:1], 2, v[108:109]
	v_cmp_eq_u32_e64 s0, 0, v0
	s_delay_alu instid0(VALU_DEP_3)
	v_add_nc_u32_e32 v120, s3, v118
	s_clause 0xf
	flat_load_b32 v3, v[114:115]
	flat_load_b32 v4, v66, s[34:35] scale_offset
	flat_load_b32 v5, v68, s[34:35] scale_offset
	;; [unrolled: 1-line block ×15, first 2 shown]
	v_add_nc_u32_e32 v122, s3, v120
	s_clause 0x7
	flat_load_b32 v19, v96, s[34:35] scale_offset
	flat_load_b32 v20, v98, s[34:35] scale_offset
	;; [unrolled: 1-line block ×8, first 2 shown]
	v_add_nc_u32_e32 v124, s3, v122
	s_delay_alu instid0(VALU_DEP_1) | instskip(NEXT) | instid1(VALU_DEP_1)
	v_add_nc_u32_e32 v126, s3, v124
	v_add_nc_u32_e32 v128, s3, v126
	s_clause 0x7
	flat_load_b32 v2, v0, s[34:35] scale_offset
	flat_load_b32 v27, v116, s[34:35] scale_offset
	;; [unrolled: 1-line block ×8, first 2 shown]
	s_cbranch_scc1 .LBB95_3
; %bb.2:
	v_cmp_eq_u32_e64 s1, 1, v0
	v_cmp_eq_u32_e64 s2, 2, v0
	;; [unrolled: 1-line block ×5, first 2 shown]
	s_wait_loadcnt_dscnt 0x707
	v_cndmask_b32_e64 v35, v2, v3, s1
	v_cmp_eq_u32_e64 s6, 6, v0
	v_cmp_eq_u32_e64 s7, 7, v0
	v_cmp_eq_u32_e64 s8, 8, v0
	v_cmp_eq_u32_e64 s9, 9, v0
	v_cndmask_b32_e64 v35, v35, v4, s2
	v_cmp_eq_u32_e64 s10, 10, v0
	v_cmp_eq_u32_e64 s11, 11, v0
	v_cmp_eq_u32_e64 s12, 12, v0
	v_cmp_eq_u32_e64 s13, 13, v0
	;; [unrolled: 5-line block ×6, first 2 shown]
	v_cndmask_b32_e64 v35, v35, v9, s7
	v_cmp_eq_u32_e64 s30, 30, v0
	v_cmp_eq_u32_e64 s31, 31, v0
	s_delay_alu instid0(VALU_DEP_3) | instskip(NEXT) | instid1(VALU_DEP_1)
	v_cndmask_b32_e64 v35, v35, v10, s8
	v_cndmask_b32_e64 v35, v35, v11, s9
	s_delay_alu instid0(VALU_DEP_1) | instskip(NEXT) | instid1(VALU_DEP_1)
	v_cndmask_b32_e64 v35, v35, v12, s10
	v_cndmask_b32_e64 v35, v35, v13, s11
	s_delay_alu instid0(VALU_DEP_1) | instskip(NEXT) | instid1(VALU_DEP_1)
	;; [unrolled: 3-line block ×7, first 2 shown]
	v_cndmask_b32_e64 v35, v35, v24, s22
	v_cndmask_b32_e64 v35, v35, v25, s23
	s_delay_alu instid0(VALU_DEP_1) | instskip(SKIP_1) | instid1(VALU_DEP_1)
	v_cndmask_b32_e64 v35, v35, v26, s24
	s_wait_loadcnt_dscnt 0x606
	v_cndmask_b32_e64 v35, v35, v27, s25
	s_wait_loadcnt_dscnt 0x505
	s_delay_alu instid0(VALU_DEP_1) | instskip(SKIP_1) | instid1(VALU_DEP_1)
	v_cndmask_b32_e64 v35, v35, v28, s26
	s_wait_loadcnt_dscnt 0x404
	v_cndmask_b32_e64 v35, v35, v29, s27
	s_wait_loadcnt_dscnt 0x303
	;; [unrolled: 5-line block ×3, first 2 shown]
	s_delay_alu instid0(VALU_DEP_1) | instskip(SKIP_1) | instid1(VALU_DEP_1)
	v_cndmask_b32_e64 v35, v35, v32, s30
	s_wait_loadcnt_dscnt 0x0
	v_cndmask_b32_e64 v35, v35, v33, s31
	s_delay_alu instid0(VALU_DEP_1) | instskip(SKIP_1) | instid1(VALU_DEP_2)
	v_div_scale_f32 v36, null, v35, v35, 1.0
	v_div_scale_f32 v39, vcc_lo, 1.0, v35, 1.0
	v_rcp_f32_e32 v37, v36
	v_nop
	s_delay_alu instid0(TRANS32_DEP_1) | instskip(NEXT) | instid1(VALU_DEP_1)
	v_fma_f32 v38, -v36, v37, 1.0
	v_fmac_f32_e32 v37, v38, v37
	s_delay_alu instid0(VALU_DEP_1) | instskip(NEXT) | instid1(VALU_DEP_1)
	v_mul_f32_e32 v38, v39, v37
	v_fma_f32 v40, -v36, v38, v39
	s_delay_alu instid0(VALU_DEP_1) | instskip(NEXT) | instid1(VALU_DEP_1)
	v_fmac_f32_e32 v38, v40, v37
	v_fma_f32 v36, -v36, v38, v39
	s_delay_alu instid0(VALU_DEP_1) | instskip(NEXT) | instid1(VALU_DEP_1)
	v_div_fmas_f32 v36, v36, v37, v38
	v_div_fixup_f32 v35, v36, v35, 1.0
	s_delay_alu instid0(VALU_DEP_1)
	v_dual_cndmask_b32 v33, v33, v35, s31 :: v_dual_cndmask_b32 v32, v32, v35, s30
	v_dual_cndmask_b32 v31, v31, v35, s29 :: v_dual_cndmask_b32 v30, v30, v35, s28
	;; [unrolled: 1-line block ×16, first 2 shown]
	v_xor_b32_e32 v35, 0x80000000, v35
.LBB95_3:
	v_dual_ashrrev_i32 v67, 31, v66 :: v_dual_ashrrev_i32 v69, 31, v68
	v_dual_ashrrev_i32 v71, 31, v70 :: v_dual_ashrrev_i32 v73, 31, v72
	;; [unrolled: 1-line block ×15, first 2 shown]
	v_add_nc_u32_e32 v133, 0x80, v34
	s_cmp_eq_u32 s36, 0x79
	ds_store_b32 v34, v35
	s_cbranch_scc1 .LBB95_7
; %bb.4:
	s_wait_loadcnt_dscnt 0x1
	v_mov_b64_e32 v[64:65], v[32:33]
	v_mov_b64_e32 v[62:63], v[30:31]
	;; [unrolled: 1-line block ×16, first 2 shown]
	v_cmp_eq_u32_e64 s0, 31, v0
	ds_store_b32 v133, v32
	s_wait_dscnt 0x0
	s_barrier_signal -1
	s_barrier_wait -1
	s_and_saveexec_b32 s1, s0
	s_cbranch_execz .LBB95_11
; %bb.5:
	s_and_b32 vcc_lo, exec_lo, s33
	s_cbranch_vccz .LBB95_8
; %bb.6:
	v_cmp_eq_u32_e32 vcc_lo, 1, v0
	ds_load_b32 v35, v133
	v_cndmask_b32_e32 v34, v2, v3, vcc_lo
	v_cmp_eq_u32_e32 vcc_lo, 2, v0
	s_delay_alu instid0(VALU_DEP_2) | instskip(SKIP_1) | instid1(VALU_DEP_2)
	v_cndmask_b32_e32 v34, v34, v4, vcc_lo
	v_cmp_eq_u32_e32 vcc_lo, 3, v0
	v_cndmask_b32_e32 v34, v34, v5, vcc_lo
	v_cmp_eq_u32_e32 vcc_lo, 4, v0
	s_delay_alu instid0(VALU_DEP_2) | instskip(SKIP_1) | instid1(VALU_DEP_2)
	v_cndmask_b32_e32 v34, v34, v6, vcc_lo
	v_cmp_eq_u32_e32 vcc_lo, 5, v0
	v_cndmask_b32_e32 v34, v34, v7, vcc_lo
	v_cmp_eq_u32_e32 vcc_lo, 6, v0
	s_delay_alu instid0(VALU_DEP_2) | instskip(SKIP_1) | instid1(VALU_DEP_2)
	v_cndmask_b32_e32 v34, v34, v8, vcc_lo
	v_cmp_eq_u32_e32 vcc_lo, 7, v0
	v_cndmask_b32_e32 v34, v34, v9, vcc_lo
	v_cmp_eq_u32_e32 vcc_lo, 8, v0
	s_delay_alu instid0(VALU_DEP_2) | instskip(SKIP_1) | instid1(VALU_DEP_2)
	v_cndmask_b32_e32 v34, v34, v10, vcc_lo
	v_cmp_eq_u32_e32 vcc_lo, 9, v0
	v_cndmask_b32_e32 v34, v34, v11, vcc_lo
	v_cmp_eq_u32_e32 vcc_lo, 10, v0
	s_delay_alu instid0(VALU_DEP_2) | instskip(SKIP_1) | instid1(VALU_DEP_2)
	v_cndmask_b32_e32 v34, v34, v12, vcc_lo
	v_cmp_eq_u32_e32 vcc_lo, 11, v0
	v_cndmask_b32_e32 v34, v34, v13, vcc_lo
	v_cmp_eq_u32_e32 vcc_lo, 12, v0
	s_delay_alu instid0(VALU_DEP_2) | instskip(SKIP_1) | instid1(VALU_DEP_2)
	v_cndmask_b32_e32 v34, v34, v14, vcc_lo
	v_cmp_eq_u32_e32 vcc_lo, 13, v0
	v_cndmask_b32_e32 v34, v34, v15, vcc_lo
	v_cmp_eq_u32_e32 vcc_lo, 14, v0
	s_delay_alu instid0(VALU_DEP_2) | instskip(SKIP_1) | instid1(VALU_DEP_2)
	v_cndmask_b32_e32 v34, v34, v16, vcc_lo
	v_cmp_eq_u32_e32 vcc_lo, 15, v0
	v_cndmask_b32_e32 v34, v34, v17, vcc_lo
	v_cmp_eq_u32_e32 vcc_lo, 16, v0
	s_delay_alu instid0(VALU_DEP_2) | instskip(SKIP_1) | instid1(VALU_DEP_2)
	v_cndmask_b32_e32 v34, v34, v18, vcc_lo
	v_cmp_eq_u32_e32 vcc_lo, 17, v0
	v_cndmask_b32_e32 v34, v34, v19, vcc_lo
	v_cmp_eq_u32_e32 vcc_lo, 18, v0
	s_delay_alu instid0(VALU_DEP_2) | instskip(SKIP_1) | instid1(VALU_DEP_2)
	v_cndmask_b32_e32 v34, v34, v20, vcc_lo
	v_cmp_eq_u32_e32 vcc_lo, 19, v0
	v_cndmask_b32_e32 v34, v34, v21, vcc_lo
	v_cmp_eq_u32_e32 vcc_lo, 20, v0
	s_delay_alu instid0(VALU_DEP_2) | instskip(SKIP_1) | instid1(VALU_DEP_2)
	v_cndmask_b32_e32 v34, v34, v22, vcc_lo
	v_cmp_eq_u32_e32 vcc_lo, 21, v0
	v_cndmask_b32_e32 v34, v34, v23, vcc_lo
	v_cmp_eq_u32_e32 vcc_lo, 22, v0
	s_delay_alu instid0(VALU_DEP_2) | instskip(SKIP_1) | instid1(VALU_DEP_2)
	v_cndmask_b32_e32 v34, v34, v24, vcc_lo
	v_cmp_eq_u32_e32 vcc_lo, 23, v0
	v_cndmask_b32_e32 v34, v34, v25, vcc_lo
	v_cmp_eq_u32_e32 vcc_lo, 24, v0
	s_delay_alu instid0(VALU_DEP_2) | instskip(SKIP_1) | instid1(VALU_DEP_2)
	v_cndmask_b32_e32 v34, v34, v26, vcc_lo
	v_cmp_eq_u32_e32 vcc_lo, 25, v0
	v_cndmask_b32_e32 v34, v34, v27, vcc_lo
	v_cmp_eq_u32_e32 vcc_lo, 26, v0
	s_delay_alu instid0(VALU_DEP_2) | instskip(SKIP_1) | instid1(VALU_DEP_2)
	v_cndmask_b32_e32 v34, v34, v28, vcc_lo
	v_cmp_eq_u32_e32 vcc_lo, 27, v0
	v_cndmask_b32_e32 v34, v34, v29, vcc_lo
	v_cmp_eq_u32_e32 vcc_lo, 28, v0
	s_delay_alu instid0(VALU_DEP_2) | instskip(SKIP_1) | instid1(VALU_DEP_2)
	v_cndmask_b32_e32 v34, v34, v30, vcc_lo
	v_cmp_eq_u32_e32 vcc_lo, 29, v0
	v_cndmask_b32_e32 v34, v34, v31, vcc_lo
	v_cmp_eq_u32_e32 vcc_lo, 30, v0
	s_delay_alu instid0(VALU_DEP_2) | instskip(SKIP_1) | instid1(VALU_DEP_2)
	v_cndmask_b32_e32 v34, v34, v32, vcc_lo
	v_cmp_eq_u32_e32 vcc_lo, 31, v0
	v_cndmask_b32_e32 v34, v34, v33, vcc_lo
	s_wait_dscnt 0x0
	s_delay_alu instid0(VALU_DEP_1)
	v_mul_f32_e32 v34, v34, v35
	s_cbranch_execz .LBB95_9
	s_branch .LBB95_10
.LBB95_7:
                                        ; implicit-def: $vgpr34_vgpr35_vgpr36_vgpr37_vgpr38_vgpr39_vgpr40_vgpr41_vgpr42_vgpr43_vgpr44_vgpr45_vgpr46_vgpr47_vgpr48_vgpr49_vgpr50_vgpr51_vgpr52_vgpr53_vgpr54_vgpr55_vgpr56_vgpr57_vgpr58_vgpr59_vgpr60_vgpr61_vgpr62_vgpr63_vgpr64_vgpr65
	s_cbranch_execnz .LBB95_482
	s_branch .LBB95_795
.LBB95_8:
                                        ; implicit-def: $vgpr34
.LBB95_9:
	ds_load_b32 v34, v133
.LBB95_10:
	v_mov_b32_e32 v35, 0
	ds_load_b32 v35, v35 offset:120
	s_wait_dscnt 0x0
	v_mul_f32_e32 v130, v34, v35
	v_mov_b64_e32 v[64:65], v[32:33]
	v_mov_b64_e32 v[62:63], v[30:31]
	;; [unrolled: 1-line block ×16, first 2 shown]
	v_mov_b32_e32 v64, v130
.LBB95_11:
	s_or_b32 exec_lo, exec_lo, s1
	v_cmp_lt_u32_e64 s1, 29, v0
	ds_store_b32 v133, v63
	s_wait_dscnt 0x0
	s_barrier_signal -1
	s_barrier_wait -1
	s_and_saveexec_b32 s2, s1
	s_cbranch_execz .LBB95_17
; %bb.12:
	s_and_not1_b32 vcc_lo, exec_lo, s33
	s_cbranch_vccnz .LBB95_14
; %bb.13:
	v_cmp_eq_u32_e32 vcc_lo, 1, v0
	ds_load_b32 v131, v133
	v_cndmask_b32_e32 v130, v34, v35, vcc_lo
	v_cmp_eq_u32_e32 vcc_lo, 2, v0
	s_delay_alu instid0(VALU_DEP_2) | instskip(SKIP_1) | instid1(VALU_DEP_2)
	v_cndmask_b32_e32 v130, v130, v36, vcc_lo
	v_cmp_eq_u32_e32 vcc_lo, 3, v0
	v_cndmask_b32_e32 v130, v130, v37, vcc_lo
	v_cmp_eq_u32_e32 vcc_lo, 4, v0
	s_delay_alu instid0(VALU_DEP_2) | instskip(SKIP_1) | instid1(VALU_DEP_2)
	v_cndmask_b32_e32 v130, v130, v38, vcc_lo
	v_cmp_eq_u32_e32 vcc_lo, 5, v0
	;; [unrolled: 5-line block ×15, first 2 shown]
	v_cndmask_b32_e32 v63, v63, v65, vcc_lo
	s_wait_dscnt 0x0
	s_delay_alu instid0(VALU_DEP_1)
	v_mul_f32_e32 v63, v63, v131
	s_cbranch_execz .LBB95_15
	s_branch .LBB95_16
.LBB95_14:
                                        ; implicit-def: $vgpr63
.LBB95_15:
	ds_load_b32 v63, v133
.LBB95_16:
	v_mov_b32_e32 v130, 0
	ds_load_2addr_b32 v[130:131], v130 offset0:29 offset1:62
	s_wait_dscnt 0x0
	v_fma_f32 v131, v64, v131, v63
	s_delay_alu instid0(VALU_DEP_1) | instskip(NEXT) | instid1(VALU_DEP_1)
	v_cndmask_b32_e64 v63, v63, v131, s0
	v_mul_f32_e32 v63, v63, v130
.LBB95_17:
	s_or_b32 exec_lo, exec_lo, s2
	v_cmp_lt_u32_e64 s0, 28, v0
	ds_store_b32 v133, v62
	s_wait_dscnt 0x0
	s_barrier_signal -1
	s_barrier_wait -1
	s_and_saveexec_b32 s4, s0
	s_cbranch_execz .LBB95_33
; %bb.18:
	s_and_not1_b32 vcc_lo, exec_lo, s33
	s_cbranch_vccnz .LBB95_20
; %bb.19:
	v_cmp_eq_u32_e32 vcc_lo, 1, v0
	ds_load_b32 v131, v133
	v_cndmask_b32_e32 v130, v34, v35, vcc_lo
	v_cmp_eq_u32_e32 vcc_lo, 2, v0
	s_delay_alu instid0(VALU_DEP_2) | instskip(SKIP_1) | instid1(VALU_DEP_2)
	v_cndmask_b32_e32 v130, v130, v36, vcc_lo
	v_cmp_eq_u32_e32 vcc_lo, 3, v0
	v_cndmask_b32_e32 v130, v130, v37, vcc_lo
	v_cmp_eq_u32_e32 vcc_lo, 4, v0
	s_delay_alu instid0(VALU_DEP_2) | instskip(SKIP_1) | instid1(VALU_DEP_2)
	v_cndmask_b32_e32 v130, v130, v38, vcc_lo
	v_cmp_eq_u32_e32 vcc_lo, 5, v0
	v_cndmask_b32_e32 v130, v130, v39, vcc_lo
	v_cmp_eq_u32_e32 vcc_lo, 6, v0
	s_delay_alu instid0(VALU_DEP_2) | instskip(SKIP_1) | instid1(VALU_DEP_2)
	v_cndmask_b32_e32 v130, v130, v40, vcc_lo
	v_cmp_eq_u32_e32 vcc_lo, 7, v0
	v_cndmask_b32_e32 v130, v130, v41, vcc_lo
	v_cmp_eq_u32_e32 vcc_lo, 8, v0
	s_delay_alu instid0(VALU_DEP_2) | instskip(SKIP_1) | instid1(VALU_DEP_2)
	v_cndmask_b32_e32 v130, v130, v42, vcc_lo
	v_cmp_eq_u32_e32 vcc_lo, 9, v0
	v_cndmask_b32_e32 v130, v130, v43, vcc_lo
	v_cmp_eq_u32_e32 vcc_lo, 10, v0
	s_delay_alu instid0(VALU_DEP_2) | instskip(SKIP_1) | instid1(VALU_DEP_2)
	v_cndmask_b32_e32 v130, v130, v44, vcc_lo
	v_cmp_eq_u32_e32 vcc_lo, 11, v0
	v_cndmask_b32_e32 v130, v130, v45, vcc_lo
	v_cmp_eq_u32_e32 vcc_lo, 12, v0
	s_delay_alu instid0(VALU_DEP_2) | instskip(SKIP_1) | instid1(VALU_DEP_2)
	v_cndmask_b32_e32 v130, v130, v46, vcc_lo
	v_cmp_eq_u32_e32 vcc_lo, 13, v0
	v_cndmask_b32_e32 v130, v130, v47, vcc_lo
	v_cmp_eq_u32_e32 vcc_lo, 14, v0
	s_delay_alu instid0(VALU_DEP_2) | instskip(SKIP_1) | instid1(VALU_DEP_2)
	v_cndmask_b32_e32 v130, v130, v48, vcc_lo
	v_cmp_eq_u32_e32 vcc_lo, 15, v0
	v_cndmask_b32_e32 v130, v130, v49, vcc_lo
	v_cmp_eq_u32_e32 vcc_lo, 16, v0
	s_delay_alu instid0(VALU_DEP_2) | instskip(SKIP_1) | instid1(VALU_DEP_2)
	v_cndmask_b32_e32 v130, v130, v50, vcc_lo
	v_cmp_eq_u32_e32 vcc_lo, 17, v0
	v_cndmask_b32_e32 v130, v130, v51, vcc_lo
	v_cmp_eq_u32_e32 vcc_lo, 18, v0
	s_delay_alu instid0(VALU_DEP_2) | instskip(SKIP_1) | instid1(VALU_DEP_2)
	v_cndmask_b32_e32 v130, v130, v52, vcc_lo
	v_cmp_eq_u32_e32 vcc_lo, 19, v0
	v_cndmask_b32_e32 v130, v130, v53, vcc_lo
	v_cmp_eq_u32_e32 vcc_lo, 20, v0
	s_delay_alu instid0(VALU_DEP_2) | instskip(SKIP_1) | instid1(VALU_DEP_2)
	v_cndmask_b32_e32 v130, v130, v54, vcc_lo
	v_cmp_eq_u32_e32 vcc_lo, 21, v0
	v_cndmask_b32_e32 v130, v130, v55, vcc_lo
	v_cmp_eq_u32_e32 vcc_lo, 22, v0
	s_delay_alu instid0(VALU_DEP_2) | instskip(SKIP_1) | instid1(VALU_DEP_2)
	v_cndmask_b32_e32 v130, v130, v56, vcc_lo
	v_cmp_eq_u32_e32 vcc_lo, 23, v0
	v_cndmask_b32_e32 v130, v130, v57, vcc_lo
	v_cmp_eq_u32_e32 vcc_lo, 24, v0
	s_delay_alu instid0(VALU_DEP_2) | instskip(SKIP_1) | instid1(VALU_DEP_2)
	v_cndmask_b32_e32 v130, v130, v58, vcc_lo
	v_cmp_eq_u32_e32 vcc_lo, 25, v0
	v_cndmask_b32_e32 v130, v130, v59, vcc_lo
	v_cmp_eq_u32_e32 vcc_lo, 26, v0
	s_delay_alu instid0(VALU_DEP_2) | instskip(SKIP_1) | instid1(VALU_DEP_2)
	v_cndmask_b32_e32 v130, v130, v60, vcc_lo
	v_cmp_eq_u32_e32 vcc_lo, 27, v0
	v_cndmask_b32_e32 v130, v130, v61, vcc_lo
	v_cmp_eq_u32_e32 vcc_lo, 28, v0
	s_delay_alu instid0(VALU_DEP_2) | instskip(SKIP_1) | instid1(VALU_DEP_2)
	v_cndmask_b32_e32 v130, v130, v62, vcc_lo
	v_cmp_eq_u32_e32 vcc_lo, 29, v0
	v_cndmask_b32_e32 v130, v130, v63, vcc_lo
	v_cmp_eq_u32_e32 vcc_lo, 30, v0
	s_delay_alu instid0(VALU_DEP_2) | instskip(SKIP_1) | instid1(VALU_DEP_2)
	v_cndmask_b32_e32 v130, v130, v64, vcc_lo
	v_cmp_eq_u32_e32 vcc_lo, 31, v0
	v_cndmask_b32_e32 v130, v130, v65, vcc_lo
	s_wait_dscnt 0x0
	s_delay_alu instid0(VALU_DEP_1)
	v_mul_f32_e32 v134, v130, v131
	s_cbranch_execz .LBB95_21
	s_branch .LBB95_22
.LBB95_20:
                                        ; implicit-def: $vgpr134
.LBB95_21:
	ds_load_b32 v134, v133
.LBB95_22:
	s_and_saveexec_b32 s5, s1
	s_cbranch_execz .LBB95_32
; %bb.23:
	v_subrev_nc_u32_e32 v132, 30, v0
	v_mov_b32_e32 v130, 29
	v_subrev_nc_u32_e32 v131, 29, v0
	s_mov_b32 s1, exec_lo
	s_delay_alu instid0(VALU_DEP_3)
	v_cmpx_lt_u32_e32 6, v132
	s_cbranch_execz .LBB95_27
; %bb.24:
	s_delay_alu instid0(VALU_DEP_2) | instskip(SKIP_3) | instid1(VALU_DEP_1)
	v_and_b32_e32 v130, -8, v131
	s_mov_b32 s6, 0
	s_mov_b64 s[2:3], 36
	s_movk_i32 s7, 0xf4
	v_sub_nc_u32_e32 v132, 0, v130
.LBB95_25:                              ; =>This Inner Loop Header: Depth=1
	s_add_co_i32 m0, s2, -7
	v_movrels_b32_e32 v135, v34
	v_mov_b32_e32 v130, s7
	s_add_co_i32 m0, s2, -6
	s_add_co_i32 s7, s7, 32
	v_movrels_b32_e32 v144, v34
	ds_load_2addr_b32 v[136:137], v130 offset1:1
	ds_load_2addr_b32 v[138:139], v130 offset0:2 offset1:3
	s_add_co_i32 m0, s2, -5
	s_wait_dscnt 0x1
	v_fmac_f32_e32 v134, v135, v136
	ds_load_2addr_b32 v[140:141], v130 offset0:4 offset1:5
	ds_load_2addr_b32 v[142:143], v130 offset0:6 offset1:7
	v_movrels_b32_e32 v130, v34
	s_add_co_i32 m0, s2, -4
	v_fmac_f32_e32 v134, v144, v137
	v_movrels_b32_e32 v135, v34
	s_add_co_i32 m0, s2, -3
	s_wait_dscnt 0x2
	s_delay_alu instid0(VALU_DEP_2) | instskip(SKIP_2) | instid1(VALU_DEP_2)
	v_fmac_f32_e32 v134, v130, v138
	v_movrels_b32_e32 v130, v34
	s_add_co_i32 m0, s2, -2
	v_fmac_f32_e32 v134, v135, v139
	v_movrels_b32_e32 v135, v34
	s_add_co_i32 m0, s2, -1
	s_wait_dscnt 0x1
	s_delay_alu instid0(VALU_DEP_2)
	v_fmac_f32_e32 v134, v130, v140
	v_movrels_b32_e32 v130, v34
	s_mov_b32 m0, s2
	s_add_nc_u64 s[2:3], s[2:3], 8
	v_movrels_b32_e32 v136, v34
	v_dual_fmac_f32 v134, v135, v141 :: v_dual_add_nc_u32 v135, s2, v132
	s_add_co_i32 s8, s2, -7
	s_wait_dscnt 0x0
	s_delay_alu instid0(VALU_DEP_1) | instskip(NEXT) | instid1(VALU_DEP_2)
	v_fmac_f32_e32 v134, v130, v142
	v_cmp_eq_u32_e32 vcc_lo, 36, v135
	s_delay_alu instid0(VALU_DEP_2) | instskip(SKIP_1) | instid1(SALU_CYCLE_1)
	v_dual_mov_b32 v130, s8 :: v_dual_fmac_f32 v134, v136, v143
	s_or_b32 s6, vcc_lo, s6
	s_and_not1_b32 exec_lo, exec_lo, s6
	s_cbranch_execnz .LBB95_25
; %bb.26:
	s_or_b32 exec_lo, exec_lo, s6
.LBB95_27:
	s_delay_alu instid0(SALU_CYCLE_1) | instskip(SKIP_3) | instid1(VALU_DEP_1)
	s_or_b32 exec_lo, exec_lo, s1
	v_and_b32_e32 v132, 7, v131
	s_mov_b32 s2, 0
	s_mov_b32 s1, exec_lo
	v_cmpx_ne_u32_e32 0, v132
	s_cbranch_execz .LBB95_31
; %bb.28:
	v_lshl_add_u32 v135, v130, 2, 0x80
	v_mov_b32_e32 v131, 0
.LBB95_29:                              ; =>This Inner Loop Header: Depth=1
	v_cmp_eq_u32_e32 vcc_lo, 1, v130
	ds_load_b32 v137, v135
	v_dual_add_nc_u32 v132, -1, v132 :: v_dual_add_nc_u32 v135, 4, v135
	v_cndmask_b32_e32 v136, v34, v35, vcc_lo
	v_cmp_eq_u32_e32 vcc_lo, 2, v130
	s_delay_alu instid0(VALU_DEP_2) | instskip(SKIP_1) | instid1(VALU_DEP_2)
	v_cndmask_b32_e32 v136, v136, v36, vcc_lo
	v_cmp_eq_u32_e32 vcc_lo, 3, v130
	v_cndmask_b32_e32 v136, v136, v37, vcc_lo
	v_cmp_eq_u32_e32 vcc_lo, 4, v130
	s_delay_alu instid0(VALU_DEP_2) | instskip(SKIP_1) | instid1(VALU_DEP_2)
	v_cndmask_b32_e32 v136, v136, v38, vcc_lo
	v_cmp_eq_u32_e32 vcc_lo, 5, v130
	;; [unrolled: 5-line block ×14, first 2 shown]
	v_cndmask_b32_e32 v136, v136, v63, vcc_lo
	v_cmp_eq_u32_e32 vcc_lo, 30, v130
	s_delay_alu instid0(VALU_DEP_2) | instskip(SKIP_2) | instid1(VALU_DEP_3)
	v_cndmask_b32_e32 v136, v136, v64, vcc_lo
	v_cmp_eq_u32_e32 vcc_lo, 31, v130
	v_add_nc_u64_e32 v[130:131], 1, v[130:131]
	v_cndmask_b32_e32 v136, v136, v65, vcc_lo
	v_cmp_eq_u32_e32 vcc_lo, 0, v132
	s_wait_dscnt 0x0
	s_delay_alu instid0(VALU_DEP_2) | instskip(SKIP_1) | instid1(SALU_CYCLE_1)
	v_fmac_f32_e32 v134, v136, v137
	s_or_b32 s2, vcc_lo, s2
	s_and_not1_b32 exec_lo, exec_lo, s2
	s_cbranch_execnz .LBB95_29
; %bb.30:
	s_or_b32 exec_lo, exec_lo, s2
.LBB95_31:
	s_delay_alu instid0(SALU_CYCLE_1)
	s_or_b32 exec_lo, exec_lo, s1
.LBB95_32:
	s_delay_alu instid0(SALU_CYCLE_1)
	s_or_b32 exec_lo, exec_lo, s5
	v_mov_b32_e32 v62, 0
	ds_load_b32 v62, v62 offset:112
	s_wait_dscnt 0x0
	v_mul_f32_e32 v62, v134, v62
.LBB95_33:
	s_or_b32 exec_lo, exec_lo, s4
	v_cmp_lt_u32_e64 s1, 27, v0
	ds_store_b32 v133, v61
	s_wait_dscnt 0x0
	s_barrier_signal -1
	s_barrier_wait -1
	s_and_saveexec_b32 s4, s1
	s_cbranch_execz .LBB95_49
; %bb.34:
	s_and_not1_b32 vcc_lo, exec_lo, s33
	s_cbranch_vccnz .LBB95_36
; %bb.35:
	v_cmp_eq_u32_e32 vcc_lo, 1, v0
	ds_load_b32 v131, v133
	v_cndmask_b32_e32 v130, v34, v35, vcc_lo
	v_cmp_eq_u32_e32 vcc_lo, 2, v0
	s_delay_alu instid0(VALU_DEP_2) | instskip(SKIP_1) | instid1(VALU_DEP_2)
	v_cndmask_b32_e32 v130, v130, v36, vcc_lo
	v_cmp_eq_u32_e32 vcc_lo, 3, v0
	v_cndmask_b32_e32 v130, v130, v37, vcc_lo
	v_cmp_eq_u32_e32 vcc_lo, 4, v0
	s_delay_alu instid0(VALU_DEP_2) | instskip(SKIP_1) | instid1(VALU_DEP_2)
	v_cndmask_b32_e32 v130, v130, v38, vcc_lo
	v_cmp_eq_u32_e32 vcc_lo, 5, v0
	;; [unrolled: 5-line block ×15, first 2 shown]
	v_cndmask_b32_e32 v130, v130, v65, vcc_lo
	s_wait_dscnt 0x0
	s_delay_alu instid0(VALU_DEP_1)
	v_mul_f32_e32 v134, v130, v131
	s_cbranch_execz .LBB95_37
	s_branch .LBB95_38
.LBB95_36:
                                        ; implicit-def: $vgpr134
.LBB95_37:
	ds_load_b32 v134, v133
.LBB95_38:
	s_and_saveexec_b32 s5, s0
	s_cbranch_execz .LBB95_48
; %bb.39:
	v_subrev_nc_u32_e32 v132, 29, v0
	v_mov_b32_e32 v130, 28
	v_subrev_nc_u32_e32 v131, 28, v0
	s_mov_b32 s0, exec_lo
	s_delay_alu instid0(VALU_DEP_3)
	v_cmpx_lt_u32_e32 6, v132
	s_cbranch_execz .LBB95_43
; %bb.40:
	s_delay_alu instid0(VALU_DEP_2) | instskip(SKIP_3) | instid1(VALU_DEP_1)
	v_and_b32_e32 v130, -8, v131
	s_mov_b32 s6, 0
	s_mov_b64 s[2:3], 35
	s_movk_i32 s7, 0xf0
	v_sub_nc_u32_e32 v132, 0, v130
.LBB95_41:                              ; =>This Inner Loop Header: Depth=1
	s_add_co_i32 m0, s2, -7
	v_movrels_b32_e32 v135, v34
	v_mov_b32_e32 v130, s7
	s_add_co_i32 m0, s2, -6
	s_add_co_i32 s7, s7, 32
	v_movrels_b32_e32 v144, v34
	s_add_co_i32 m0, s2, -5
	ds_load_b128 v[136:139], v130
	ds_load_b128 v[140:143], v130 offset:16
	v_movrels_b32_e32 v130, v34
	s_add_co_i32 m0, s2, -4
	s_wait_dscnt 0x1
	v_fmac_f32_e32 v134, v135, v136
	v_movrels_b32_e32 v135, v34
	s_add_co_i32 m0, s2, -3
	s_delay_alu instid0(VALU_DEP_2) | instskip(NEXT) | instid1(VALU_DEP_1)
	v_fmac_f32_e32 v134, v144, v137
	v_fmac_f32_e32 v134, v130, v138
	v_movrels_b32_e32 v130, v34
	s_add_co_i32 m0, s2, -2
	s_delay_alu instid0(VALU_DEP_2) | instskip(SKIP_3) | instid1(VALU_DEP_2)
	v_fmac_f32_e32 v134, v135, v139
	v_movrels_b32_e32 v135, v34
	s_add_co_i32 m0, s2, -1
	s_wait_dscnt 0x0
	v_fmac_f32_e32 v134, v130, v140
	v_movrels_b32_e32 v130, v34
	s_mov_b32 m0, s2
	s_add_nc_u64 s[2:3], s[2:3], 8
	v_movrels_b32_e32 v136, v34
	v_dual_fmac_f32 v134, v135, v141 :: v_dual_add_nc_u32 v135, s2, v132
	s_add_co_i32 s8, s2, -7
	s_delay_alu instid0(VALU_DEP_1) | instskip(NEXT) | instid1(VALU_DEP_2)
	v_fmac_f32_e32 v134, v130, v142
	v_cmp_eq_u32_e32 vcc_lo, 35, v135
	s_delay_alu instid0(VALU_DEP_2) | instskip(SKIP_1) | instid1(SALU_CYCLE_1)
	v_dual_mov_b32 v130, s8 :: v_dual_fmac_f32 v134, v136, v143
	s_or_b32 s6, vcc_lo, s6
	s_and_not1_b32 exec_lo, exec_lo, s6
	s_cbranch_execnz .LBB95_41
; %bb.42:
	s_or_b32 exec_lo, exec_lo, s6
.LBB95_43:
	s_delay_alu instid0(SALU_CYCLE_1) | instskip(SKIP_3) | instid1(VALU_DEP_1)
	s_or_b32 exec_lo, exec_lo, s0
	v_and_b32_e32 v132, 7, v131
	s_mov_b32 s2, 0
	s_mov_b32 s0, exec_lo
	v_cmpx_ne_u32_e32 0, v132
	s_cbranch_execz .LBB95_47
; %bb.44:
	v_lshl_add_u32 v135, v130, 2, 0x80
	v_mov_b32_e32 v131, 0
.LBB95_45:                              ; =>This Inner Loop Header: Depth=1
	v_cmp_eq_u32_e32 vcc_lo, 1, v130
	ds_load_b32 v137, v135
	v_dual_add_nc_u32 v132, -1, v132 :: v_dual_add_nc_u32 v135, 4, v135
	v_cndmask_b32_e32 v136, v34, v35, vcc_lo
	v_cmp_eq_u32_e32 vcc_lo, 2, v130
	s_delay_alu instid0(VALU_DEP_2) | instskip(SKIP_1) | instid1(VALU_DEP_2)
	v_cndmask_b32_e32 v136, v136, v36, vcc_lo
	v_cmp_eq_u32_e32 vcc_lo, 3, v130
	v_cndmask_b32_e32 v136, v136, v37, vcc_lo
	v_cmp_eq_u32_e32 vcc_lo, 4, v130
	s_delay_alu instid0(VALU_DEP_2) | instskip(SKIP_1) | instid1(VALU_DEP_2)
	v_cndmask_b32_e32 v136, v136, v38, vcc_lo
	v_cmp_eq_u32_e32 vcc_lo, 5, v130
	;; [unrolled: 5-line block ×14, first 2 shown]
	v_cndmask_b32_e32 v136, v136, v63, vcc_lo
	v_cmp_eq_u32_e32 vcc_lo, 30, v130
	s_delay_alu instid0(VALU_DEP_2) | instskip(SKIP_2) | instid1(VALU_DEP_3)
	v_cndmask_b32_e32 v136, v136, v64, vcc_lo
	v_cmp_eq_u32_e32 vcc_lo, 31, v130
	v_add_nc_u64_e32 v[130:131], 1, v[130:131]
	v_cndmask_b32_e32 v136, v136, v65, vcc_lo
	v_cmp_eq_u32_e32 vcc_lo, 0, v132
	s_wait_dscnt 0x0
	s_delay_alu instid0(VALU_DEP_2) | instskip(SKIP_1) | instid1(SALU_CYCLE_1)
	v_fmac_f32_e32 v134, v136, v137
	s_or_b32 s2, vcc_lo, s2
	s_and_not1_b32 exec_lo, exec_lo, s2
	s_cbranch_execnz .LBB95_45
; %bb.46:
	s_or_b32 exec_lo, exec_lo, s2
.LBB95_47:
	s_delay_alu instid0(SALU_CYCLE_1)
	s_or_b32 exec_lo, exec_lo, s0
.LBB95_48:
	s_delay_alu instid0(SALU_CYCLE_1)
	s_or_b32 exec_lo, exec_lo, s5
	v_mov_b32_e32 v61, 0
	ds_load_b32 v61, v61 offset:108
	s_wait_dscnt 0x0
	v_mul_f32_e32 v61, v134, v61
.LBB95_49:
	s_or_b32 exec_lo, exec_lo, s4
	v_cmp_lt_u32_e64 s0, 26, v0
	ds_store_b32 v133, v60
	s_wait_dscnt 0x0
	s_barrier_signal -1
	s_barrier_wait -1
	s_and_saveexec_b32 s4, s0
	s_cbranch_execz .LBB95_65
; %bb.50:
	s_and_not1_b32 vcc_lo, exec_lo, s33
	s_cbranch_vccnz .LBB95_52
; %bb.51:
	v_cmp_eq_u32_e32 vcc_lo, 1, v0
	ds_load_b32 v131, v133
	v_cndmask_b32_e32 v130, v34, v35, vcc_lo
	v_cmp_eq_u32_e32 vcc_lo, 2, v0
	s_delay_alu instid0(VALU_DEP_2) | instskip(SKIP_1) | instid1(VALU_DEP_2)
	v_cndmask_b32_e32 v130, v130, v36, vcc_lo
	v_cmp_eq_u32_e32 vcc_lo, 3, v0
	v_cndmask_b32_e32 v130, v130, v37, vcc_lo
	v_cmp_eq_u32_e32 vcc_lo, 4, v0
	s_delay_alu instid0(VALU_DEP_2) | instskip(SKIP_1) | instid1(VALU_DEP_2)
	v_cndmask_b32_e32 v130, v130, v38, vcc_lo
	v_cmp_eq_u32_e32 vcc_lo, 5, v0
	v_cndmask_b32_e32 v130, v130, v39, vcc_lo
	v_cmp_eq_u32_e32 vcc_lo, 6, v0
	s_delay_alu instid0(VALU_DEP_2) | instskip(SKIP_1) | instid1(VALU_DEP_2)
	v_cndmask_b32_e32 v130, v130, v40, vcc_lo
	v_cmp_eq_u32_e32 vcc_lo, 7, v0
	v_cndmask_b32_e32 v130, v130, v41, vcc_lo
	v_cmp_eq_u32_e32 vcc_lo, 8, v0
	s_delay_alu instid0(VALU_DEP_2) | instskip(SKIP_1) | instid1(VALU_DEP_2)
	v_cndmask_b32_e32 v130, v130, v42, vcc_lo
	v_cmp_eq_u32_e32 vcc_lo, 9, v0
	v_cndmask_b32_e32 v130, v130, v43, vcc_lo
	v_cmp_eq_u32_e32 vcc_lo, 10, v0
	s_delay_alu instid0(VALU_DEP_2) | instskip(SKIP_1) | instid1(VALU_DEP_2)
	v_cndmask_b32_e32 v130, v130, v44, vcc_lo
	v_cmp_eq_u32_e32 vcc_lo, 11, v0
	v_cndmask_b32_e32 v130, v130, v45, vcc_lo
	v_cmp_eq_u32_e32 vcc_lo, 12, v0
	s_delay_alu instid0(VALU_DEP_2) | instskip(SKIP_1) | instid1(VALU_DEP_2)
	v_cndmask_b32_e32 v130, v130, v46, vcc_lo
	v_cmp_eq_u32_e32 vcc_lo, 13, v0
	v_cndmask_b32_e32 v130, v130, v47, vcc_lo
	v_cmp_eq_u32_e32 vcc_lo, 14, v0
	s_delay_alu instid0(VALU_DEP_2) | instskip(SKIP_1) | instid1(VALU_DEP_2)
	v_cndmask_b32_e32 v130, v130, v48, vcc_lo
	v_cmp_eq_u32_e32 vcc_lo, 15, v0
	v_cndmask_b32_e32 v130, v130, v49, vcc_lo
	v_cmp_eq_u32_e32 vcc_lo, 16, v0
	s_delay_alu instid0(VALU_DEP_2) | instskip(SKIP_1) | instid1(VALU_DEP_2)
	v_cndmask_b32_e32 v130, v130, v50, vcc_lo
	v_cmp_eq_u32_e32 vcc_lo, 17, v0
	v_cndmask_b32_e32 v130, v130, v51, vcc_lo
	v_cmp_eq_u32_e32 vcc_lo, 18, v0
	s_delay_alu instid0(VALU_DEP_2) | instskip(SKIP_1) | instid1(VALU_DEP_2)
	v_cndmask_b32_e32 v130, v130, v52, vcc_lo
	v_cmp_eq_u32_e32 vcc_lo, 19, v0
	v_cndmask_b32_e32 v130, v130, v53, vcc_lo
	v_cmp_eq_u32_e32 vcc_lo, 20, v0
	s_delay_alu instid0(VALU_DEP_2) | instskip(SKIP_1) | instid1(VALU_DEP_2)
	v_cndmask_b32_e32 v130, v130, v54, vcc_lo
	v_cmp_eq_u32_e32 vcc_lo, 21, v0
	v_cndmask_b32_e32 v130, v130, v55, vcc_lo
	v_cmp_eq_u32_e32 vcc_lo, 22, v0
	s_delay_alu instid0(VALU_DEP_2) | instskip(SKIP_1) | instid1(VALU_DEP_2)
	v_cndmask_b32_e32 v130, v130, v56, vcc_lo
	v_cmp_eq_u32_e32 vcc_lo, 23, v0
	v_cndmask_b32_e32 v130, v130, v57, vcc_lo
	v_cmp_eq_u32_e32 vcc_lo, 24, v0
	s_delay_alu instid0(VALU_DEP_2) | instskip(SKIP_1) | instid1(VALU_DEP_2)
	v_cndmask_b32_e32 v130, v130, v58, vcc_lo
	v_cmp_eq_u32_e32 vcc_lo, 25, v0
	v_cndmask_b32_e32 v130, v130, v59, vcc_lo
	v_cmp_eq_u32_e32 vcc_lo, 26, v0
	s_delay_alu instid0(VALU_DEP_2) | instskip(SKIP_1) | instid1(VALU_DEP_2)
	v_cndmask_b32_e32 v130, v130, v60, vcc_lo
	v_cmp_eq_u32_e32 vcc_lo, 27, v0
	v_cndmask_b32_e32 v130, v130, v61, vcc_lo
	v_cmp_eq_u32_e32 vcc_lo, 28, v0
	s_delay_alu instid0(VALU_DEP_2) | instskip(SKIP_1) | instid1(VALU_DEP_2)
	v_cndmask_b32_e32 v130, v130, v62, vcc_lo
	v_cmp_eq_u32_e32 vcc_lo, 29, v0
	v_cndmask_b32_e32 v130, v130, v63, vcc_lo
	v_cmp_eq_u32_e32 vcc_lo, 30, v0
	s_delay_alu instid0(VALU_DEP_2) | instskip(SKIP_1) | instid1(VALU_DEP_2)
	v_cndmask_b32_e32 v130, v130, v64, vcc_lo
	v_cmp_eq_u32_e32 vcc_lo, 31, v0
	v_cndmask_b32_e32 v130, v130, v65, vcc_lo
	s_wait_dscnt 0x0
	s_delay_alu instid0(VALU_DEP_1)
	v_mul_f32_e32 v134, v130, v131
	s_cbranch_execz .LBB95_53
	s_branch .LBB95_54
.LBB95_52:
                                        ; implicit-def: $vgpr134
.LBB95_53:
	ds_load_b32 v134, v133
.LBB95_54:
	s_and_saveexec_b32 s5, s1
	s_cbranch_execz .LBB95_64
; %bb.55:
	v_subrev_nc_u32_e32 v132, 28, v0
	v_mov_b32_e32 v130, 27
	v_subrev_nc_u32_e32 v131, 27, v0
	s_mov_b32 s1, exec_lo
	s_delay_alu instid0(VALU_DEP_3)
	v_cmpx_lt_u32_e32 6, v132
	s_cbranch_execz .LBB95_59
; %bb.56:
	s_delay_alu instid0(VALU_DEP_2) | instskip(SKIP_3) | instid1(VALU_DEP_1)
	v_and_b32_e32 v130, -8, v131
	s_mov_b32 s6, 0
	s_mov_b64 s[2:3], 34
	s_movk_i32 s7, 0xec
	v_sub_nc_u32_e32 v132, 0, v130
.LBB95_57:                              ; =>This Inner Loop Header: Depth=1
	s_add_co_i32 m0, s2, -7
	v_movrels_b32_e32 v135, v34
	v_mov_b32_e32 v130, s7
	s_add_co_i32 m0, s2, -6
	s_add_co_i32 s7, s7, 32
	v_movrels_b32_e32 v144, v34
	ds_load_2addr_b32 v[136:137], v130 offset1:1
	ds_load_2addr_b32 v[138:139], v130 offset0:2 offset1:3
	s_add_co_i32 m0, s2, -5
	s_wait_dscnt 0x1
	v_fmac_f32_e32 v134, v135, v136
	ds_load_2addr_b32 v[140:141], v130 offset0:4 offset1:5
	ds_load_2addr_b32 v[142:143], v130 offset0:6 offset1:7
	v_movrels_b32_e32 v130, v34
	s_add_co_i32 m0, s2, -4
	v_fmac_f32_e32 v134, v144, v137
	v_movrels_b32_e32 v135, v34
	s_add_co_i32 m0, s2, -3
	s_wait_dscnt 0x2
	s_delay_alu instid0(VALU_DEP_2) | instskip(SKIP_2) | instid1(VALU_DEP_2)
	v_fmac_f32_e32 v134, v130, v138
	v_movrels_b32_e32 v130, v34
	s_add_co_i32 m0, s2, -2
	v_fmac_f32_e32 v134, v135, v139
	v_movrels_b32_e32 v135, v34
	s_add_co_i32 m0, s2, -1
	s_wait_dscnt 0x1
	s_delay_alu instid0(VALU_DEP_2)
	v_fmac_f32_e32 v134, v130, v140
	v_movrels_b32_e32 v130, v34
	s_mov_b32 m0, s2
	s_add_nc_u64 s[2:3], s[2:3], 8
	v_movrels_b32_e32 v136, v34
	v_dual_fmac_f32 v134, v135, v141 :: v_dual_add_nc_u32 v135, s2, v132
	s_add_co_i32 s8, s2, -7
	s_wait_dscnt 0x0
	s_delay_alu instid0(VALU_DEP_1) | instskip(NEXT) | instid1(VALU_DEP_2)
	v_fmac_f32_e32 v134, v130, v142
	v_cmp_eq_u32_e32 vcc_lo, 34, v135
	s_delay_alu instid0(VALU_DEP_2) | instskip(SKIP_1) | instid1(SALU_CYCLE_1)
	v_dual_mov_b32 v130, s8 :: v_dual_fmac_f32 v134, v136, v143
	s_or_b32 s6, vcc_lo, s6
	s_and_not1_b32 exec_lo, exec_lo, s6
	s_cbranch_execnz .LBB95_57
; %bb.58:
	s_or_b32 exec_lo, exec_lo, s6
.LBB95_59:
	s_delay_alu instid0(SALU_CYCLE_1) | instskip(SKIP_3) | instid1(VALU_DEP_1)
	s_or_b32 exec_lo, exec_lo, s1
	v_and_b32_e32 v132, 7, v131
	s_mov_b32 s2, 0
	s_mov_b32 s1, exec_lo
	v_cmpx_ne_u32_e32 0, v132
	s_cbranch_execz .LBB95_63
; %bb.60:
	v_lshl_add_u32 v135, v130, 2, 0x80
	v_mov_b32_e32 v131, 0
.LBB95_61:                              ; =>This Inner Loop Header: Depth=1
	v_cmp_eq_u32_e32 vcc_lo, 1, v130
	ds_load_b32 v137, v135
	v_dual_add_nc_u32 v132, -1, v132 :: v_dual_add_nc_u32 v135, 4, v135
	v_cndmask_b32_e32 v136, v34, v35, vcc_lo
	v_cmp_eq_u32_e32 vcc_lo, 2, v130
	s_delay_alu instid0(VALU_DEP_2) | instskip(SKIP_1) | instid1(VALU_DEP_2)
	v_cndmask_b32_e32 v136, v136, v36, vcc_lo
	v_cmp_eq_u32_e32 vcc_lo, 3, v130
	v_cndmask_b32_e32 v136, v136, v37, vcc_lo
	v_cmp_eq_u32_e32 vcc_lo, 4, v130
	s_delay_alu instid0(VALU_DEP_2) | instskip(SKIP_1) | instid1(VALU_DEP_2)
	v_cndmask_b32_e32 v136, v136, v38, vcc_lo
	v_cmp_eq_u32_e32 vcc_lo, 5, v130
	;; [unrolled: 5-line block ×14, first 2 shown]
	v_cndmask_b32_e32 v136, v136, v63, vcc_lo
	v_cmp_eq_u32_e32 vcc_lo, 30, v130
	s_delay_alu instid0(VALU_DEP_2) | instskip(SKIP_2) | instid1(VALU_DEP_3)
	v_cndmask_b32_e32 v136, v136, v64, vcc_lo
	v_cmp_eq_u32_e32 vcc_lo, 31, v130
	v_add_nc_u64_e32 v[130:131], 1, v[130:131]
	v_cndmask_b32_e32 v136, v136, v65, vcc_lo
	v_cmp_eq_u32_e32 vcc_lo, 0, v132
	s_wait_dscnt 0x0
	s_delay_alu instid0(VALU_DEP_2) | instskip(SKIP_1) | instid1(SALU_CYCLE_1)
	v_fmac_f32_e32 v134, v136, v137
	s_or_b32 s2, vcc_lo, s2
	s_and_not1_b32 exec_lo, exec_lo, s2
	s_cbranch_execnz .LBB95_61
; %bb.62:
	s_or_b32 exec_lo, exec_lo, s2
.LBB95_63:
	s_delay_alu instid0(SALU_CYCLE_1)
	s_or_b32 exec_lo, exec_lo, s1
.LBB95_64:
	s_delay_alu instid0(SALU_CYCLE_1)
	s_or_b32 exec_lo, exec_lo, s5
	v_mov_b32_e32 v60, 0
	ds_load_b32 v60, v60 offset:104
	s_wait_dscnt 0x0
	v_mul_f32_e32 v60, v134, v60
.LBB95_65:
	s_or_b32 exec_lo, exec_lo, s4
	v_cmp_lt_u32_e64 s1, 25, v0
	ds_store_b32 v133, v59
	s_wait_dscnt 0x0
	s_barrier_signal -1
	s_barrier_wait -1
	s_and_saveexec_b32 s4, s1
	s_cbranch_execz .LBB95_81
; %bb.66:
	s_and_not1_b32 vcc_lo, exec_lo, s33
	s_cbranch_vccnz .LBB95_68
; %bb.67:
	v_cmp_eq_u32_e32 vcc_lo, 1, v0
	ds_load_b32 v131, v133
	v_cndmask_b32_e32 v130, v34, v35, vcc_lo
	v_cmp_eq_u32_e32 vcc_lo, 2, v0
	s_delay_alu instid0(VALU_DEP_2) | instskip(SKIP_1) | instid1(VALU_DEP_2)
	v_cndmask_b32_e32 v130, v130, v36, vcc_lo
	v_cmp_eq_u32_e32 vcc_lo, 3, v0
	v_cndmask_b32_e32 v130, v130, v37, vcc_lo
	v_cmp_eq_u32_e32 vcc_lo, 4, v0
	s_delay_alu instid0(VALU_DEP_2) | instskip(SKIP_1) | instid1(VALU_DEP_2)
	v_cndmask_b32_e32 v130, v130, v38, vcc_lo
	v_cmp_eq_u32_e32 vcc_lo, 5, v0
	;; [unrolled: 5-line block ×15, first 2 shown]
	v_cndmask_b32_e32 v130, v130, v65, vcc_lo
	s_wait_dscnt 0x0
	s_delay_alu instid0(VALU_DEP_1)
	v_mul_f32_e32 v134, v130, v131
	s_cbranch_execz .LBB95_69
	s_branch .LBB95_70
.LBB95_68:
                                        ; implicit-def: $vgpr134
.LBB95_69:
	ds_load_b32 v134, v133
.LBB95_70:
	s_and_saveexec_b32 s5, s0
	s_cbranch_execz .LBB95_80
; %bb.71:
	v_subrev_nc_u32_e32 v132, 27, v0
	v_mov_b32_e32 v130, 26
	v_subrev_nc_u32_e32 v131, 26, v0
	s_mov_b32 s0, exec_lo
	s_delay_alu instid0(VALU_DEP_3)
	v_cmpx_lt_u32_e32 6, v132
	s_cbranch_execz .LBB95_75
; %bb.72:
	s_delay_alu instid0(VALU_DEP_2) | instskip(SKIP_3) | instid1(VALU_DEP_1)
	v_and_b32_e32 v130, -8, v131
	s_mov_b32 s6, 0
	s_mov_b64 s[2:3], 33
	s_movk_i32 s7, 0xe8
	v_sub_nc_u32_e32 v132, 0, v130
.LBB95_73:                              ; =>This Inner Loop Header: Depth=1
	s_add_co_i32 m0, s2, -7
	v_movrels_b32_e32 v135, v34
	v_mov_b32_e32 v130, s7
	s_add_co_i32 m0, s2, -6
	s_add_co_i32 s7, s7, 32
	v_movrels_b32_e32 v144, v34
	s_add_co_i32 m0, s2, -5
	ds_load_2addr_b64 v[136:139], v130 offset1:1
	ds_load_2addr_b64 v[140:143], v130 offset0:2 offset1:3
	v_movrels_b32_e32 v130, v34
	s_add_co_i32 m0, s2, -4
	s_wait_dscnt 0x1
	v_fmac_f32_e32 v134, v135, v136
	v_movrels_b32_e32 v135, v34
	s_add_co_i32 m0, s2, -3
	s_delay_alu instid0(VALU_DEP_2) | instskip(NEXT) | instid1(VALU_DEP_1)
	v_fmac_f32_e32 v134, v144, v137
	v_fmac_f32_e32 v134, v130, v138
	v_movrels_b32_e32 v130, v34
	s_add_co_i32 m0, s2, -2
	s_delay_alu instid0(VALU_DEP_2) | instskip(SKIP_3) | instid1(VALU_DEP_2)
	v_fmac_f32_e32 v134, v135, v139
	v_movrels_b32_e32 v135, v34
	s_add_co_i32 m0, s2, -1
	s_wait_dscnt 0x0
	v_fmac_f32_e32 v134, v130, v140
	v_movrels_b32_e32 v130, v34
	s_mov_b32 m0, s2
	s_add_nc_u64 s[2:3], s[2:3], 8
	v_movrels_b32_e32 v136, v34
	v_dual_fmac_f32 v134, v135, v141 :: v_dual_add_nc_u32 v135, s2, v132
	s_add_co_i32 s8, s2, -7
	s_delay_alu instid0(VALU_DEP_1) | instskip(NEXT) | instid1(VALU_DEP_2)
	v_fmac_f32_e32 v134, v130, v142
	v_cmp_eq_u32_e32 vcc_lo, 33, v135
	s_delay_alu instid0(VALU_DEP_2) | instskip(SKIP_1) | instid1(SALU_CYCLE_1)
	v_dual_mov_b32 v130, s8 :: v_dual_fmac_f32 v134, v136, v143
	s_or_b32 s6, vcc_lo, s6
	s_and_not1_b32 exec_lo, exec_lo, s6
	s_cbranch_execnz .LBB95_73
; %bb.74:
	s_or_b32 exec_lo, exec_lo, s6
.LBB95_75:
	s_delay_alu instid0(SALU_CYCLE_1) | instskip(SKIP_3) | instid1(VALU_DEP_1)
	s_or_b32 exec_lo, exec_lo, s0
	v_and_b32_e32 v132, 7, v131
	s_mov_b32 s2, 0
	s_mov_b32 s0, exec_lo
	v_cmpx_ne_u32_e32 0, v132
	s_cbranch_execz .LBB95_79
; %bb.76:
	v_lshl_add_u32 v135, v130, 2, 0x80
	v_mov_b32_e32 v131, 0
.LBB95_77:                              ; =>This Inner Loop Header: Depth=1
	v_cmp_eq_u32_e32 vcc_lo, 1, v130
	ds_load_b32 v137, v135
	v_dual_add_nc_u32 v132, -1, v132 :: v_dual_add_nc_u32 v135, 4, v135
	v_cndmask_b32_e32 v136, v34, v35, vcc_lo
	v_cmp_eq_u32_e32 vcc_lo, 2, v130
	s_delay_alu instid0(VALU_DEP_2) | instskip(SKIP_1) | instid1(VALU_DEP_2)
	v_cndmask_b32_e32 v136, v136, v36, vcc_lo
	v_cmp_eq_u32_e32 vcc_lo, 3, v130
	v_cndmask_b32_e32 v136, v136, v37, vcc_lo
	v_cmp_eq_u32_e32 vcc_lo, 4, v130
	s_delay_alu instid0(VALU_DEP_2) | instskip(SKIP_1) | instid1(VALU_DEP_2)
	v_cndmask_b32_e32 v136, v136, v38, vcc_lo
	v_cmp_eq_u32_e32 vcc_lo, 5, v130
	;; [unrolled: 5-line block ×14, first 2 shown]
	v_cndmask_b32_e32 v136, v136, v63, vcc_lo
	v_cmp_eq_u32_e32 vcc_lo, 30, v130
	s_delay_alu instid0(VALU_DEP_2) | instskip(SKIP_2) | instid1(VALU_DEP_3)
	v_cndmask_b32_e32 v136, v136, v64, vcc_lo
	v_cmp_eq_u32_e32 vcc_lo, 31, v130
	v_add_nc_u64_e32 v[130:131], 1, v[130:131]
	v_cndmask_b32_e32 v136, v136, v65, vcc_lo
	v_cmp_eq_u32_e32 vcc_lo, 0, v132
	s_wait_dscnt 0x0
	s_delay_alu instid0(VALU_DEP_2) | instskip(SKIP_1) | instid1(SALU_CYCLE_1)
	v_fmac_f32_e32 v134, v136, v137
	s_or_b32 s2, vcc_lo, s2
	s_and_not1_b32 exec_lo, exec_lo, s2
	s_cbranch_execnz .LBB95_77
; %bb.78:
	s_or_b32 exec_lo, exec_lo, s2
.LBB95_79:
	s_delay_alu instid0(SALU_CYCLE_1)
	s_or_b32 exec_lo, exec_lo, s0
.LBB95_80:
	s_delay_alu instid0(SALU_CYCLE_1)
	s_or_b32 exec_lo, exec_lo, s5
	v_mov_b32_e32 v59, 0
	ds_load_b32 v59, v59 offset:100
	s_wait_dscnt 0x0
	v_mul_f32_e32 v59, v134, v59
.LBB95_81:
	s_or_b32 exec_lo, exec_lo, s4
	v_cmp_lt_u32_e64 s0, 24, v0
	ds_store_b32 v133, v58
	s_wait_dscnt 0x0
	s_barrier_signal -1
	s_barrier_wait -1
	s_and_saveexec_b32 s4, s0
	s_cbranch_execz .LBB95_97
; %bb.82:
	s_and_not1_b32 vcc_lo, exec_lo, s33
	s_cbranch_vccnz .LBB95_84
; %bb.83:
	v_cmp_eq_u32_e32 vcc_lo, 1, v0
	ds_load_b32 v131, v133
	v_cndmask_b32_e32 v130, v34, v35, vcc_lo
	v_cmp_eq_u32_e32 vcc_lo, 2, v0
	s_delay_alu instid0(VALU_DEP_2) | instskip(SKIP_1) | instid1(VALU_DEP_2)
	v_cndmask_b32_e32 v130, v130, v36, vcc_lo
	v_cmp_eq_u32_e32 vcc_lo, 3, v0
	v_cndmask_b32_e32 v130, v130, v37, vcc_lo
	v_cmp_eq_u32_e32 vcc_lo, 4, v0
	s_delay_alu instid0(VALU_DEP_2) | instskip(SKIP_1) | instid1(VALU_DEP_2)
	v_cndmask_b32_e32 v130, v130, v38, vcc_lo
	v_cmp_eq_u32_e32 vcc_lo, 5, v0
	;; [unrolled: 5-line block ×15, first 2 shown]
	v_cndmask_b32_e32 v130, v130, v65, vcc_lo
	s_wait_dscnt 0x0
	s_delay_alu instid0(VALU_DEP_1)
	v_mul_f32_e32 v134, v130, v131
	s_cbranch_execz .LBB95_85
	s_branch .LBB95_86
.LBB95_84:
                                        ; implicit-def: $vgpr134
.LBB95_85:
	ds_load_b32 v134, v133
.LBB95_86:
	s_and_saveexec_b32 s5, s1
	s_cbranch_execz .LBB95_96
; %bb.87:
	v_subrev_nc_u32_e32 v132, 26, v0
	v_mov_b32_e32 v130, 25
	v_subrev_nc_u32_e32 v131, 25, v0
	s_mov_b32 s1, exec_lo
	s_delay_alu instid0(VALU_DEP_3)
	v_cmpx_lt_u32_e32 6, v132
	s_cbranch_execz .LBB95_91
; %bb.88:
	s_delay_alu instid0(VALU_DEP_2) | instskip(SKIP_3) | instid1(VALU_DEP_1)
	v_and_b32_e32 v130, -8, v131
	s_mov_b32 s6, 0
	s_mov_b64 s[2:3], 32
	s_movk_i32 s7, 0xe4
	v_sub_nc_u32_e32 v132, 0, v130
.LBB95_89:                              ; =>This Inner Loop Header: Depth=1
	s_add_co_i32 m0, s2, -7
	v_movrels_b32_e32 v135, v34
	v_mov_b32_e32 v130, s7
	s_add_co_i32 m0, s2, -6
	s_add_co_i32 s7, s7, 32
	v_movrels_b32_e32 v144, v34
	ds_load_2addr_b32 v[136:137], v130 offset1:1
	ds_load_2addr_b32 v[138:139], v130 offset0:2 offset1:3
	s_add_co_i32 m0, s2, -5
	s_wait_dscnt 0x1
	v_fmac_f32_e32 v134, v135, v136
	ds_load_2addr_b32 v[140:141], v130 offset0:4 offset1:5
	ds_load_2addr_b32 v[142:143], v130 offset0:6 offset1:7
	v_movrels_b32_e32 v130, v34
	s_add_co_i32 m0, s2, -4
	v_fmac_f32_e32 v134, v144, v137
	v_movrels_b32_e32 v135, v34
	s_add_co_i32 m0, s2, -3
	s_wait_dscnt 0x2
	s_delay_alu instid0(VALU_DEP_2) | instskip(SKIP_2) | instid1(VALU_DEP_2)
	v_fmac_f32_e32 v134, v130, v138
	v_movrels_b32_e32 v130, v34
	s_add_co_i32 m0, s2, -2
	v_fmac_f32_e32 v134, v135, v139
	v_movrels_b32_e32 v135, v34
	s_add_co_i32 m0, s2, -1
	s_wait_dscnt 0x1
	s_delay_alu instid0(VALU_DEP_2)
	v_fmac_f32_e32 v134, v130, v140
	v_movrels_b32_e32 v130, v34
	s_mov_b32 m0, s2
	s_add_nc_u64 s[2:3], s[2:3], 8
	v_movrels_b32_e32 v136, v34
	v_dual_fmac_f32 v134, v135, v141 :: v_dual_add_nc_u32 v135, s2, v132
	s_add_co_i32 s8, s2, -7
	s_wait_dscnt 0x0
	s_delay_alu instid0(VALU_DEP_1) | instskip(NEXT) | instid1(VALU_DEP_2)
	v_fmac_f32_e32 v134, v130, v142
	v_cmp_eq_u32_e32 vcc_lo, 32, v135
	s_delay_alu instid0(VALU_DEP_2) | instskip(SKIP_1) | instid1(SALU_CYCLE_1)
	v_dual_mov_b32 v130, s8 :: v_dual_fmac_f32 v134, v136, v143
	s_or_b32 s6, vcc_lo, s6
	s_and_not1_b32 exec_lo, exec_lo, s6
	s_cbranch_execnz .LBB95_89
; %bb.90:
	s_or_b32 exec_lo, exec_lo, s6
.LBB95_91:
	s_delay_alu instid0(SALU_CYCLE_1) | instskip(SKIP_3) | instid1(VALU_DEP_1)
	s_or_b32 exec_lo, exec_lo, s1
	v_and_b32_e32 v132, 7, v131
	s_mov_b32 s2, 0
	s_mov_b32 s1, exec_lo
	v_cmpx_ne_u32_e32 0, v132
	s_cbranch_execz .LBB95_95
; %bb.92:
	v_lshl_add_u32 v135, v130, 2, 0x80
	v_mov_b32_e32 v131, 0
.LBB95_93:                              ; =>This Inner Loop Header: Depth=1
	v_cmp_eq_u32_e32 vcc_lo, 1, v130
	ds_load_b32 v137, v135
	v_dual_add_nc_u32 v132, -1, v132 :: v_dual_add_nc_u32 v135, 4, v135
	v_cndmask_b32_e32 v136, v34, v35, vcc_lo
	v_cmp_eq_u32_e32 vcc_lo, 2, v130
	s_delay_alu instid0(VALU_DEP_2) | instskip(SKIP_1) | instid1(VALU_DEP_2)
	v_cndmask_b32_e32 v136, v136, v36, vcc_lo
	v_cmp_eq_u32_e32 vcc_lo, 3, v130
	v_cndmask_b32_e32 v136, v136, v37, vcc_lo
	v_cmp_eq_u32_e32 vcc_lo, 4, v130
	s_delay_alu instid0(VALU_DEP_2) | instskip(SKIP_1) | instid1(VALU_DEP_2)
	v_cndmask_b32_e32 v136, v136, v38, vcc_lo
	v_cmp_eq_u32_e32 vcc_lo, 5, v130
	;; [unrolled: 5-line block ×14, first 2 shown]
	v_cndmask_b32_e32 v136, v136, v63, vcc_lo
	v_cmp_eq_u32_e32 vcc_lo, 30, v130
	s_delay_alu instid0(VALU_DEP_2) | instskip(SKIP_2) | instid1(VALU_DEP_3)
	v_cndmask_b32_e32 v136, v136, v64, vcc_lo
	v_cmp_eq_u32_e32 vcc_lo, 31, v130
	v_add_nc_u64_e32 v[130:131], 1, v[130:131]
	v_cndmask_b32_e32 v136, v136, v65, vcc_lo
	v_cmp_eq_u32_e32 vcc_lo, 0, v132
	s_wait_dscnt 0x0
	s_delay_alu instid0(VALU_DEP_2) | instskip(SKIP_1) | instid1(SALU_CYCLE_1)
	v_fmac_f32_e32 v134, v136, v137
	s_or_b32 s2, vcc_lo, s2
	s_and_not1_b32 exec_lo, exec_lo, s2
	s_cbranch_execnz .LBB95_93
; %bb.94:
	s_or_b32 exec_lo, exec_lo, s2
.LBB95_95:
	s_delay_alu instid0(SALU_CYCLE_1)
	s_or_b32 exec_lo, exec_lo, s1
.LBB95_96:
	s_delay_alu instid0(SALU_CYCLE_1)
	s_or_b32 exec_lo, exec_lo, s5
	v_mov_b32_e32 v58, 0
	ds_load_b32 v58, v58 offset:96
	s_wait_dscnt 0x0
	v_mul_f32_e32 v58, v134, v58
.LBB95_97:
	s_or_b32 exec_lo, exec_lo, s4
	v_cmp_lt_u32_e64 s1, 23, v0
	ds_store_b32 v133, v57
	s_wait_dscnt 0x0
	s_barrier_signal -1
	s_barrier_wait -1
	s_and_saveexec_b32 s4, s1
	s_cbranch_execz .LBB95_113
; %bb.98:
	s_and_not1_b32 vcc_lo, exec_lo, s33
	s_cbranch_vccnz .LBB95_100
; %bb.99:
	v_cmp_eq_u32_e32 vcc_lo, 1, v0
	ds_load_b32 v131, v133
	v_cndmask_b32_e32 v130, v34, v35, vcc_lo
	v_cmp_eq_u32_e32 vcc_lo, 2, v0
	s_delay_alu instid0(VALU_DEP_2) | instskip(SKIP_1) | instid1(VALU_DEP_2)
	v_cndmask_b32_e32 v130, v130, v36, vcc_lo
	v_cmp_eq_u32_e32 vcc_lo, 3, v0
	v_cndmask_b32_e32 v130, v130, v37, vcc_lo
	v_cmp_eq_u32_e32 vcc_lo, 4, v0
	s_delay_alu instid0(VALU_DEP_2) | instskip(SKIP_1) | instid1(VALU_DEP_2)
	v_cndmask_b32_e32 v130, v130, v38, vcc_lo
	v_cmp_eq_u32_e32 vcc_lo, 5, v0
	;; [unrolled: 5-line block ×15, first 2 shown]
	v_cndmask_b32_e32 v130, v130, v65, vcc_lo
	s_wait_dscnt 0x0
	s_delay_alu instid0(VALU_DEP_1)
	v_mul_f32_e32 v134, v130, v131
	s_cbranch_execz .LBB95_101
	s_branch .LBB95_102
.LBB95_100:
                                        ; implicit-def: $vgpr134
.LBB95_101:
	ds_load_b32 v134, v133
.LBB95_102:
	s_and_saveexec_b32 s5, s0
	s_cbranch_execz .LBB95_112
; %bb.103:
	v_subrev_nc_u32_e32 v130, 25, v0
	s_delay_alu instid0(VALU_DEP_1)
	v_cmp_lt_u32_e32 vcc_lo, 6, v130
	v_mov_b32_e32 v130, 24
	s_and_saveexec_b32 s0, vcc_lo
	s_cbranch_execz .LBB95_107
; %bb.104:
	v_and_b32_e32 v130, 24, v0
	s_mov_b32 s6, 0
	s_mov_b64 s[2:3], 31
	s_movk_i32 s7, 0xe0
	s_delay_alu instid0(VALU_DEP_1)
	v_sub_nc_u32_e32 v132, 0, v130
.LBB95_105:                             ; =>This Inner Loop Header: Depth=1
	s_add_co_i32 m0, s2, -7
	v_movrels_b32_e32 v131, v34
	v_mov_b32_e32 v130, s7
	s_add_co_i32 m0, s2, -6
	s_add_co_i32 s7, s7, 32
	v_movrels_b32_e32 v135, v34
	s_add_co_i32 m0, s2, -5
	ds_load_b128 v[136:139], v130
	ds_load_b128 v[140:143], v130 offset:16
	v_movrels_b32_e32 v130, v34
	s_add_co_i32 m0, s2, -4
	s_wait_dscnt 0x1
	v_fmac_f32_e32 v134, v131, v136
	v_movrels_b32_e32 v131, v34
	s_add_co_i32 m0, s2, -3
	s_delay_alu instid0(VALU_DEP_2) | instskip(NEXT) | instid1(VALU_DEP_1)
	v_fmac_f32_e32 v134, v135, v137
	v_fmac_f32_e32 v134, v130, v138
	v_movrels_b32_e32 v130, v34
	s_add_co_i32 m0, s2, -2
	s_delay_alu instid0(VALU_DEP_2) | instskip(SKIP_3) | instid1(VALU_DEP_2)
	v_fmac_f32_e32 v134, v131, v139
	v_movrels_b32_e32 v131, v34
	s_add_co_i32 m0, s2, -1
	s_wait_dscnt 0x0
	v_fmac_f32_e32 v134, v130, v140
	v_movrels_b32_e32 v130, v34
	s_mov_b32 m0, s2
	s_add_nc_u64 s[2:3], s[2:3], 8
	v_movrels_b32_e32 v135, v34
	v_dual_fmac_f32 v134, v131, v141 :: v_dual_add_nc_u32 v131, s2, v132
	s_add_co_i32 s8, s2, -7
	s_delay_alu instid0(VALU_DEP_1) | instskip(NEXT) | instid1(VALU_DEP_2)
	v_fmac_f32_e32 v134, v130, v142
	v_cmp_eq_u32_e32 vcc_lo, 7, v131
	s_delay_alu instid0(VALU_DEP_2) | instskip(SKIP_1) | instid1(SALU_CYCLE_1)
	v_dual_mov_b32 v130, s8 :: v_dual_fmac_f32 v134, v135, v143
	s_or_b32 s6, vcc_lo, s6
	s_and_not1_b32 exec_lo, exec_lo, s6
	s_cbranch_execnz .LBB95_105
; %bb.106:
	s_or_b32 exec_lo, exec_lo, s6
.LBB95_107:
	s_delay_alu instid0(SALU_CYCLE_1) | instskip(SKIP_3) | instid1(VALU_DEP_1)
	s_or_b32 exec_lo, exec_lo, s0
	v_and_b32_e32 v132, 7, v0
	s_mov_b32 s2, 0
	s_mov_b32 s0, exec_lo
	v_cmpx_ne_u32_e32 0, v132
	s_cbranch_execz .LBB95_111
; %bb.108:
	v_lshl_add_u32 v135, v130, 2, 0x80
	v_mov_b32_e32 v131, 0
.LBB95_109:                             ; =>This Inner Loop Header: Depth=1
	v_cmp_eq_u32_e32 vcc_lo, 1, v130
	ds_load_b32 v137, v135
	v_dual_add_nc_u32 v132, -1, v132 :: v_dual_add_nc_u32 v135, 4, v135
	v_cndmask_b32_e32 v136, v34, v35, vcc_lo
	v_cmp_eq_u32_e32 vcc_lo, 2, v130
	s_delay_alu instid0(VALU_DEP_2) | instskip(SKIP_1) | instid1(VALU_DEP_2)
	v_cndmask_b32_e32 v136, v136, v36, vcc_lo
	v_cmp_eq_u32_e32 vcc_lo, 3, v130
	v_cndmask_b32_e32 v136, v136, v37, vcc_lo
	v_cmp_eq_u32_e32 vcc_lo, 4, v130
	s_delay_alu instid0(VALU_DEP_2) | instskip(SKIP_1) | instid1(VALU_DEP_2)
	v_cndmask_b32_e32 v136, v136, v38, vcc_lo
	v_cmp_eq_u32_e32 vcc_lo, 5, v130
	;; [unrolled: 5-line block ×14, first 2 shown]
	v_cndmask_b32_e32 v136, v136, v63, vcc_lo
	v_cmp_eq_u32_e32 vcc_lo, 30, v130
	s_delay_alu instid0(VALU_DEP_2) | instskip(SKIP_2) | instid1(VALU_DEP_3)
	v_cndmask_b32_e32 v136, v136, v64, vcc_lo
	v_cmp_eq_u32_e32 vcc_lo, 31, v130
	v_add_nc_u64_e32 v[130:131], 1, v[130:131]
	v_cndmask_b32_e32 v136, v136, v65, vcc_lo
	v_cmp_eq_u32_e32 vcc_lo, 0, v132
	s_wait_dscnt 0x0
	s_delay_alu instid0(VALU_DEP_2) | instskip(SKIP_1) | instid1(SALU_CYCLE_1)
	v_fmac_f32_e32 v134, v136, v137
	s_or_b32 s2, vcc_lo, s2
	s_and_not1_b32 exec_lo, exec_lo, s2
	s_cbranch_execnz .LBB95_109
; %bb.110:
	s_or_b32 exec_lo, exec_lo, s2
.LBB95_111:
	s_delay_alu instid0(SALU_CYCLE_1)
	s_or_b32 exec_lo, exec_lo, s0
.LBB95_112:
	s_delay_alu instid0(SALU_CYCLE_1)
	s_or_b32 exec_lo, exec_lo, s5
	v_mov_b32_e32 v57, 0
	ds_load_b32 v57, v57 offset:92
	s_wait_dscnt 0x0
	v_mul_f32_e32 v57, v134, v57
.LBB95_113:
	s_or_b32 exec_lo, exec_lo, s4
	v_cmp_lt_u32_e64 s0, 22, v0
	ds_store_b32 v133, v56
	s_wait_dscnt 0x0
	s_barrier_signal -1
	s_barrier_wait -1
	s_and_saveexec_b32 s4, s0
	s_cbranch_execz .LBB95_129
; %bb.114:
	s_and_not1_b32 vcc_lo, exec_lo, s33
	s_cbranch_vccnz .LBB95_116
; %bb.115:
	v_cmp_eq_u32_e32 vcc_lo, 1, v0
	ds_load_b32 v131, v133
	v_cndmask_b32_e32 v130, v34, v35, vcc_lo
	v_cmp_eq_u32_e32 vcc_lo, 2, v0
	s_delay_alu instid0(VALU_DEP_2) | instskip(SKIP_1) | instid1(VALU_DEP_2)
	v_cndmask_b32_e32 v130, v130, v36, vcc_lo
	v_cmp_eq_u32_e32 vcc_lo, 3, v0
	v_cndmask_b32_e32 v130, v130, v37, vcc_lo
	v_cmp_eq_u32_e32 vcc_lo, 4, v0
	s_delay_alu instid0(VALU_DEP_2) | instskip(SKIP_1) | instid1(VALU_DEP_2)
	v_cndmask_b32_e32 v130, v130, v38, vcc_lo
	v_cmp_eq_u32_e32 vcc_lo, 5, v0
	;; [unrolled: 5-line block ×15, first 2 shown]
	v_cndmask_b32_e32 v130, v130, v65, vcc_lo
	s_wait_dscnt 0x0
	s_delay_alu instid0(VALU_DEP_1)
	v_mul_f32_e32 v134, v130, v131
	s_cbranch_execz .LBB95_117
	s_branch .LBB95_118
.LBB95_116:
                                        ; implicit-def: $vgpr134
.LBB95_117:
	ds_load_b32 v134, v133
.LBB95_118:
	s_and_saveexec_b32 s5, s1
	s_cbranch_execz .LBB95_128
; %bb.119:
	v_subrev_nc_u32_e32 v132, 24, v0
	v_mov_b32_e32 v130, 23
	v_subrev_nc_u32_e32 v131, 23, v0
	s_mov_b32 s1, exec_lo
	s_delay_alu instid0(VALU_DEP_3)
	v_cmpx_lt_u32_e32 6, v132
	s_cbranch_execz .LBB95_123
; %bb.120:
	s_delay_alu instid0(VALU_DEP_2) | instskip(SKIP_3) | instid1(VALU_DEP_1)
	v_and_b32_e32 v130, -8, v131
	s_mov_b32 s6, 0
	s_mov_b64 s[2:3], 30
	s_movk_i32 s7, 0xdc
	v_sub_nc_u32_e32 v132, 0, v130
.LBB95_121:                             ; =>This Inner Loop Header: Depth=1
	s_add_co_i32 m0, s2, -7
	v_movrels_b32_e32 v135, v34
	v_mov_b32_e32 v130, s7
	s_add_co_i32 m0, s2, -6
	s_add_co_i32 s7, s7, 32
	v_movrels_b32_e32 v144, v34
	ds_load_2addr_b32 v[136:137], v130 offset1:1
	ds_load_2addr_b32 v[138:139], v130 offset0:2 offset1:3
	s_add_co_i32 m0, s2, -5
	s_wait_dscnt 0x1
	v_fmac_f32_e32 v134, v135, v136
	ds_load_2addr_b32 v[140:141], v130 offset0:4 offset1:5
	ds_load_2addr_b32 v[142:143], v130 offset0:6 offset1:7
	v_movrels_b32_e32 v130, v34
	s_add_co_i32 m0, s2, -4
	v_fmac_f32_e32 v134, v144, v137
	v_movrels_b32_e32 v135, v34
	s_add_co_i32 m0, s2, -3
	s_wait_dscnt 0x2
	s_delay_alu instid0(VALU_DEP_2) | instskip(SKIP_2) | instid1(VALU_DEP_2)
	v_fmac_f32_e32 v134, v130, v138
	v_movrels_b32_e32 v130, v34
	s_add_co_i32 m0, s2, -2
	v_fmac_f32_e32 v134, v135, v139
	v_movrels_b32_e32 v135, v34
	s_add_co_i32 m0, s2, -1
	s_wait_dscnt 0x1
	s_delay_alu instid0(VALU_DEP_2)
	v_fmac_f32_e32 v134, v130, v140
	v_movrels_b32_e32 v130, v34
	s_mov_b32 m0, s2
	s_add_nc_u64 s[2:3], s[2:3], 8
	v_movrels_b32_e32 v136, v34
	v_dual_fmac_f32 v134, v135, v141 :: v_dual_add_nc_u32 v135, s2, v132
	s_add_co_i32 s8, s2, -7
	s_wait_dscnt 0x0
	s_delay_alu instid0(VALU_DEP_1) | instskip(NEXT) | instid1(VALU_DEP_2)
	v_fmac_f32_e32 v134, v130, v142
	v_cmp_eq_u32_e32 vcc_lo, 30, v135
	s_delay_alu instid0(VALU_DEP_2) | instskip(SKIP_1) | instid1(SALU_CYCLE_1)
	v_dual_mov_b32 v130, s8 :: v_dual_fmac_f32 v134, v136, v143
	s_or_b32 s6, vcc_lo, s6
	s_and_not1_b32 exec_lo, exec_lo, s6
	s_cbranch_execnz .LBB95_121
; %bb.122:
	s_or_b32 exec_lo, exec_lo, s6
.LBB95_123:
	s_delay_alu instid0(SALU_CYCLE_1) | instskip(SKIP_3) | instid1(VALU_DEP_1)
	s_or_b32 exec_lo, exec_lo, s1
	v_and_b32_e32 v132, 7, v131
	s_mov_b32 s2, 0
	s_mov_b32 s1, exec_lo
	v_cmpx_ne_u32_e32 0, v132
	s_cbranch_execz .LBB95_127
; %bb.124:
	v_lshl_add_u32 v135, v130, 2, 0x80
	v_mov_b32_e32 v131, 0
.LBB95_125:                             ; =>This Inner Loop Header: Depth=1
	v_cmp_eq_u32_e32 vcc_lo, 1, v130
	ds_load_b32 v137, v135
	v_dual_add_nc_u32 v132, -1, v132 :: v_dual_add_nc_u32 v135, 4, v135
	v_cndmask_b32_e32 v136, v34, v35, vcc_lo
	v_cmp_eq_u32_e32 vcc_lo, 2, v130
	s_delay_alu instid0(VALU_DEP_2) | instskip(SKIP_1) | instid1(VALU_DEP_2)
	v_cndmask_b32_e32 v136, v136, v36, vcc_lo
	v_cmp_eq_u32_e32 vcc_lo, 3, v130
	v_cndmask_b32_e32 v136, v136, v37, vcc_lo
	v_cmp_eq_u32_e32 vcc_lo, 4, v130
	s_delay_alu instid0(VALU_DEP_2) | instskip(SKIP_1) | instid1(VALU_DEP_2)
	v_cndmask_b32_e32 v136, v136, v38, vcc_lo
	v_cmp_eq_u32_e32 vcc_lo, 5, v130
	;; [unrolled: 5-line block ×14, first 2 shown]
	v_cndmask_b32_e32 v136, v136, v63, vcc_lo
	v_cmp_eq_u32_e32 vcc_lo, 30, v130
	s_delay_alu instid0(VALU_DEP_2) | instskip(SKIP_2) | instid1(VALU_DEP_3)
	v_cndmask_b32_e32 v136, v136, v64, vcc_lo
	v_cmp_eq_u32_e32 vcc_lo, 31, v130
	v_add_nc_u64_e32 v[130:131], 1, v[130:131]
	v_cndmask_b32_e32 v136, v136, v65, vcc_lo
	v_cmp_eq_u32_e32 vcc_lo, 0, v132
	s_wait_dscnt 0x0
	s_delay_alu instid0(VALU_DEP_2) | instskip(SKIP_1) | instid1(SALU_CYCLE_1)
	v_fmac_f32_e32 v134, v136, v137
	s_or_b32 s2, vcc_lo, s2
	s_and_not1_b32 exec_lo, exec_lo, s2
	s_cbranch_execnz .LBB95_125
; %bb.126:
	s_or_b32 exec_lo, exec_lo, s2
.LBB95_127:
	s_delay_alu instid0(SALU_CYCLE_1)
	s_or_b32 exec_lo, exec_lo, s1
.LBB95_128:
	s_delay_alu instid0(SALU_CYCLE_1)
	s_or_b32 exec_lo, exec_lo, s5
	v_mov_b32_e32 v56, 0
	ds_load_b32 v56, v56 offset:88
	s_wait_dscnt 0x0
	v_mul_f32_e32 v56, v134, v56
.LBB95_129:
	s_or_b32 exec_lo, exec_lo, s4
	v_cmp_lt_u32_e64 s1, 21, v0
	ds_store_b32 v133, v55
	s_wait_dscnt 0x0
	s_barrier_signal -1
	s_barrier_wait -1
	s_and_saveexec_b32 s4, s1
	s_cbranch_execz .LBB95_145
; %bb.130:
	s_and_not1_b32 vcc_lo, exec_lo, s33
	s_cbranch_vccnz .LBB95_132
; %bb.131:
	v_cmp_eq_u32_e32 vcc_lo, 1, v0
	ds_load_b32 v131, v133
	v_cndmask_b32_e32 v130, v34, v35, vcc_lo
	v_cmp_eq_u32_e32 vcc_lo, 2, v0
	s_delay_alu instid0(VALU_DEP_2) | instskip(SKIP_1) | instid1(VALU_DEP_2)
	v_cndmask_b32_e32 v130, v130, v36, vcc_lo
	v_cmp_eq_u32_e32 vcc_lo, 3, v0
	v_cndmask_b32_e32 v130, v130, v37, vcc_lo
	v_cmp_eq_u32_e32 vcc_lo, 4, v0
	s_delay_alu instid0(VALU_DEP_2) | instskip(SKIP_1) | instid1(VALU_DEP_2)
	v_cndmask_b32_e32 v130, v130, v38, vcc_lo
	v_cmp_eq_u32_e32 vcc_lo, 5, v0
	;; [unrolled: 5-line block ×15, first 2 shown]
	v_cndmask_b32_e32 v130, v130, v65, vcc_lo
	s_wait_dscnt 0x0
	s_delay_alu instid0(VALU_DEP_1)
	v_mul_f32_e32 v134, v130, v131
	s_cbranch_execz .LBB95_133
	s_branch .LBB95_134
.LBB95_132:
                                        ; implicit-def: $vgpr134
.LBB95_133:
	ds_load_b32 v134, v133
.LBB95_134:
	s_and_saveexec_b32 s5, s0
	s_cbranch_execz .LBB95_144
; %bb.135:
	v_subrev_nc_u32_e32 v132, 23, v0
	v_mov_b32_e32 v130, 22
	v_subrev_nc_u32_e32 v131, 22, v0
	s_mov_b32 s0, exec_lo
	s_delay_alu instid0(VALU_DEP_3)
	v_cmpx_lt_u32_e32 6, v132
	s_cbranch_execz .LBB95_139
; %bb.136:
	s_delay_alu instid0(VALU_DEP_2) | instskip(SKIP_3) | instid1(VALU_DEP_1)
	v_and_b32_e32 v130, -8, v131
	s_mov_b32 s6, 0
	s_mov_b64 s[2:3], 29
	s_movk_i32 s7, 0xd8
	v_sub_nc_u32_e32 v132, 0, v130
.LBB95_137:                             ; =>This Inner Loop Header: Depth=1
	s_add_co_i32 m0, s2, -7
	v_movrels_b32_e32 v135, v34
	v_mov_b32_e32 v130, s7
	s_add_co_i32 m0, s2, -6
	s_add_co_i32 s7, s7, 32
	v_movrels_b32_e32 v144, v34
	s_add_co_i32 m0, s2, -5
	ds_load_2addr_b64 v[136:139], v130 offset1:1
	ds_load_2addr_b64 v[140:143], v130 offset0:2 offset1:3
	v_movrels_b32_e32 v130, v34
	s_add_co_i32 m0, s2, -4
	s_wait_dscnt 0x1
	v_fmac_f32_e32 v134, v135, v136
	v_movrels_b32_e32 v135, v34
	s_add_co_i32 m0, s2, -3
	s_delay_alu instid0(VALU_DEP_2) | instskip(NEXT) | instid1(VALU_DEP_1)
	v_fmac_f32_e32 v134, v144, v137
	v_fmac_f32_e32 v134, v130, v138
	v_movrels_b32_e32 v130, v34
	s_add_co_i32 m0, s2, -2
	s_delay_alu instid0(VALU_DEP_2) | instskip(SKIP_3) | instid1(VALU_DEP_2)
	v_fmac_f32_e32 v134, v135, v139
	v_movrels_b32_e32 v135, v34
	s_add_co_i32 m0, s2, -1
	s_wait_dscnt 0x0
	v_fmac_f32_e32 v134, v130, v140
	v_movrels_b32_e32 v130, v34
	s_mov_b32 m0, s2
	s_add_nc_u64 s[2:3], s[2:3], 8
	v_movrels_b32_e32 v136, v34
	v_dual_fmac_f32 v134, v135, v141 :: v_dual_add_nc_u32 v135, s2, v132
	s_add_co_i32 s8, s2, -7
	s_delay_alu instid0(VALU_DEP_1) | instskip(NEXT) | instid1(VALU_DEP_2)
	v_fmac_f32_e32 v134, v130, v142
	v_cmp_eq_u32_e32 vcc_lo, 29, v135
	s_delay_alu instid0(VALU_DEP_2) | instskip(SKIP_1) | instid1(SALU_CYCLE_1)
	v_dual_mov_b32 v130, s8 :: v_dual_fmac_f32 v134, v136, v143
	s_or_b32 s6, vcc_lo, s6
	s_and_not1_b32 exec_lo, exec_lo, s6
	s_cbranch_execnz .LBB95_137
; %bb.138:
	s_or_b32 exec_lo, exec_lo, s6
.LBB95_139:
	s_delay_alu instid0(SALU_CYCLE_1) | instskip(SKIP_3) | instid1(VALU_DEP_1)
	s_or_b32 exec_lo, exec_lo, s0
	v_and_b32_e32 v132, 7, v131
	s_mov_b32 s2, 0
	s_mov_b32 s0, exec_lo
	v_cmpx_ne_u32_e32 0, v132
	s_cbranch_execz .LBB95_143
; %bb.140:
	v_lshl_add_u32 v135, v130, 2, 0x80
	v_mov_b32_e32 v131, 0
.LBB95_141:                             ; =>This Inner Loop Header: Depth=1
	v_cmp_eq_u32_e32 vcc_lo, 1, v130
	ds_load_b32 v137, v135
	v_dual_add_nc_u32 v132, -1, v132 :: v_dual_add_nc_u32 v135, 4, v135
	v_cndmask_b32_e32 v136, v34, v35, vcc_lo
	v_cmp_eq_u32_e32 vcc_lo, 2, v130
	s_delay_alu instid0(VALU_DEP_2) | instskip(SKIP_1) | instid1(VALU_DEP_2)
	v_cndmask_b32_e32 v136, v136, v36, vcc_lo
	v_cmp_eq_u32_e32 vcc_lo, 3, v130
	v_cndmask_b32_e32 v136, v136, v37, vcc_lo
	v_cmp_eq_u32_e32 vcc_lo, 4, v130
	s_delay_alu instid0(VALU_DEP_2) | instskip(SKIP_1) | instid1(VALU_DEP_2)
	v_cndmask_b32_e32 v136, v136, v38, vcc_lo
	v_cmp_eq_u32_e32 vcc_lo, 5, v130
	;; [unrolled: 5-line block ×14, first 2 shown]
	v_cndmask_b32_e32 v136, v136, v63, vcc_lo
	v_cmp_eq_u32_e32 vcc_lo, 30, v130
	s_delay_alu instid0(VALU_DEP_2) | instskip(SKIP_2) | instid1(VALU_DEP_3)
	v_cndmask_b32_e32 v136, v136, v64, vcc_lo
	v_cmp_eq_u32_e32 vcc_lo, 31, v130
	v_add_nc_u64_e32 v[130:131], 1, v[130:131]
	v_cndmask_b32_e32 v136, v136, v65, vcc_lo
	v_cmp_eq_u32_e32 vcc_lo, 0, v132
	s_wait_dscnt 0x0
	s_delay_alu instid0(VALU_DEP_2) | instskip(SKIP_1) | instid1(SALU_CYCLE_1)
	v_fmac_f32_e32 v134, v136, v137
	s_or_b32 s2, vcc_lo, s2
	s_and_not1_b32 exec_lo, exec_lo, s2
	s_cbranch_execnz .LBB95_141
; %bb.142:
	s_or_b32 exec_lo, exec_lo, s2
.LBB95_143:
	s_delay_alu instid0(SALU_CYCLE_1)
	s_or_b32 exec_lo, exec_lo, s0
.LBB95_144:
	s_delay_alu instid0(SALU_CYCLE_1)
	s_or_b32 exec_lo, exec_lo, s5
	v_mov_b32_e32 v55, 0
	ds_load_b32 v55, v55 offset:84
	s_wait_dscnt 0x0
	v_mul_f32_e32 v55, v134, v55
.LBB95_145:
	s_or_b32 exec_lo, exec_lo, s4
	v_cmp_lt_u32_e64 s0, 20, v0
	ds_store_b32 v133, v54
	s_wait_dscnt 0x0
	s_barrier_signal -1
	s_barrier_wait -1
	s_and_saveexec_b32 s4, s0
	s_cbranch_execz .LBB95_161
; %bb.146:
	s_and_not1_b32 vcc_lo, exec_lo, s33
	s_cbranch_vccnz .LBB95_148
; %bb.147:
	v_cmp_eq_u32_e32 vcc_lo, 1, v0
	ds_load_b32 v131, v133
	v_cndmask_b32_e32 v130, v34, v35, vcc_lo
	v_cmp_eq_u32_e32 vcc_lo, 2, v0
	s_delay_alu instid0(VALU_DEP_2) | instskip(SKIP_1) | instid1(VALU_DEP_2)
	v_cndmask_b32_e32 v130, v130, v36, vcc_lo
	v_cmp_eq_u32_e32 vcc_lo, 3, v0
	v_cndmask_b32_e32 v130, v130, v37, vcc_lo
	v_cmp_eq_u32_e32 vcc_lo, 4, v0
	s_delay_alu instid0(VALU_DEP_2) | instskip(SKIP_1) | instid1(VALU_DEP_2)
	v_cndmask_b32_e32 v130, v130, v38, vcc_lo
	v_cmp_eq_u32_e32 vcc_lo, 5, v0
	;; [unrolled: 5-line block ×15, first 2 shown]
	v_cndmask_b32_e32 v130, v130, v65, vcc_lo
	s_wait_dscnt 0x0
	s_delay_alu instid0(VALU_DEP_1)
	v_mul_f32_e32 v134, v130, v131
	s_cbranch_execz .LBB95_149
	s_branch .LBB95_150
.LBB95_148:
                                        ; implicit-def: $vgpr134
.LBB95_149:
	ds_load_b32 v134, v133
.LBB95_150:
	s_and_saveexec_b32 s5, s1
	s_cbranch_execz .LBB95_160
; %bb.151:
	v_subrev_nc_u32_e32 v132, 22, v0
	v_mov_b32_e32 v130, 21
	v_subrev_nc_u32_e32 v131, 21, v0
	s_mov_b32 s1, exec_lo
	s_delay_alu instid0(VALU_DEP_3)
	v_cmpx_lt_u32_e32 6, v132
	s_cbranch_execz .LBB95_155
; %bb.152:
	s_delay_alu instid0(VALU_DEP_2) | instskip(SKIP_3) | instid1(VALU_DEP_1)
	v_and_b32_e32 v130, -8, v131
	s_mov_b32 s6, 0
	s_mov_b64 s[2:3], 28
	s_movk_i32 s7, 0xd4
	v_sub_nc_u32_e32 v132, 0, v130
.LBB95_153:                             ; =>This Inner Loop Header: Depth=1
	s_add_co_i32 m0, s2, -7
	v_movrels_b32_e32 v135, v34
	v_mov_b32_e32 v130, s7
	s_add_co_i32 m0, s2, -6
	s_add_co_i32 s7, s7, 32
	v_movrels_b32_e32 v144, v34
	ds_load_2addr_b32 v[136:137], v130 offset1:1
	ds_load_2addr_b32 v[138:139], v130 offset0:2 offset1:3
	s_add_co_i32 m0, s2, -5
	s_wait_dscnt 0x1
	v_fmac_f32_e32 v134, v135, v136
	ds_load_2addr_b32 v[140:141], v130 offset0:4 offset1:5
	ds_load_2addr_b32 v[142:143], v130 offset0:6 offset1:7
	v_movrels_b32_e32 v130, v34
	s_add_co_i32 m0, s2, -4
	v_fmac_f32_e32 v134, v144, v137
	v_movrels_b32_e32 v135, v34
	s_add_co_i32 m0, s2, -3
	s_wait_dscnt 0x2
	s_delay_alu instid0(VALU_DEP_2) | instskip(SKIP_2) | instid1(VALU_DEP_2)
	v_fmac_f32_e32 v134, v130, v138
	v_movrels_b32_e32 v130, v34
	s_add_co_i32 m0, s2, -2
	v_fmac_f32_e32 v134, v135, v139
	v_movrels_b32_e32 v135, v34
	s_add_co_i32 m0, s2, -1
	s_wait_dscnt 0x1
	s_delay_alu instid0(VALU_DEP_2)
	v_fmac_f32_e32 v134, v130, v140
	v_movrels_b32_e32 v130, v34
	s_mov_b32 m0, s2
	s_add_nc_u64 s[2:3], s[2:3], 8
	v_movrels_b32_e32 v136, v34
	v_dual_fmac_f32 v134, v135, v141 :: v_dual_add_nc_u32 v135, s2, v132
	s_add_co_i32 s8, s2, -7
	s_wait_dscnt 0x0
	s_delay_alu instid0(VALU_DEP_1) | instskip(NEXT) | instid1(VALU_DEP_2)
	v_fmac_f32_e32 v134, v130, v142
	v_cmp_eq_u32_e32 vcc_lo, 28, v135
	s_delay_alu instid0(VALU_DEP_2) | instskip(SKIP_1) | instid1(SALU_CYCLE_1)
	v_dual_mov_b32 v130, s8 :: v_dual_fmac_f32 v134, v136, v143
	s_or_b32 s6, vcc_lo, s6
	s_and_not1_b32 exec_lo, exec_lo, s6
	s_cbranch_execnz .LBB95_153
; %bb.154:
	s_or_b32 exec_lo, exec_lo, s6
.LBB95_155:
	s_delay_alu instid0(SALU_CYCLE_1) | instskip(SKIP_3) | instid1(VALU_DEP_1)
	s_or_b32 exec_lo, exec_lo, s1
	v_and_b32_e32 v132, 7, v131
	s_mov_b32 s2, 0
	s_mov_b32 s1, exec_lo
	v_cmpx_ne_u32_e32 0, v132
	s_cbranch_execz .LBB95_159
; %bb.156:
	v_lshl_add_u32 v135, v130, 2, 0x80
	v_mov_b32_e32 v131, 0
.LBB95_157:                             ; =>This Inner Loop Header: Depth=1
	v_cmp_eq_u32_e32 vcc_lo, 1, v130
	ds_load_b32 v137, v135
	v_dual_add_nc_u32 v132, -1, v132 :: v_dual_add_nc_u32 v135, 4, v135
	v_cndmask_b32_e32 v136, v34, v35, vcc_lo
	v_cmp_eq_u32_e32 vcc_lo, 2, v130
	s_delay_alu instid0(VALU_DEP_2) | instskip(SKIP_1) | instid1(VALU_DEP_2)
	v_cndmask_b32_e32 v136, v136, v36, vcc_lo
	v_cmp_eq_u32_e32 vcc_lo, 3, v130
	v_cndmask_b32_e32 v136, v136, v37, vcc_lo
	v_cmp_eq_u32_e32 vcc_lo, 4, v130
	s_delay_alu instid0(VALU_DEP_2) | instskip(SKIP_1) | instid1(VALU_DEP_2)
	v_cndmask_b32_e32 v136, v136, v38, vcc_lo
	v_cmp_eq_u32_e32 vcc_lo, 5, v130
	;; [unrolled: 5-line block ×14, first 2 shown]
	v_cndmask_b32_e32 v136, v136, v63, vcc_lo
	v_cmp_eq_u32_e32 vcc_lo, 30, v130
	s_delay_alu instid0(VALU_DEP_2) | instskip(SKIP_2) | instid1(VALU_DEP_3)
	v_cndmask_b32_e32 v136, v136, v64, vcc_lo
	v_cmp_eq_u32_e32 vcc_lo, 31, v130
	v_add_nc_u64_e32 v[130:131], 1, v[130:131]
	v_cndmask_b32_e32 v136, v136, v65, vcc_lo
	v_cmp_eq_u32_e32 vcc_lo, 0, v132
	s_wait_dscnt 0x0
	s_delay_alu instid0(VALU_DEP_2) | instskip(SKIP_1) | instid1(SALU_CYCLE_1)
	v_fmac_f32_e32 v134, v136, v137
	s_or_b32 s2, vcc_lo, s2
	s_and_not1_b32 exec_lo, exec_lo, s2
	s_cbranch_execnz .LBB95_157
; %bb.158:
	s_or_b32 exec_lo, exec_lo, s2
.LBB95_159:
	s_delay_alu instid0(SALU_CYCLE_1)
	s_or_b32 exec_lo, exec_lo, s1
.LBB95_160:
	s_delay_alu instid0(SALU_CYCLE_1)
	s_or_b32 exec_lo, exec_lo, s5
	v_mov_b32_e32 v54, 0
	ds_load_b32 v54, v54 offset:80
	s_wait_dscnt 0x0
	v_mul_f32_e32 v54, v134, v54
.LBB95_161:
	s_or_b32 exec_lo, exec_lo, s4
	v_cmp_lt_u32_e64 s1, 19, v0
	ds_store_b32 v133, v53
	s_wait_dscnt 0x0
	s_barrier_signal -1
	s_barrier_wait -1
	s_and_saveexec_b32 s4, s1
	s_cbranch_execz .LBB95_177
; %bb.162:
	s_and_not1_b32 vcc_lo, exec_lo, s33
	s_cbranch_vccnz .LBB95_164
; %bb.163:
	v_cmp_eq_u32_e32 vcc_lo, 1, v0
	ds_load_b32 v131, v133
	v_cndmask_b32_e32 v130, v34, v35, vcc_lo
	v_cmp_eq_u32_e32 vcc_lo, 2, v0
	s_delay_alu instid0(VALU_DEP_2) | instskip(SKIP_1) | instid1(VALU_DEP_2)
	v_cndmask_b32_e32 v130, v130, v36, vcc_lo
	v_cmp_eq_u32_e32 vcc_lo, 3, v0
	v_cndmask_b32_e32 v130, v130, v37, vcc_lo
	v_cmp_eq_u32_e32 vcc_lo, 4, v0
	s_delay_alu instid0(VALU_DEP_2) | instskip(SKIP_1) | instid1(VALU_DEP_2)
	v_cndmask_b32_e32 v130, v130, v38, vcc_lo
	v_cmp_eq_u32_e32 vcc_lo, 5, v0
	;; [unrolled: 5-line block ×15, first 2 shown]
	v_cndmask_b32_e32 v130, v130, v65, vcc_lo
	s_wait_dscnt 0x0
	s_delay_alu instid0(VALU_DEP_1)
	v_mul_f32_e32 v134, v130, v131
	s_cbranch_execz .LBB95_165
	s_branch .LBB95_166
.LBB95_164:
                                        ; implicit-def: $vgpr134
.LBB95_165:
	ds_load_b32 v134, v133
.LBB95_166:
	s_and_saveexec_b32 s5, s0
	s_cbranch_execz .LBB95_176
; %bb.167:
	v_subrev_nc_u32_e32 v132, 21, v0
	v_mov_b32_e32 v130, 20
	v_subrev_nc_u32_e32 v131, 20, v0
	s_mov_b32 s0, exec_lo
	s_delay_alu instid0(VALU_DEP_3)
	v_cmpx_lt_u32_e32 6, v132
	s_cbranch_execz .LBB95_171
; %bb.168:
	s_delay_alu instid0(VALU_DEP_2) | instskip(SKIP_3) | instid1(VALU_DEP_1)
	v_and_b32_e32 v130, -8, v131
	s_mov_b32 s6, 0
	s_mov_b64 s[2:3], 27
	s_movk_i32 s7, 0xd0
	v_sub_nc_u32_e32 v132, 0, v130
.LBB95_169:                             ; =>This Inner Loop Header: Depth=1
	s_add_co_i32 m0, s2, -7
	v_movrels_b32_e32 v135, v34
	v_mov_b32_e32 v130, s7
	s_add_co_i32 m0, s2, -6
	s_add_co_i32 s7, s7, 32
	v_movrels_b32_e32 v144, v34
	s_add_co_i32 m0, s2, -5
	ds_load_b128 v[136:139], v130
	ds_load_b128 v[140:143], v130 offset:16
	v_movrels_b32_e32 v130, v34
	s_add_co_i32 m0, s2, -4
	s_wait_dscnt 0x1
	v_fmac_f32_e32 v134, v135, v136
	v_movrels_b32_e32 v135, v34
	s_add_co_i32 m0, s2, -3
	s_delay_alu instid0(VALU_DEP_2) | instskip(NEXT) | instid1(VALU_DEP_1)
	v_fmac_f32_e32 v134, v144, v137
	v_fmac_f32_e32 v134, v130, v138
	v_movrels_b32_e32 v130, v34
	s_add_co_i32 m0, s2, -2
	s_delay_alu instid0(VALU_DEP_2) | instskip(SKIP_3) | instid1(VALU_DEP_2)
	v_fmac_f32_e32 v134, v135, v139
	v_movrels_b32_e32 v135, v34
	s_add_co_i32 m0, s2, -1
	s_wait_dscnt 0x0
	v_fmac_f32_e32 v134, v130, v140
	v_movrels_b32_e32 v130, v34
	s_mov_b32 m0, s2
	s_add_nc_u64 s[2:3], s[2:3], 8
	v_movrels_b32_e32 v136, v34
	v_dual_fmac_f32 v134, v135, v141 :: v_dual_add_nc_u32 v135, s2, v132
	s_add_co_i32 s8, s2, -7
	s_delay_alu instid0(VALU_DEP_1) | instskip(NEXT) | instid1(VALU_DEP_2)
	v_fmac_f32_e32 v134, v130, v142
	v_cmp_eq_u32_e32 vcc_lo, 27, v135
	s_delay_alu instid0(VALU_DEP_2) | instskip(SKIP_1) | instid1(SALU_CYCLE_1)
	v_dual_mov_b32 v130, s8 :: v_dual_fmac_f32 v134, v136, v143
	s_or_b32 s6, vcc_lo, s6
	s_and_not1_b32 exec_lo, exec_lo, s6
	s_cbranch_execnz .LBB95_169
; %bb.170:
	s_or_b32 exec_lo, exec_lo, s6
.LBB95_171:
	s_delay_alu instid0(SALU_CYCLE_1) | instskip(SKIP_3) | instid1(VALU_DEP_1)
	s_or_b32 exec_lo, exec_lo, s0
	v_and_b32_e32 v132, 7, v131
	s_mov_b32 s2, 0
	s_mov_b32 s0, exec_lo
	v_cmpx_ne_u32_e32 0, v132
	s_cbranch_execz .LBB95_175
; %bb.172:
	v_lshl_add_u32 v135, v130, 2, 0x80
	v_mov_b32_e32 v131, 0
.LBB95_173:                             ; =>This Inner Loop Header: Depth=1
	v_cmp_eq_u32_e32 vcc_lo, 1, v130
	ds_load_b32 v137, v135
	v_dual_add_nc_u32 v132, -1, v132 :: v_dual_add_nc_u32 v135, 4, v135
	v_cndmask_b32_e32 v136, v34, v35, vcc_lo
	v_cmp_eq_u32_e32 vcc_lo, 2, v130
	s_delay_alu instid0(VALU_DEP_2) | instskip(SKIP_1) | instid1(VALU_DEP_2)
	v_cndmask_b32_e32 v136, v136, v36, vcc_lo
	v_cmp_eq_u32_e32 vcc_lo, 3, v130
	v_cndmask_b32_e32 v136, v136, v37, vcc_lo
	v_cmp_eq_u32_e32 vcc_lo, 4, v130
	s_delay_alu instid0(VALU_DEP_2) | instskip(SKIP_1) | instid1(VALU_DEP_2)
	v_cndmask_b32_e32 v136, v136, v38, vcc_lo
	v_cmp_eq_u32_e32 vcc_lo, 5, v130
	;; [unrolled: 5-line block ×14, first 2 shown]
	v_cndmask_b32_e32 v136, v136, v63, vcc_lo
	v_cmp_eq_u32_e32 vcc_lo, 30, v130
	s_delay_alu instid0(VALU_DEP_2) | instskip(SKIP_2) | instid1(VALU_DEP_3)
	v_cndmask_b32_e32 v136, v136, v64, vcc_lo
	v_cmp_eq_u32_e32 vcc_lo, 31, v130
	v_add_nc_u64_e32 v[130:131], 1, v[130:131]
	v_cndmask_b32_e32 v136, v136, v65, vcc_lo
	v_cmp_eq_u32_e32 vcc_lo, 0, v132
	s_wait_dscnt 0x0
	s_delay_alu instid0(VALU_DEP_2) | instskip(SKIP_1) | instid1(SALU_CYCLE_1)
	v_fmac_f32_e32 v134, v136, v137
	s_or_b32 s2, vcc_lo, s2
	s_and_not1_b32 exec_lo, exec_lo, s2
	s_cbranch_execnz .LBB95_173
; %bb.174:
	s_or_b32 exec_lo, exec_lo, s2
.LBB95_175:
	s_delay_alu instid0(SALU_CYCLE_1)
	s_or_b32 exec_lo, exec_lo, s0
.LBB95_176:
	s_delay_alu instid0(SALU_CYCLE_1)
	s_or_b32 exec_lo, exec_lo, s5
	v_mov_b32_e32 v53, 0
	ds_load_b32 v53, v53 offset:76
	s_wait_dscnt 0x0
	v_mul_f32_e32 v53, v134, v53
.LBB95_177:
	s_or_b32 exec_lo, exec_lo, s4
	v_cmp_lt_u32_e64 s0, 18, v0
	ds_store_b32 v133, v52
	s_wait_dscnt 0x0
	s_barrier_signal -1
	s_barrier_wait -1
	s_and_saveexec_b32 s4, s0
	s_cbranch_execz .LBB95_193
; %bb.178:
	s_and_not1_b32 vcc_lo, exec_lo, s33
	s_cbranch_vccnz .LBB95_180
; %bb.179:
	v_cmp_eq_u32_e32 vcc_lo, 1, v0
	ds_load_b32 v131, v133
	v_cndmask_b32_e32 v130, v34, v35, vcc_lo
	v_cmp_eq_u32_e32 vcc_lo, 2, v0
	s_delay_alu instid0(VALU_DEP_2) | instskip(SKIP_1) | instid1(VALU_DEP_2)
	v_cndmask_b32_e32 v130, v130, v36, vcc_lo
	v_cmp_eq_u32_e32 vcc_lo, 3, v0
	v_cndmask_b32_e32 v130, v130, v37, vcc_lo
	v_cmp_eq_u32_e32 vcc_lo, 4, v0
	s_delay_alu instid0(VALU_DEP_2) | instskip(SKIP_1) | instid1(VALU_DEP_2)
	v_cndmask_b32_e32 v130, v130, v38, vcc_lo
	v_cmp_eq_u32_e32 vcc_lo, 5, v0
	;; [unrolled: 5-line block ×15, first 2 shown]
	v_cndmask_b32_e32 v130, v130, v65, vcc_lo
	s_wait_dscnt 0x0
	s_delay_alu instid0(VALU_DEP_1)
	v_mul_f32_e32 v134, v130, v131
	s_cbranch_execz .LBB95_181
	s_branch .LBB95_182
.LBB95_180:
                                        ; implicit-def: $vgpr134
.LBB95_181:
	ds_load_b32 v134, v133
.LBB95_182:
	s_and_saveexec_b32 s5, s1
	s_cbranch_execz .LBB95_192
; %bb.183:
	v_subrev_nc_u32_e32 v132, 20, v0
	v_mov_b32_e32 v130, 19
	v_subrev_nc_u32_e32 v131, 19, v0
	s_mov_b32 s1, exec_lo
	s_delay_alu instid0(VALU_DEP_3)
	v_cmpx_lt_u32_e32 6, v132
	s_cbranch_execz .LBB95_187
; %bb.184:
	s_delay_alu instid0(VALU_DEP_2) | instskip(SKIP_3) | instid1(VALU_DEP_1)
	v_and_b32_e32 v130, -8, v131
	s_mov_b32 s6, 0
	s_mov_b64 s[2:3], 26
	s_movk_i32 s7, 0xcc
	v_sub_nc_u32_e32 v132, 0, v130
.LBB95_185:                             ; =>This Inner Loop Header: Depth=1
	s_add_co_i32 m0, s2, -7
	v_movrels_b32_e32 v135, v34
	v_mov_b32_e32 v130, s7
	s_add_co_i32 m0, s2, -6
	s_add_co_i32 s7, s7, 32
	v_movrels_b32_e32 v144, v34
	ds_load_2addr_b32 v[136:137], v130 offset1:1
	ds_load_2addr_b32 v[138:139], v130 offset0:2 offset1:3
	s_add_co_i32 m0, s2, -5
	s_wait_dscnt 0x1
	v_fmac_f32_e32 v134, v135, v136
	ds_load_2addr_b32 v[140:141], v130 offset0:4 offset1:5
	ds_load_2addr_b32 v[142:143], v130 offset0:6 offset1:7
	v_movrels_b32_e32 v130, v34
	s_add_co_i32 m0, s2, -4
	v_fmac_f32_e32 v134, v144, v137
	v_movrels_b32_e32 v135, v34
	s_add_co_i32 m0, s2, -3
	s_wait_dscnt 0x2
	s_delay_alu instid0(VALU_DEP_2) | instskip(SKIP_2) | instid1(VALU_DEP_2)
	v_fmac_f32_e32 v134, v130, v138
	v_movrels_b32_e32 v130, v34
	s_add_co_i32 m0, s2, -2
	v_fmac_f32_e32 v134, v135, v139
	v_movrels_b32_e32 v135, v34
	s_add_co_i32 m0, s2, -1
	s_wait_dscnt 0x1
	s_delay_alu instid0(VALU_DEP_2)
	v_fmac_f32_e32 v134, v130, v140
	v_movrels_b32_e32 v130, v34
	s_mov_b32 m0, s2
	s_add_nc_u64 s[2:3], s[2:3], 8
	v_movrels_b32_e32 v136, v34
	v_dual_fmac_f32 v134, v135, v141 :: v_dual_add_nc_u32 v135, s2, v132
	s_add_co_i32 s8, s2, -7
	s_wait_dscnt 0x0
	s_delay_alu instid0(VALU_DEP_1) | instskip(NEXT) | instid1(VALU_DEP_2)
	v_fmac_f32_e32 v134, v130, v142
	v_cmp_eq_u32_e32 vcc_lo, 26, v135
	s_delay_alu instid0(VALU_DEP_2) | instskip(SKIP_1) | instid1(SALU_CYCLE_1)
	v_dual_mov_b32 v130, s8 :: v_dual_fmac_f32 v134, v136, v143
	s_or_b32 s6, vcc_lo, s6
	s_and_not1_b32 exec_lo, exec_lo, s6
	s_cbranch_execnz .LBB95_185
; %bb.186:
	s_or_b32 exec_lo, exec_lo, s6
.LBB95_187:
	s_delay_alu instid0(SALU_CYCLE_1) | instskip(SKIP_3) | instid1(VALU_DEP_1)
	s_or_b32 exec_lo, exec_lo, s1
	v_and_b32_e32 v132, 7, v131
	s_mov_b32 s2, 0
	s_mov_b32 s1, exec_lo
	v_cmpx_ne_u32_e32 0, v132
	s_cbranch_execz .LBB95_191
; %bb.188:
	v_lshl_add_u32 v135, v130, 2, 0x80
	v_mov_b32_e32 v131, 0
.LBB95_189:                             ; =>This Inner Loop Header: Depth=1
	v_cmp_eq_u32_e32 vcc_lo, 1, v130
	ds_load_b32 v137, v135
	v_dual_add_nc_u32 v132, -1, v132 :: v_dual_add_nc_u32 v135, 4, v135
	v_cndmask_b32_e32 v136, v34, v35, vcc_lo
	v_cmp_eq_u32_e32 vcc_lo, 2, v130
	s_delay_alu instid0(VALU_DEP_2) | instskip(SKIP_1) | instid1(VALU_DEP_2)
	v_cndmask_b32_e32 v136, v136, v36, vcc_lo
	v_cmp_eq_u32_e32 vcc_lo, 3, v130
	v_cndmask_b32_e32 v136, v136, v37, vcc_lo
	v_cmp_eq_u32_e32 vcc_lo, 4, v130
	s_delay_alu instid0(VALU_DEP_2) | instskip(SKIP_1) | instid1(VALU_DEP_2)
	v_cndmask_b32_e32 v136, v136, v38, vcc_lo
	v_cmp_eq_u32_e32 vcc_lo, 5, v130
	;; [unrolled: 5-line block ×14, first 2 shown]
	v_cndmask_b32_e32 v136, v136, v63, vcc_lo
	v_cmp_eq_u32_e32 vcc_lo, 30, v130
	s_delay_alu instid0(VALU_DEP_2) | instskip(SKIP_2) | instid1(VALU_DEP_3)
	v_cndmask_b32_e32 v136, v136, v64, vcc_lo
	v_cmp_eq_u32_e32 vcc_lo, 31, v130
	v_add_nc_u64_e32 v[130:131], 1, v[130:131]
	v_cndmask_b32_e32 v136, v136, v65, vcc_lo
	v_cmp_eq_u32_e32 vcc_lo, 0, v132
	s_wait_dscnt 0x0
	s_delay_alu instid0(VALU_DEP_2) | instskip(SKIP_1) | instid1(SALU_CYCLE_1)
	v_fmac_f32_e32 v134, v136, v137
	s_or_b32 s2, vcc_lo, s2
	s_and_not1_b32 exec_lo, exec_lo, s2
	s_cbranch_execnz .LBB95_189
; %bb.190:
	s_or_b32 exec_lo, exec_lo, s2
.LBB95_191:
	s_delay_alu instid0(SALU_CYCLE_1)
	s_or_b32 exec_lo, exec_lo, s1
.LBB95_192:
	s_delay_alu instid0(SALU_CYCLE_1)
	s_or_b32 exec_lo, exec_lo, s5
	v_mov_b32_e32 v52, 0
	ds_load_b32 v52, v52 offset:72
	s_wait_dscnt 0x0
	v_mul_f32_e32 v52, v134, v52
.LBB95_193:
	s_or_b32 exec_lo, exec_lo, s4
	v_cmp_lt_u32_e64 s1, 17, v0
	ds_store_b32 v133, v51
	s_wait_dscnt 0x0
	s_barrier_signal -1
	s_barrier_wait -1
	s_and_saveexec_b32 s4, s1
	s_cbranch_execz .LBB95_209
; %bb.194:
	s_and_not1_b32 vcc_lo, exec_lo, s33
	s_cbranch_vccnz .LBB95_196
; %bb.195:
	v_cmp_eq_u32_e32 vcc_lo, 1, v0
	ds_load_b32 v131, v133
	v_cndmask_b32_e32 v130, v34, v35, vcc_lo
	v_cmp_eq_u32_e32 vcc_lo, 2, v0
	s_delay_alu instid0(VALU_DEP_2) | instskip(SKIP_1) | instid1(VALU_DEP_2)
	v_cndmask_b32_e32 v130, v130, v36, vcc_lo
	v_cmp_eq_u32_e32 vcc_lo, 3, v0
	v_cndmask_b32_e32 v130, v130, v37, vcc_lo
	v_cmp_eq_u32_e32 vcc_lo, 4, v0
	s_delay_alu instid0(VALU_DEP_2) | instskip(SKIP_1) | instid1(VALU_DEP_2)
	v_cndmask_b32_e32 v130, v130, v38, vcc_lo
	v_cmp_eq_u32_e32 vcc_lo, 5, v0
	;; [unrolled: 5-line block ×15, first 2 shown]
	v_cndmask_b32_e32 v130, v130, v65, vcc_lo
	s_wait_dscnt 0x0
	s_delay_alu instid0(VALU_DEP_1)
	v_mul_f32_e32 v134, v130, v131
	s_cbranch_execz .LBB95_197
	s_branch .LBB95_198
.LBB95_196:
                                        ; implicit-def: $vgpr134
.LBB95_197:
	ds_load_b32 v134, v133
.LBB95_198:
	s_and_saveexec_b32 s5, s0
	s_cbranch_execz .LBB95_208
; %bb.199:
	v_subrev_nc_u32_e32 v132, 19, v0
	v_mov_b32_e32 v130, 18
	v_subrev_nc_u32_e32 v131, 18, v0
	s_mov_b32 s0, exec_lo
	s_delay_alu instid0(VALU_DEP_3)
	v_cmpx_lt_u32_e32 6, v132
	s_cbranch_execz .LBB95_203
; %bb.200:
	s_delay_alu instid0(VALU_DEP_2) | instskip(SKIP_3) | instid1(VALU_DEP_1)
	v_and_b32_e32 v130, -8, v131
	s_mov_b32 s6, 0
	s_mov_b64 s[2:3], 25
	s_movk_i32 s7, 0xc8
	v_sub_nc_u32_e32 v132, 0, v130
.LBB95_201:                             ; =>This Inner Loop Header: Depth=1
	s_add_co_i32 m0, s2, -7
	v_movrels_b32_e32 v135, v34
	v_mov_b32_e32 v130, s7
	s_add_co_i32 m0, s2, -6
	s_add_co_i32 s7, s7, 32
	v_movrels_b32_e32 v144, v34
	s_add_co_i32 m0, s2, -5
	ds_load_2addr_b64 v[136:139], v130 offset1:1
	ds_load_2addr_b64 v[140:143], v130 offset0:2 offset1:3
	v_movrels_b32_e32 v130, v34
	s_add_co_i32 m0, s2, -4
	s_wait_dscnt 0x1
	v_fmac_f32_e32 v134, v135, v136
	v_movrels_b32_e32 v135, v34
	s_add_co_i32 m0, s2, -3
	s_delay_alu instid0(VALU_DEP_2) | instskip(NEXT) | instid1(VALU_DEP_1)
	v_fmac_f32_e32 v134, v144, v137
	v_fmac_f32_e32 v134, v130, v138
	v_movrels_b32_e32 v130, v34
	s_add_co_i32 m0, s2, -2
	s_delay_alu instid0(VALU_DEP_2) | instskip(SKIP_3) | instid1(VALU_DEP_2)
	v_fmac_f32_e32 v134, v135, v139
	v_movrels_b32_e32 v135, v34
	s_add_co_i32 m0, s2, -1
	s_wait_dscnt 0x0
	v_fmac_f32_e32 v134, v130, v140
	v_movrels_b32_e32 v130, v34
	s_mov_b32 m0, s2
	s_add_nc_u64 s[2:3], s[2:3], 8
	v_movrels_b32_e32 v136, v34
	v_dual_fmac_f32 v134, v135, v141 :: v_dual_add_nc_u32 v135, s2, v132
	s_add_co_i32 s8, s2, -7
	s_delay_alu instid0(VALU_DEP_1) | instskip(NEXT) | instid1(VALU_DEP_2)
	v_fmac_f32_e32 v134, v130, v142
	v_cmp_eq_u32_e32 vcc_lo, 25, v135
	s_delay_alu instid0(VALU_DEP_2) | instskip(SKIP_1) | instid1(SALU_CYCLE_1)
	v_dual_mov_b32 v130, s8 :: v_dual_fmac_f32 v134, v136, v143
	s_or_b32 s6, vcc_lo, s6
	s_and_not1_b32 exec_lo, exec_lo, s6
	s_cbranch_execnz .LBB95_201
; %bb.202:
	s_or_b32 exec_lo, exec_lo, s6
.LBB95_203:
	s_delay_alu instid0(SALU_CYCLE_1) | instskip(SKIP_3) | instid1(VALU_DEP_1)
	s_or_b32 exec_lo, exec_lo, s0
	v_and_b32_e32 v132, 7, v131
	s_mov_b32 s2, 0
	s_mov_b32 s0, exec_lo
	v_cmpx_ne_u32_e32 0, v132
	s_cbranch_execz .LBB95_207
; %bb.204:
	v_lshl_add_u32 v135, v130, 2, 0x80
	v_mov_b32_e32 v131, 0
.LBB95_205:                             ; =>This Inner Loop Header: Depth=1
	v_cmp_eq_u32_e32 vcc_lo, 1, v130
	ds_load_b32 v137, v135
	v_dual_add_nc_u32 v132, -1, v132 :: v_dual_add_nc_u32 v135, 4, v135
	v_cndmask_b32_e32 v136, v34, v35, vcc_lo
	v_cmp_eq_u32_e32 vcc_lo, 2, v130
	s_delay_alu instid0(VALU_DEP_2) | instskip(SKIP_1) | instid1(VALU_DEP_2)
	v_cndmask_b32_e32 v136, v136, v36, vcc_lo
	v_cmp_eq_u32_e32 vcc_lo, 3, v130
	v_cndmask_b32_e32 v136, v136, v37, vcc_lo
	v_cmp_eq_u32_e32 vcc_lo, 4, v130
	s_delay_alu instid0(VALU_DEP_2) | instskip(SKIP_1) | instid1(VALU_DEP_2)
	v_cndmask_b32_e32 v136, v136, v38, vcc_lo
	v_cmp_eq_u32_e32 vcc_lo, 5, v130
	;; [unrolled: 5-line block ×14, first 2 shown]
	v_cndmask_b32_e32 v136, v136, v63, vcc_lo
	v_cmp_eq_u32_e32 vcc_lo, 30, v130
	s_delay_alu instid0(VALU_DEP_2) | instskip(SKIP_2) | instid1(VALU_DEP_3)
	v_cndmask_b32_e32 v136, v136, v64, vcc_lo
	v_cmp_eq_u32_e32 vcc_lo, 31, v130
	v_add_nc_u64_e32 v[130:131], 1, v[130:131]
	v_cndmask_b32_e32 v136, v136, v65, vcc_lo
	v_cmp_eq_u32_e32 vcc_lo, 0, v132
	s_wait_dscnt 0x0
	s_delay_alu instid0(VALU_DEP_2) | instskip(SKIP_1) | instid1(SALU_CYCLE_1)
	v_fmac_f32_e32 v134, v136, v137
	s_or_b32 s2, vcc_lo, s2
	s_and_not1_b32 exec_lo, exec_lo, s2
	s_cbranch_execnz .LBB95_205
; %bb.206:
	s_or_b32 exec_lo, exec_lo, s2
.LBB95_207:
	s_delay_alu instid0(SALU_CYCLE_1)
	s_or_b32 exec_lo, exec_lo, s0
.LBB95_208:
	s_delay_alu instid0(SALU_CYCLE_1)
	s_or_b32 exec_lo, exec_lo, s5
	v_mov_b32_e32 v51, 0
	ds_load_b32 v51, v51 offset:68
	s_wait_dscnt 0x0
	v_mul_f32_e32 v51, v134, v51
.LBB95_209:
	s_or_b32 exec_lo, exec_lo, s4
	v_cmp_lt_u32_e64 s0, 16, v0
	ds_store_b32 v133, v50
	s_wait_dscnt 0x0
	s_barrier_signal -1
	s_barrier_wait -1
	s_and_saveexec_b32 s4, s0
	s_cbranch_execz .LBB95_225
; %bb.210:
	s_and_not1_b32 vcc_lo, exec_lo, s33
	s_cbranch_vccnz .LBB95_212
; %bb.211:
	v_cmp_eq_u32_e32 vcc_lo, 1, v0
	ds_load_b32 v131, v133
	v_cndmask_b32_e32 v130, v34, v35, vcc_lo
	v_cmp_eq_u32_e32 vcc_lo, 2, v0
	s_delay_alu instid0(VALU_DEP_2) | instskip(SKIP_1) | instid1(VALU_DEP_2)
	v_cndmask_b32_e32 v130, v130, v36, vcc_lo
	v_cmp_eq_u32_e32 vcc_lo, 3, v0
	v_cndmask_b32_e32 v130, v130, v37, vcc_lo
	v_cmp_eq_u32_e32 vcc_lo, 4, v0
	s_delay_alu instid0(VALU_DEP_2) | instskip(SKIP_1) | instid1(VALU_DEP_2)
	v_cndmask_b32_e32 v130, v130, v38, vcc_lo
	v_cmp_eq_u32_e32 vcc_lo, 5, v0
	;; [unrolled: 5-line block ×15, first 2 shown]
	v_cndmask_b32_e32 v130, v130, v65, vcc_lo
	s_wait_dscnt 0x0
	s_delay_alu instid0(VALU_DEP_1)
	v_mul_f32_e32 v134, v130, v131
	s_cbranch_execz .LBB95_213
	s_branch .LBB95_214
.LBB95_212:
                                        ; implicit-def: $vgpr134
.LBB95_213:
	ds_load_b32 v134, v133
.LBB95_214:
	s_and_saveexec_b32 s5, s1
	s_cbranch_execz .LBB95_224
; %bb.215:
	v_subrev_nc_u32_e32 v132, 18, v0
	v_mov_b32_e32 v130, 17
	v_subrev_nc_u32_e32 v131, 17, v0
	s_mov_b32 s1, exec_lo
	s_delay_alu instid0(VALU_DEP_3)
	v_cmpx_lt_u32_e32 6, v132
	s_cbranch_execz .LBB95_219
; %bb.216:
	s_delay_alu instid0(VALU_DEP_2) | instskip(SKIP_3) | instid1(VALU_DEP_1)
	v_and_b32_e32 v130, -8, v131
	s_mov_b32 s6, 0
	s_mov_b64 s[2:3], 24
	s_movk_i32 s7, 0xc4
	v_sub_nc_u32_e32 v132, 0, v130
.LBB95_217:                             ; =>This Inner Loop Header: Depth=1
	s_add_co_i32 m0, s2, -7
	v_movrels_b32_e32 v135, v34
	v_mov_b32_e32 v130, s7
	s_add_co_i32 m0, s2, -6
	s_add_co_i32 s7, s7, 32
	v_movrels_b32_e32 v144, v34
	ds_load_2addr_b32 v[136:137], v130 offset1:1
	ds_load_2addr_b32 v[138:139], v130 offset0:2 offset1:3
	s_add_co_i32 m0, s2, -5
	s_wait_dscnt 0x1
	v_fmac_f32_e32 v134, v135, v136
	ds_load_2addr_b32 v[140:141], v130 offset0:4 offset1:5
	ds_load_2addr_b32 v[142:143], v130 offset0:6 offset1:7
	v_movrels_b32_e32 v130, v34
	s_add_co_i32 m0, s2, -4
	v_fmac_f32_e32 v134, v144, v137
	v_movrels_b32_e32 v135, v34
	s_add_co_i32 m0, s2, -3
	s_wait_dscnt 0x2
	s_delay_alu instid0(VALU_DEP_2) | instskip(SKIP_2) | instid1(VALU_DEP_2)
	v_fmac_f32_e32 v134, v130, v138
	v_movrels_b32_e32 v130, v34
	s_add_co_i32 m0, s2, -2
	v_fmac_f32_e32 v134, v135, v139
	v_movrels_b32_e32 v135, v34
	s_add_co_i32 m0, s2, -1
	s_wait_dscnt 0x1
	s_delay_alu instid0(VALU_DEP_2)
	v_fmac_f32_e32 v134, v130, v140
	v_movrels_b32_e32 v130, v34
	s_mov_b32 m0, s2
	s_add_nc_u64 s[2:3], s[2:3], 8
	v_movrels_b32_e32 v136, v34
	v_dual_fmac_f32 v134, v135, v141 :: v_dual_add_nc_u32 v135, s2, v132
	s_add_co_i32 s8, s2, -7
	s_wait_dscnt 0x0
	s_delay_alu instid0(VALU_DEP_1) | instskip(NEXT) | instid1(VALU_DEP_2)
	v_fmac_f32_e32 v134, v130, v142
	v_cmp_eq_u32_e32 vcc_lo, 24, v135
	s_delay_alu instid0(VALU_DEP_2) | instskip(SKIP_1) | instid1(SALU_CYCLE_1)
	v_dual_mov_b32 v130, s8 :: v_dual_fmac_f32 v134, v136, v143
	s_or_b32 s6, vcc_lo, s6
	s_and_not1_b32 exec_lo, exec_lo, s6
	s_cbranch_execnz .LBB95_217
; %bb.218:
	s_or_b32 exec_lo, exec_lo, s6
.LBB95_219:
	s_delay_alu instid0(SALU_CYCLE_1) | instskip(SKIP_3) | instid1(VALU_DEP_1)
	s_or_b32 exec_lo, exec_lo, s1
	v_and_b32_e32 v132, 7, v131
	s_mov_b32 s2, 0
	s_mov_b32 s1, exec_lo
	v_cmpx_ne_u32_e32 0, v132
	s_cbranch_execz .LBB95_223
; %bb.220:
	v_lshl_add_u32 v135, v130, 2, 0x80
	v_mov_b32_e32 v131, 0
.LBB95_221:                             ; =>This Inner Loop Header: Depth=1
	v_cmp_eq_u32_e32 vcc_lo, 1, v130
	ds_load_b32 v137, v135
	v_dual_add_nc_u32 v132, -1, v132 :: v_dual_add_nc_u32 v135, 4, v135
	v_cndmask_b32_e32 v136, v34, v35, vcc_lo
	v_cmp_eq_u32_e32 vcc_lo, 2, v130
	s_delay_alu instid0(VALU_DEP_2) | instskip(SKIP_1) | instid1(VALU_DEP_2)
	v_cndmask_b32_e32 v136, v136, v36, vcc_lo
	v_cmp_eq_u32_e32 vcc_lo, 3, v130
	v_cndmask_b32_e32 v136, v136, v37, vcc_lo
	v_cmp_eq_u32_e32 vcc_lo, 4, v130
	s_delay_alu instid0(VALU_DEP_2) | instskip(SKIP_1) | instid1(VALU_DEP_2)
	v_cndmask_b32_e32 v136, v136, v38, vcc_lo
	v_cmp_eq_u32_e32 vcc_lo, 5, v130
	;; [unrolled: 5-line block ×14, first 2 shown]
	v_cndmask_b32_e32 v136, v136, v63, vcc_lo
	v_cmp_eq_u32_e32 vcc_lo, 30, v130
	s_delay_alu instid0(VALU_DEP_2) | instskip(SKIP_2) | instid1(VALU_DEP_3)
	v_cndmask_b32_e32 v136, v136, v64, vcc_lo
	v_cmp_eq_u32_e32 vcc_lo, 31, v130
	v_add_nc_u64_e32 v[130:131], 1, v[130:131]
	v_cndmask_b32_e32 v136, v136, v65, vcc_lo
	v_cmp_eq_u32_e32 vcc_lo, 0, v132
	s_wait_dscnt 0x0
	s_delay_alu instid0(VALU_DEP_2) | instskip(SKIP_1) | instid1(SALU_CYCLE_1)
	v_fmac_f32_e32 v134, v136, v137
	s_or_b32 s2, vcc_lo, s2
	s_and_not1_b32 exec_lo, exec_lo, s2
	s_cbranch_execnz .LBB95_221
; %bb.222:
	s_or_b32 exec_lo, exec_lo, s2
.LBB95_223:
	s_delay_alu instid0(SALU_CYCLE_1)
	s_or_b32 exec_lo, exec_lo, s1
.LBB95_224:
	s_delay_alu instid0(SALU_CYCLE_1)
	s_or_b32 exec_lo, exec_lo, s5
	v_mov_b32_e32 v50, 0
	ds_load_b32 v50, v50 offset:64
	s_wait_dscnt 0x0
	v_mul_f32_e32 v50, v134, v50
.LBB95_225:
	s_or_b32 exec_lo, exec_lo, s4
	v_cmp_lt_u32_e64 s1, 15, v0
	ds_store_b32 v133, v49
	s_wait_dscnt 0x0
	s_barrier_signal -1
	s_barrier_wait -1
	s_and_saveexec_b32 s4, s1
	s_cbranch_execz .LBB95_241
; %bb.226:
	s_and_not1_b32 vcc_lo, exec_lo, s33
	s_cbranch_vccnz .LBB95_228
; %bb.227:
	v_cmp_eq_u32_e32 vcc_lo, 1, v0
	ds_load_b32 v131, v133
	v_cndmask_b32_e32 v130, v34, v35, vcc_lo
	v_cmp_eq_u32_e32 vcc_lo, 2, v0
	s_delay_alu instid0(VALU_DEP_2) | instskip(SKIP_1) | instid1(VALU_DEP_2)
	v_cndmask_b32_e32 v130, v130, v36, vcc_lo
	v_cmp_eq_u32_e32 vcc_lo, 3, v0
	v_cndmask_b32_e32 v130, v130, v37, vcc_lo
	v_cmp_eq_u32_e32 vcc_lo, 4, v0
	s_delay_alu instid0(VALU_DEP_2) | instskip(SKIP_1) | instid1(VALU_DEP_2)
	v_cndmask_b32_e32 v130, v130, v38, vcc_lo
	v_cmp_eq_u32_e32 vcc_lo, 5, v0
	;; [unrolled: 5-line block ×15, first 2 shown]
	v_cndmask_b32_e32 v130, v130, v65, vcc_lo
	s_wait_dscnt 0x0
	s_delay_alu instid0(VALU_DEP_1)
	v_mul_f32_e32 v134, v130, v131
	s_cbranch_execz .LBB95_229
	s_branch .LBB95_230
.LBB95_228:
                                        ; implicit-def: $vgpr134
.LBB95_229:
	ds_load_b32 v134, v133
.LBB95_230:
	s_and_saveexec_b32 s5, s0
	s_cbranch_execz .LBB95_240
; %bb.231:
	v_subrev_nc_u32_e32 v130, 17, v0
	s_delay_alu instid0(VALU_DEP_1)
	v_cmp_lt_u32_e32 vcc_lo, 6, v130
	v_mov_b32_e32 v130, 16
	s_and_saveexec_b32 s0, vcc_lo
	s_cbranch_execz .LBB95_235
; %bb.232:
	v_and_b32_e32 v130, 24, v0
	s_mov_b32 s6, 0
	s_mov_b64 s[2:3], 23
	s_movk_i32 s7, 0xc0
	s_delay_alu instid0(VALU_DEP_1)
	v_sub_nc_u32_e32 v132, 0, v130
.LBB95_233:                             ; =>This Inner Loop Header: Depth=1
	s_add_co_i32 m0, s2, -7
	v_movrels_b32_e32 v131, v34
	v_mov_b32_e32 v130, s7
	s_add_co_i32 m0, s2, -6
	s_add_co_i32 s7, s7, 32
	v_movrels_b32_e32 v135, v34
	s_add_co_i32 m0, s2, -5
	ds_load_b128 v[136:139], v130
	ds_load_b128 v[140:143], v130 offset:16
	v_movrels_b32_e32 v130, v34
	s_add_co_i32 m0, s2, -4
	s_wait_dscnt 0x1
	v_fmac_f32_e32 v134, v131, v136
	v_movrels_b32_e32 v131, v34
	s_add_co_i32 m0, s2, -3
	s_delay_alu instid0(VALU_DEP_2) | instskip(NEXT) | instid1(VALU_DEP_1)
	v_fmac_f32_e32 v134, v135, v137
	v_fmac_f32_e32 v134, v130, v138
	v_movrels_b32_e32 v130, v34
	s_add_co_i32 m0, s2, -2
	s_delay_alu instid0(VALU_DEP_2) | instskip(SKIP_3) | instid1(VALU_DEP_2)
	v_fmac_f32_e32 v134, v131, v139
	v_movrels_b32_e32 v131, v34
	s_add_co_i32 m0, s2, -1
	s_wait_dscnt 0x0
	v_fmac_f32_e32 v134, v130, v140
	v_movrels_b32_e32 v130, v34
	s_mov_b32 m0, s2
	s_add_nc_u64 s[2:3], s[2:3], 8
	v_movrels_b32_e32 v135, v34
	v_dual_fmac_f32 v134, v131, v141 :: v_dual_add_nc_u32 v131, s2, v132
	s_add_co_i32 s8, s2, -7
	s_delay_alu instid0(VALU_DEP_1) | instskip(NEXT) | instid1(VALU_DEP_2)
	v_fmac_f32_e32 v134, v130, v142
	v_cmp_eq_u32_e32 vcc_lo, 7, v131
	s_delay_alu instid0(VALU_DEP_2) | instskip(SKIP_1) | instid1(SALU_CYCLE_1)
	v_dual_mov_b32 v130, s8 :: v_dual_fmac_f32 v134, v135, v143
	s_or_b32 s6, vcc_lo, s6
	s_and_not1_b32 exec_lo, exec_lo, s6
	s_cbranch_execnz .LBB95_233
; %bb.234:
	s_or_b32 exec_lo, exec_lo, s6
.LBB95_235:
	s_delay_alu instid0(SALU_CYCLE_1) | instskip(SKIP_3) | instid1(VALU_DEP_1)
	s_or_b32 exec_lo, exec_lo, s0
	v_and_b32_e32 v132, 7, v0
	s_mov_b32 s2, 0
	s_mov_b32 s0, exec_lo
	v_cmpx_ne_u32_e32 0, v132
	s_cbranch_execz .LBB95_239
; %bb.236:
	v_lshl_add_u32 v135, v130, 2, 0x80
	v_mov_b32_e32 v131, 0
.LBB95_237:                             ; =>This Inner Loop Header: Depth=1
	v_cmp_eq_u32_e32 vcc_lo, 1, v130
	ds_load_b32 v137, v135
	v_dual_add_nc_u32 v132, -1, v132 :: v_dual_add_nc_u32 v135, 4, v135
	v_cndmask_b32_e32 v136, v34, v35, vcc_lo
	v_cmp_eq_u32_e32 vcc_lo, 2, v130
	s_delay_alu instid0(VALU_DEP_2) | instskip(SKIP_1) | instid1(VALU_DEP_2)
	v_cndmask_b32_e32 v136, v136, v36, vcc_lo
	v_cmp_eq_u32_e32 vcc_lo, 3, v130
	v_cndmask_b32_e32 v136, v136, v37, vcc_lo
	v_cmp_eq_u32_e32 vcc_lo, 4, v130
	s_delay_alu instid0(VALU_DEP_2) | instskip(SKIP_1) | instid1(VALU_DEP_2)
	v_cndmask_b32_e32 v136, v136, v38, vcc_lo
	v_cmp_eq_u32_e32 vcc_lo, 5, v130
	;; [unrolled: 5-line block ×14, first 2 shown]
	v_cndmask_b32_e32 v136, v136, v63, vcc_lo
	v_cmp_eq_u32_e32 vcc_lo, 30, v130
	s_delay_alu instid0(VALU_DEP_2) | instskip(SKIP_2) | instid1(VALU_DEP_3)
	v_cndmask_b32_e32 v136, v136, v64, vcc_lo
	v_cmp_eq_u32_e32 vcc_lo, 31, v130
	v_add_nc_u64_e32 v[130:131], 1, v[130:131]
	v_cndmask_b32_e32 v136, v136, v65, vcc_lo
	v_cmp_eq_u32_e32 vcc_lo, 0, v132
	s_wait_dscnt 0x0
	s_delay_alu instid0(VALU_DEP_2) | instskip(SKIP_1) | instid1(SALU_CYCLE_1)
	v_fmac_f32_e32 v134, v136, v137
	s_or_b32 s2, vcc_lo, s2
	s_and_not1_b32 exec_lo, exec_lo, s2
	s_cbranch_execnz .LBB95_237
; %bb.238:
	s_or_b32 exec_lo, exec_lo, s2
.LBB95_239:
	s_delay_alu instid0(SALU_CYCLE_1)
	s_or_b32 exec_lo, exec_lo, s0
.LBB95_240:
	s_delay_alu instid0(SALU_CYCLE_1)
	s_or_b32 exec_lo, exec_lo, s5
	v_mov_b32_e32 v49, 0
	ds_load_b32 v49, v49 offset:60
	s_wait_dscnt 0x0
	v_mul_f32_e32 v49, v134, v49
.LBB95_241:
	s_or_b32 exec_lo, exec_lo, s4
	v_cmp_lt_u32_e64 s0, 14, v0
	ds_store_b32 v133, v48
	s_wait_dscnt 0x0
	s_barrier_signal -1
	s_barrier_wait -1
	s_and_saveexec_b32 s4, s0
	s_cbranch_execz .LBB95_257
; %bb.242:
	s_and_not1_b32 vcc_lo, exec_lo, s33
	s_cbranch_vccnz .LBB95_244
; %bb.243:
	v_cmp_eq_u32_e32 vcc_lo, 1, v0
	ds_load_b32 v131, v133
	v_cndmask_b32_e32 v130, v34, v35, vcc_lo
	v_cmp_eq_u32_e32 vcc_lo, 2, v0
	s_delay_alu instid0(VALU_DEP_2) | instskip(SKIP_1) | instid1(VALU_DEP_2)
	v_cndmask_b32_e32 v130, v130, v36, vcc_lo
	v_cmp_eq_u32_e32 vcc_lo, 3, v0
	v_cndmask_b32_e32 v130, v130, v37, vcc_lo
	v_cmp_eq_u32_e32 vcc_lo, 4, v0
	s_delay_alu instid0(VALU_DEP_2) | instskip(SKIP_1) | instid1(VALU_DEP_2)
	v_cndmask_b32_e32 v130, v130, v38, vcc_lo
	v_cmp_eq_u32_e32 vcc_lo, 5, v0
	;; [unrolled: 5-line block ×15, first 2 shown]
	v_cndmask_b32_e32 v130, v130, v65, vcc_lo
	s_wait_dscnt 0x0
	s_delay_alu instid0(VALU_DEP_1)
	v_mul_f32_e32 v134, v130, v131
	s_cbranch_execz .LBB95_245
	s_branch .LBB95_246
.LBB95_244:
                                        ; implicit-def: $vgpr134
.LBB95_245:
	ds_load_b32 v134, v133
.LBB95_246:
	s_and_saveexec_b32 s5, s1
	s_cbranch_execz .LBB95_256
; %bb.247:
	v_dual_add_nc_u32 v130, -16, v0 :: v_dual_add_nc_u32 v131, -15, v0
	s_delay_alu instid0(VALU_DEP_1)
	v_cmp_lt_u32_e32 vcc_lo, 6, v130
	v_mov_b32_e32 v130, 15
	s_and_saveexec_b32 s1, vcc_lo
	s_cbranch_execz .LBB95_251
; %bb.248:
	v_and_b32_e32 v130, -8, v131
	s_mov_b32 s6, 0
	s_mov_b64 s[2:3], 22
	s_movk_i32 s7, 0xbc
	s_delay_alu instid0(VALU_DEP_1)
	v_sub_nc_u32_e32 v132, 0, v130
.LBB95_249:                             ; =>This Inner Loop Header: Depth=1
	s_add_co_i32 m0, s2, -7
	v_movrels_b32_e32 v135, v34
	v_mov_b32_e32 v130, s7
	s_add_co_i32 m0, s2, -6
	s_add_co_i32 s7, s7, 32
	v_movrels_b32_e32 v144, v34
	ds_load_2addr_b32 v[136:137], v130 offset1:1
	ds_load_2addr_b32 v[138:139], v130 offset0:2 offset1:3
	s_add_co_i32 m0, s2, -5
	s_wait_dscnt 0x1
	v_fmac_f32_e32 v134, v135, v136
	ds_load_2addr_b32 v[140:141], v130 offset0:4 offset1:5
	ds_load_2addr_b32 v[142:143], v130 offset0:6 offset1:7
	v_movrels_b32_e32 v130, v34
	s_add_co_i32 m0, s2, -4
	v_fmac_f32_e32 v134, v144, v137
	v_movrels_b32_e32 v135, v34
	s_add_co_i32 m0, s2, -3
	s_wait_dscnt 0x2
	s_delay_alu instid0(VALU_DEP_2) | instskip(SKIP_2) | instid1(VALU_DEP_2)
	v_fmac_f32_e32 v134, v130, v138
	v_movrels_b32_e32 v130, v34
	s_add_co_i32 m0, s2, -2
	v_fmac_f32_e32 v134, v135, v139
	v_movrels_b32_e32 v135, v34
	s_add_co_i32 m0, s2, -1
	s_wait_dscnt 0x1
	s_delay_alu instid0(VALU_DEP_2)
	v_fmac_f32_e32 v134, v130, v140
	v_movrels_b32_e32 v130, v34
	s_mov_b32 m0, s2
	s_add_nc_u64 s[2:3], s[2:3], 8
	v_movrels_b32_e32 v136, v34
	v_dual_fmac_f32 v134, v135, v141 :: v_dual_add_nc_u32 v135, s2, v132
	s_add_co_i32 s8, s2, -7
	s_wait_dscnt 0x0
	s_delay_alu instid0(VALU_DEP_1) | instskip(NEXT) | instid1(VALU_DEP_2)
	v_fmac_f32_e32 v134, v130, v142
	v_cmp_eq_u32_e32 vcc_lo, 22, v135
	s_delay_alu instid0(VALU_DEP_2) | instskip(SKIP_1) | instid1(SALU_CYCLE_1)
	v_dual_mov_b32 v130, s8 :: v_dual_fmac_f32 v134, v136, v143
	s_or_b32 s6, vcc_lo, s6
	s_and_not1_b32 exec_lo, exec_lo, s6
	s_cbranch_execnz .LBB95_249
; %bb.250:
	s_or_b32 exec_lo, exec_lo, s6
.LBB95_251:
	s_delay_alu instid0(SALU_CYCLE_1) | instskip(SKIP_3) | instid1(VALU_DEP_1)
	s_or_b32 exec_lo, exec_lo, s1
	v_and_b32_e32 v132, 7, v131
	s_mov_b32 s2, 0
	s_mov_b32 s1, exec_lo
	v_cmpx_ne_u32_e32 0, v132
	s_cbranch_execz .LBB95_255
; %bb.252:
	v_lshl_add_u32 v135, v130, 2, 0x80
	v_mov_b32_e32 v131, 0
.LBB95_253:                             ; =>This Inner Loop Header: Depth=1
	v_cmp_eq_u32_e32 vcc_lo, 1, v130
	ds_load_b32 v137, v135
	v_dual_add_nc_u32 v132, -1, v132 :: v_dual_add_nc_u32 v135, 4, v135
	v_cndmask_b32_e32 v136, v34, v35, vcc_lo
	v_cmp_eq_u32_e32 vcc_lo, 2, v130
	s_delay_alu instid0(VALU_DEP_2) | instskip(SKIP_1) | instid1(VALU_DEP_2)
	v_cndmask_b32_e32 v136, v136, v36, vcc_lo
	v_cmp_eq_u32_e32 vcc_lo, 3, v130
	v_cndmask_b32_e32 v136, v136, v37, vcc_lo
	v_cmp_eq_u32_e32 vcc_lo, 4, v130
	s_delay_alu instid0(VALU_DEP_2) | instskip(SKIP_1) | instid1(VALU_DEP_2)
	v_cndmask_b32_e32 v136, v136, v38, vcc_lo
	v_cmp_eq_u32_e32 vcc_lo, 5, v130
	;; [unrolled: 5-line block ×14, first 2 shown]
	v_cndmask_b32_e32 v136, v136, v63, vcc_lo
	v_cmp_eq_u32_e32 vcc_lo, 30, v130
	s_delay_alu instid0(VALU_DEP_2) | instskip(SKIP_2) | instid1(VALU_DEP_3)
	v_cndmask_b32_e32 v136, v136, v64, vcc_lo
	v_cmp_eq_u32_e32 vcc_lo, 31, v130
	v_add_nc_u64_e32 v[130:131], 1, v[130:131]
	v_cndmask_b32_e32 v136, v136, v65, vcc_lo
	v_cmp_eq_u32_e32 vcc_lo, 0, v132
	s_wait_dscnt 0x0
	s_delay_alu instid0(VALU_DEP_2) | instskip(SKIP_1) | instid1(SALU_CYCLE_1)
	v_fmac_f32_e32 v134, v136, v137
	s_or_b32 s2, vcc_lo, s2
	s_and_not1_b32 exec_lo, exec_lo, s2
	s_cbranch_execnz .LBB95_253
; %bb.254:
	s_or_b32 exec_lo, exec_lo, s2
.LBB95_255:
	s_delay_alu instid0(SALU_CYCLE_1)
	s_or_b32 exec_lo, exec_lo, s1
.LBB95_256:
	s_delay_alu instid0(SALU_CYCLE_1)
	s_or_b32 exec_lo, exec_lo, s5
	v_mov_b32_e32 v48, 0
	ds_load_b32 v48, v48 offset:56
	s_wait_dscnt 0x0
	v_mul_f32_e32 v48, v134, v48
.LBB95_257:
	s_or_b32 exec_lo, exec_lo, s4
	v_cmp_lt_u32_e64 s1, 13, v0
	ds_store_b32 v133, v47
	s_wait_dscnt 0x0
	s_barrier_signal -1
	s_barrier_wait -1
	s_and_saveexec_b32 s4, s1
	s_cbranch_execz .LBB95_273
; %bb.258:
	s_and_not1_b32 vcc_lo, exec_lo, s33
	s_cbranch_vccnz .LBB95_260
; %bb.259:
	v_cmp_eq_u32_e32 vcc_lo, 1, v0
	ds_load_b32 v131, v133
	v_cndmask_b32_e32 v130, v34, v35, vcc_lo
	v_cmp_eq_u32_e32 vcc_lo, 2, v0
	s_delay_alu instid0(VALU_DEP_2) | instskip(SKIP_1) | instid1(VALU_DEP_2)
	v_cndmask_b32_e32 v130, v130, v36, vcc_lo
	v_cmp_eq_u32_e32 vcc_lo, 3, v0
	v_cndmask_b32_e32 v130, v130, v37, vcc_lo
	v_cmp_eq_u32_e32 vcc_lo, 4, v0
	s_delay_alu instid0(VALU_DEP_2) | instskip(SKIP_1) | instid1(VALU_DEP_2)
	v_cndmask_b32_e32 v130, v130, v38, vcc_lo
	v_cmp_eq_u32_e32 vcc_lo, 5, v0
	;; [unrolled: 5-line block ×15, first 2 shown]
	v_cndmask_b32_e32 v130, v130, v65, vcc_lo
	s_wait_dscnt 0x0
	s_delay_alu instid0(VALU_DEP_1)
	v_mul_f32_e32 v134, v130, v131
	s_cbranch_execz .LBB95_261
	s_branch .LBB95_262
.LBB95_260:
                                        ; implicit-def: $vgpr134
.LBB95_261:
	ds_load_b32 v134, v133
.LBB95_262:
	s_and_saveexec_b32 s5, s0
	s_cbranch_execz .LBB95_272
; %bb.263:
	v_dual_add_nc_u32 v130, -15, v0 :: v_dual_add_nc_u32 v131, -14, v0
	s_delay_alu instid0(VALU_DEP_1)
	v_cmp_lt_u32_e32 vcc_lo, 6, v130
	v_mov_b32_e32 v130, 14
	s_and_saveexec_b32 s0, vcc_lo
	s_cbranch_execz .LBB95_267
; %bb.264:
	v_and_b32_e32 v130, -8, v131
	s_mov_b32 s6, 0
	s_mov_b64 s[2:3], 21
	s_movk_i32 s7, 0xb8
	s_delay_alu instid0(VALU_DEP_1)
	v_sub_nc_u32_e32 v132, 0, v130
.LBB95_265:                             ; =>This Inner Loop Header: Depth=1
	s_add_co_i32 m0, s2, -7
	v_movrels_b32_e32 v135, v34
	v_mov_b32_e32 v130, s7
	s_add_co_i32 m0, s2, -6
	s_add_co_i32 s7, s7, 32
	v_movrels_b32_e32 v144, v34
	s_add_co_i32 m0, s2, -5
	ds_load_2addr_b64 v[136:139], v130 offset1:1
	ds_load_2addr_b64 v[140:143], v130 offset0:2 offset1:3
	v_movrels_b32_e32 v130, v34
	s_add_co_i32 m0, s2, -4
	s_wait_dscnt 0x1
	v_fmac_f32_e32 v134, v135, v136
	v_movrels_b32_e32 v135, v34
	s_add_co_i32 m0, s2, -3
	s_delay_alu instid0(VALU_DEP_2) | instskip(NEXT) | instid1(VALU_DEP_1)
	v_fmac_f32_e32 v134, v144, v137
	v_fmac_f32_e32 v134, v130, v138
	v_movrels_b32_e32 v130, v34
	s_add_co_i32 m0, s2, -2
	s_delay_alu instid0(VALU_DEP_2) | instskip(SKIP_3) | instid1(VALU_DEP_2)
	v_fmac_f32_e32 v134, v135, v139
	v_movrels_b32_e32 v135, v34
	s_add_co_i32 m0, s2, -1
	s_wait_dscnt 0x0
	v_fmac_f32_e32 v134, v130, v140
	v_movrels_b32_e32 v130, v34
	s_mov_b32 m0, s2
	s_add_nc_u64 s[2:3], s[2:3], 8
	v_movrels_b32_e32 v136, v34
	v_dual_fmac_f32 v134, v135, v141 :: v_dual_add_nc_u32 v135, s2, v132
	s_add_co_i32 s8, s2, -7
	s_delay_alu instid0(VALU_DEP_1) | instskip(NEXT) | instid1(VALU_DEP_2)
	v_fmac_f32_e32 v134, v130, v142
	v_cmp_eq_u32_e32 vcc_lo, 21, v135
	s_delay_alu instid0(VALU_DEP_2) | instskip(SKIP_1) | instid1(SALU_CYCLE_1)
	v_dual_mov_b32 v130, s8 :: v_dual_fmac_f32 v134, v136, v143
	s_or_b32 s6, vcc_lo, s6
	s_and_not1_b32 exec_lo, exec_lo, s6
	s_cbranch_execnz .LBB95_265
; %bb.266:
	s_or_b32 exec_lo, exec_lo, s6
.LBB95_267:
	s_delay_alu instid0(SALU_CYCLE_1) | instskip(SKIP_3) | instid1(VALU_DEP_1)
	s_or_b32 exec_lo, exec_lo, s0
	v_and_b32_e32 v132, 7, v131
	s_mov_b32 s2, 0
	s_mov_b32 s0, exec_lo
	v_cmpx_ne_u32_e32 0, v132
	s_cbranch_execz .LBB95_271
; %bb.268:
	v_lshl_add_u32 v135, v130, 2, 0x80
	v_mov_b32_e32 v131, 0
.LBB95_269:                             ; =>This Inner Loop Header: Depth=1
	v_cmp_eq_u32_e32 vcc_lo, 1, v130
	ds_load_b32 v137, v135
	v_dual_add_nc_u32 v132, -1, v132 :: v_dual_add_nc_u32 v135, 4, v135
	v_cndmask_b32_e32 v136, v34, v35, vcc_lo
	v_cmp_eq_u32_e32 vcc_lo, 2, v130
	s_delay_alu instid0(VALU_DEP_2) | instskip(SKIP_1) | instid1(VALU_DEP_2)
	v_cndmask_b32_e32 v136, v136, v36, vcc_lo
	v_cmp_eq_u32_e32 vcc_lo, 3, v130
	v_cndmask_b32_e32 v136, v136, v37, vcc_lo
	v_cmp_eq_u32_e32 vcc_lo, 4, v130
	s_delay_alu instid0(VALU_DEP_2) | instskip(SKIP_1) | instid1(VALU_DEP_2)
	v_cndmask_b32_e32 v136, v136, v38, vcc_lo
	v_cmp_eq_u32_e32 vcc_lo, 5, v130
	;; [unrolled: 5-line block ×14, first 2 shown]
	v_cndmask_b32_e32 v136, v136, v63, vcc_lo
	v_cmp_eq_u32_e32 vcc_lo, 30, v130
	s_delay_alu instid0(VALU_DEP_2) | instskip(SKIP_2) | instid1(VALU_DEP_3)
	v_cndmask_b32_e32 v136, v136, v64, vcc_lo
	v_cmp_eq_u32_e32 vcc_lo, 31, v130
	v_add_nc_u64_e32 v[130:131], 1, v[130:131]
	v_cndmask_b32_e32 v136, v136, v65, vcc_lo
	v_cmp_eq_u32_e32 vcc_lo, 0, v132
	s_wait_dscnt 0x0
	s_delay_alu instid0(VALU_DEP_2) | instskip(SKIP_1) | instid1(SALU_CYCLE_1)
	v_fmac_f32_e32 v134, v136, v137
	s_or_b32 s2, vcc_lo, s2
	s_and_not1_b32 exec_lo, exec_lo, s2
	s_cbranch_execnz .LBB95_269
; %bb.270:
	s_or_b32 exec_lo, exec_lo, s2
.LBB95_271:
	s_delay_alu instid0(SALU_CYCLE_1)
	s_or_b32 exec_lo, exec_lo, s0
.LBB95_272:
	s_delay_alu instid0(SALU_CYCLE_1)
	s_or_b32 exec_lo, exec_lo, s5
	v_mov_b32_e32 v47, 0
	ds_load_b32 v47, v47 offset:52
	s_wait_dscnt 0x0
	v_mul_f32_e32 v47, v134, v47
.LBB95_273:
	s_or_b32 exec_lo, exec_lo, s4
	v_cmp_lt_u32_e64 s0, 12, v0
	ds_store_b32 v133, v46
	s_wait_dscnt 0x0
	s_barrier_signal -1
	s_barrier_wait -1
	s_and_saveexec_b32 s4, s0
	s_cbranch_execz .LBB95_289
; %bb.274:
	s_and_not1_b32 vcc_lo, exec_lo, s33
	s_cbranch_vccnz .LBB95_276
; %bb.275:
	v_cmp_eq_u32_e32 vcc_lo, 1, v0
	ds_load_b32 v131, v133
	v_cndmask_b32_e32 v130, v34, v35, vcc_lo
	v_cmp_eq_u32_e32 vcc_lo, 2, v0
	s_delay_alu instid0(VALU_DEP_2) | instskip(SKIP_1) | instid1(VALU_DEP_2)
	v_cndmask_b32_e32 v130, v130, v36, vcc_lo
	v_cmp_eq_u32_e32 vcc_lo, 3, v0
	v_cndmask_b32_e32 v130, v130, v37, vcc_lo
	v_cmp_eq_u32_e32 vcc_lo, 4, v0
	s_delay_alu instid0(VALU_DEP_2) | instskip(SKIP_1) | instid1(VALU_DEP_2)
	v_cndmask_b32_e32 v130, v130, v38, vcc_lo
	v_cmp_eq_u32_e32 vcc_lo, 5, v0
	;; [unrolled: 5-line block ×15, first 2 shown]
	v_cndmask_b32_e32 v130, v130, v65, vcc_lo
	s_wait_dscnt 0x0
	s_delay_alu instid0(VALU_DEP_1)
	v_mul_f32_e32 v134, v130, v131
	s_cbranch_execz .LBB95_277
	s_branch .LBB95_278
.LBB95_276:
                                        ; implicit-def: $vgpr134
.LBB95_277:
	ds_load_b32 v134, v133
.LBB95_278:
	s_and_saveexec_b32 s5, s1
	s_cbranch_execz .LBB95_288
; %bb.279:
	v_dual_add_nc_u32 v130, -14, v0 :: v_dual_add_nc_u32 v131, -13, v0
	s_delay_alu instid0(VALU_DEP_1)
	v_cmp_lt_u32_e32 vcc_lo, 6, v130
	v_mov_b32_e32 v130, 13
	s_and_saveexec_b32 s1, vcc_lo
	s_cbranch_execz .LBB95_283
; %bb.280:
	v_and_b32_e32 v130, -8, v131
	s_mov_b32 s6, 0
	s_mov_b64 s[2:3], 20
	s_movk_i32 s7, 0xb4
	s_delay_alu instid0(VALU_DEP_1)
	v_sub_nc_u32_e32 v132, 0, v130
.LBB95_281:                             ; =>This Inner Loop Header: Depth=1
	s_add_co_i32 m0, s2, -7
	v_movrels_b32_e32 v135, v34
	v_mov_b32_e32 v130, s7
	s_add_co_i32 m0, s2, -6
	s_add_co_i32 s7, s7, 32
	v_movrels_b32_e32 v144, v34
	ds_load_2addr_b32 v[136:137], v130 offset1:1
	ds_load_2addr_b32 v[138:139], v130 offset0:2 offset1:3
	s_add_co_i32 m0, s2, -5
	s_wait_dscnt 0x1
	v_fmac_f32_e32 v134, v135, v136
	ds_load_2addr_b32 v[140:141], v130 offset0:4 offset1:5
	ds_load_2addr_b32 v[142:143], v130 offset0:6 offset1:7
	v_movrels_b32_e32 v130, v34
	s_add_co_i32 m0, s2, -4
	v_fmac_f32_e32 v134, v144, v137
	v_movrels_b32_e32 v135, v34
	s_add_co_i32 m0, s2, -3
	s_wait_dscnt 0x2
	s_delay_alu instid0(VALU_DEP_2) | instskip(SKIP_2) | instid1(VALU_DEP_2)
	v_fmac_f32_e32 v134, v130, v138
	v_movrels_b32_e32 v130, v34
	s_add_co_i32 m0, s2, -2
	v_fmac_f32_e32 v134, v135, v139
	v_movrels_b32_e32 v135, v34
	s_add_co_i32 m0, s2, -1
	s_wait_dscnt 0x1
	s_delay_alu instid0(VALU_DEP_2)
	v_fmac_f32_e32 v134, v130, v140
	v_movrels_b32_e32 v130, v34
	s_mov_b32 m0, s2
	s_add_nc_u64 s[2:3], s[2:3], 8
	v_movrels_b32_e32 v136, v34
	v_dual_fmac_f32 v134, v135, v141 :: v_dual_add_nc_u32 v135, s2, v132
	s_add_co_i32 s8, s2, -7
	s_wait_dscnt 0x0
	s_delay_alu instid0(VALU_DEP_1) | instskip(NEXT) | instid1(VALU_DEP_2)
	v_fmac_f32_e32 v134, v130, v142
	v_cmp_eq_u32_e32 vcc_lo, 20, v135
	s_delay_alu instid0(VALU_DEP_2) | instskip(SKIP_1) | instid1(SALU_CYCLE_1)
	v_dual_mov_b32 v130, s8 :: v_dual_fmac_f32 v134, v136, v143
	s_or_b32 s6, vcc_lo, s6
	s_and_not1_b32 exec_lo, exec_lo, s6
	s_cbranch_execnz .LBB95_281
; %bb.282:
	s_or_b32 exec_lo, exec_lo, s6
.LBB95_283:
	s_delay_alu instid0(SALU_CYCLE_1) | instskip(SKIP_3) | instid1(VALU_DEP_1)
	s_or_b32 exec_lo, exec_lo, s1
	v_and_b32_e32 v132, 7, v131
	s_mov_b32 s2, 0
	s_mov_b32 s1, exec_lo
	v_cmpx_ne_u32_e32 0, v132
	s_cbranch_execz .LBB95_287
; %bb.284:
	v_lshl_add_u32 v135, v130, 2, 0x80
	v_mov_b32_e32 v131, 0
.LBB95_285:                             ; =>This Inner Loop Header: Depth=1
	v_cmp_eq_u32_e32 vcc_lo, 1, v130
	ds_load_b32 v137, v135
	v_dual_add_nc_u32 v132, -1, v132 :: v_dual_add_nc_u32 v135, 4, v135
	v_cndmask_b32_e32 v136, v34, v35, vcc_lo
	v_cmp_eq_u32_e32 vcc_lo, 2, v130
	s_delay_alu instid0(VALU_DEP_2) | instskip(SKIP_1) | instid1(VALU_DEP_2)
	v_cndmask_b32_e32 v136, v136, v36, vcc_lo
	v_cmp_eq_u32_e32 vcc_lo, 3, v130
	v_cndmask_b32_e32 v136, v136, v37, vcc_lo
	v_cmp_eq_u32_e32 vcc_lo, 4, v130
	s_delay_alu instid0(VALU_DEP_2) | instskip(SKIP_1) | instid1(VALU_DEP_2)
	v_cndmask_b32_e32 v136, v136, v38, vcc_lo
	v_cmp_eq_u32_e32 vcc_lo, 5, v130
	;; [unrolled: 5-line block ×14, first 2 shown]
	v_cndmask_b32_e32 v136, v136, v63, vcc_lo
	v_cmp_eq_u32_e32 vcc_lo, 30, v130
	s_delay_alu instid0(VALU_DEP_2) | instskip(SKIP_2) | instid1(VALU_DEP_3)
	v_cndmask_b32_e32 v136, v136, v64, vcc_lo
	v_cmp_eq_u32_e32 vcc_lo, 31, v130
	v_add_nc_u64_e32 v[130:131], 1, v[130:131]
	v_cndmask_b32_e32 v136, v136, v65, vcc_lo
	v_cmp_eq_u32_e32 vcc_lo, 0, v132
	s_wait_dscnt 0x0
	s_delay_alu instid0(VALU_DEP_2) | instskip(SKIP_1) | instid1(SALU_CYCLE_1)
	v_fmac_f32_e32 v134, v136, v137
	s_or_b32 s2, vcc_lo, s2
	s_and_not1_b32 exec_lo, exec_lo, s2
	s_cbranch_execnz .LBB95_285
; %bb.286:
	s_or_b32 exec_lo, exec_lo, s2
.LBB95_287:
	s_delay_alu instid0(SALU_CYCLE_1)
	s_or_b32 exec_lo, exec_lo, s1
.LBB95_288:
	s_delay_alu instid0(SALU_CYCLE_1)
	s_or_b32 exec_lo, exec_lo, s5
	v_mov_b32_e32 v46, 0
	ds_load_b32 v46, v46 offset:48
	s_wait_dscnt 0x0
	v_mul_f32_e32 v46, v134, v46
.LBB95_289:
	s_or_b32 exec_lo, exec_lo, s4
	v_cmp_lt_u32_e64 s1, 11, v0
	ds_store_b32 v133, v45
	s_wait_dscnt 0x0
	s_barrier_signal -1
	s_barrier_wait -1
	s_and_saveexec_b32 s4, s1
	s_cbranch_execz .LBB95_305
; %bb.290:
	s_and_not1_b32 vcc_lo, exec_lo, s33
	s_cbranch_vccnz .LBB95_292
; %bb.291:
	v_cmp_eq_u32_e32 vcc_lo, 1, v0
	ds_load_b32 v131, v133
	v_cndmask_b32_e32 v130, v34, v35, vcc_lo
	v_cmp_eq_u32_e32 vcc_lo, 2, v0
	s_delay_alu instid0(VALU_DEP_2) | instskip(SKIP_1) | instid1(VALU_DEP_2)
	v_cndmask_b32_e32 v130, v130, v36, vcc_lo
	v_cmp_eq_u32_e32 vcc_lo, 3, v0
	v_cndmask_b32_e32 v130, v130, v37, vcc_lo
	v_cmp_eq_u32_e32 vcc_lo, 4, v0
	s_delay_alu instid0(VALU_DEP_2) | instskip(SKIP_1) | instid1(VALU_DEP_2)
	v_cndmask_b32_e32 v130, v130, v38, vcc_lo
	v_cmp_eq_u32_e32 vcc_lo, 5, v0
	;; [unrolled: 5-line block ×15, first 2 shown]
	v_cndmask_b32_e32 v130, v130, v65, vcc_lo
	s_wait_dscnt 0x0
	s_delay_alu instid0(VALU_DEP_1)
	v_mul_f32_e32 v134, v130, v131
	s_cbranch_execz .LBB95_293
	s_branch .LBB95_294
.LBB95_292:
                                        ; implicit-def: $vgpr134
.LBB95_293:
	ds_load_b32 v134, v133
.LBB95_294:
	s_and_saveexec_b32 s5, s0
	s_cbranch_execz .LBB95_304
; %bb.295:
	v_dual_add_nc_u32 v130, -13, v0 :: v_dual_add_nc_u32 v131, -12, v0
	s_delay_alu instid0(VALU_DEP_1)
	v_cmp_lt_u32_e32 vcc_lo, 6, v130
	v_mov_b32_e32 v130, 12
	s_and_saveexec_b32 s0, vcc_lo
	s_cbranch_execz .LBB95_299
; %bb.296:
	v_and_b32_e32 v130, -8, v131
	s_mov_b32 s6, 0
	s_mov_b64 s[2:3], 19
	s_movk_i32 s7, 0xb0
	s_delay_alu instid0(VALU_DEP_1)
	v_sub_nc_u32_e32 v132, 0, v130
.LBB95_297:                             ; =>This Inner Loop Header: Depth=1
	s_add_co_i32 m0, s2, -7
	v_movrels_b32_e32 v135, v34
	v_mov_b32_e32 v130, s7
	s_add_co_i32 m0, s2, -6
	s_add_co_i32 s7, s7, 32
	v_movrels_b32_e32 v144, v34
	s_add_co_i32 m0, s2, -5
	ds_load_b128 v[136:139], v130
	ds_load_b128 v[140:143], v130 offset:16
	v_movrels_b32_e32 v130, v34
	s_add_co_i32 m0, s2, -4
	s_wait_dscnt 0x1
	v_fmac_f32_e32 v134, v135, v136
	v_movrels_b32_e32 v135, v34
	s_add_co_i32 m0, s2, -3
	s_delay_alu instid0(VALU_DEP_2) | instskip(NEXT) | instid1(VALU_DEP_1)
	v_fmac_f32_e32 v134, v144, v137
	v_fmac_f32_e32 v134, v130, v138
	v_movrels_b32_e32 v130, v34
	s_add_co_i32 m0, s2, -2
	s_delay_alu instid0(VALU_DEP_2) | instskip(SKIP_3) | instid1(VALU_DEP_2)
	v_fmac_f32_e32 v134, v135, v139
	v_movrels_b32_e32 v135, v34
	s_add_co_i32 m0, s2, -1
	s_wait_dscnt 0x0
	v_fmac_f32_e32 v134, v130, v140
	v_movrels_b32_e32 v130, v34
	s_mov_b32 m0, s2
	s_add_nc_u64 s[2:3], s[2:3], 8
	v_movrels_b32_e32 v136, v34
	v_dual_fmac_f32 v134, v135, v141 :: v_dual_add_nc_u32 v135, s2, v132
	s_add_co_i32 s8, s2, -7
	s_delay_alu instid0(VALU_DEP_1) | instskip(NEXT) | instid1(VALU_DEP_2)
	v_fmac_f32_e32 v134, v130, v142
	v_cmp_eq_u32_e32 vcc_lo, 19, v135
	s_delay_alu instid0(VALU_DEP_2) | instskip(SKIP_1) | instid1(SALU_CYCLE_1)
	v_dual_mov_b32 v130, s8 :: v_dual_fmac_f32 v134, v136, v143
	s_or_b32 s6, vcc_lo, s6
	s_and_not1_b32 exec_lo, exec_lo, s6
	s_cbranch_execnz .LBB95_297
; %bb.298:
	s_or_b32 exec_lo, exec_lo, s6
.LBB95_299:
	s_delay_alu instid0(SALU_CYCLE_1) | instskip(SKIP_3) | instid1(VALU_DEP_1)
	s_or_b32 exec_lo, exec_lo, s0
	v_and_b32_e32 v132, 7, v131
	s_mov_b32 s2, 0
	s_mov_b32 s0, exec_lo
	v_cmpx_ne_u32_e32 0, v132
	s_cbranch_execz .LBB95_303
; %bb.300:
	v_lshl_add_u32 v135, v130, 2, 0x80
	v_mov_b32_e32 v131, 0
.LBB95_301:                             ; =>This Inner Loop Header: Depth=1
	v_cmp_eq_u32_e32 vcc_lo, 1, v130
	ds_load_b32 v137, v135
	v_dual_add_nc_u32 v132, -1, v132 :: v_dual_add_nc_u32 v135, 4, v135
	v_cndmask_b32_e32 v136, v34, v35, vcc_lo
	v_cmp_eq_u32_e32 vcc_lo, 2, v130
	s_delay_alu instid0(VALU_DEP_2) | instskip(SKIP_1) | instid1(VALU_DEP_2)
	v_cndmask_b32_e32 v136, v136, v36, vcc_lo
	v_cmp_eq_u32_e32 vcc_lo, 3, v130
	v_cndmask_b32_e32 v136, v136, v37, vcc_lo
	v_cmp_eq_u32_e32 vcc_lo, 4, v130
	s_delay_alu instid0(VALU_DEP_2) | instskip(SKIP_1) | instid1(VALU_DEP_2)
	v_cndmask_b32_e32 v136, v136, v38, vcc_lo
	v_cmp_eq_u32_e32 vcc_lo, 5, v130
	;; [unrolled: 5-line block ×14, first 2 shown]
	v_cndmask_b32_e32 v136, v136, v63, vcc_lo
	v_cmp_eq_u32_e32 vcc_lo, 30, v130
	s_delay_alu instid0(VALU_DEP_2) | instskip(SKIP_2) | instid1(VALU_DEP_3)
	v_cndmask_b32_e32 v136, v136, v64, vcc_lo
	v_cmp_eq_u32_e32 vcc_lo, 31, v130
	v_add_nc_u64_e32 v[130:131], 1, v[130:131]
	v_cndmask_b32_e32 v136, v136, v65, vcc_lo
	v_cmp_eq_u32_e32 vcc_lo, 0, v132
	s_wait_dscnt 0x0
	s_delay_alu instid0(VALU_DEP_2) | instskip(SKIP_1) | instid1(SALU_CYCLE_1)
	v_fmac_f32_e32 v134, v136, v137
	s_or_b32 s2, vcc_lo, s2
	s_and_not1_b32 exec_lo, exec_lo, s2
	s_cbranch_execnz .LBB95_301
; %bb.302:
	s_or_b32 exec_lo, exec_lo, s2
.LBB95_303:
	s_delay_alu instid0(SALU_CYCLE_1)
	s_or_b32 exec_lo, exec_lo, s0
.LBB95_304:
	s_delay_alu instid0(SALU_CYCLE_1)
	s_or_b32 exec_lo, exec_lo, s5
	v_mov_b32_e32 v45, 0
	ds_load_b32 v45, v45 offset:44
	s_wait_dscnt 0x0
	v_mul_f32_e32 v45, v134, v45
.LBB95_305:
	s_or_b32 exec_lo, exec_lo, s4
	v_cmp_lt_u32_e64 s0, 10, v0
	ds_store_b32 v133, v44
	s_wait_dscnt 0x0
	s_barrier_signal -1
	s_barrier_wait -1
	s_and_saveexec_b32 s4, s0
	s_cbranch_execz .LBB95_321
; %bb.306:
	s_and_not1_b32 vcc_lo, exec_lo, s33
	s_cbranch_vccnz .LBB95_308
; %bb.307:
	v_cmp_eq_u32_e32 vcc_lo, 1, v0
	ds_load_b32 v131, v133
	v_cndmask_b32_e32 v130, v34, v35, vcc_lo
	v_cmp_eq_u32_e32 vcc_lo, 2, v0
	s_delay_alu instid0(VALU_DEP_2) | instskip(SKIP_1) | instid1(VALU_DEP_2)
	v_cndmask_b32_e32 v130, v130, v36, vcc_lo
	v_cmp_eq_u32_e32 vcc_lo, 3, v0
	v_cndmask_b32_e32 v130, v130, v37, vcc_lo
	v_cmp_eq_u32_e32 vcc_lo, 4, v0
	s_delay_alu instid0(VALU_DEP_2) | instskip(SKIP_1) | instid1(VALU_DEP_2)
	v_cndmask_b32_e32 v130, v130, v38, vcc_lo
	v_cmp_eq_u32_e32 vcc_lo, 5, v0
	;; [unrolled: 5-line block ×15, first 2 shown]
	v_cndmask_b32_e32 v130, v130, v65, vcc_lo
	s_wait_dscnt 0x0
	s_delay_alu instid0(VALU_DEP_1)
	v_mul_f32_e32 v134, v130, v131
	s_cbranch_execz .LBB95_309
	s_branch .LBB95_310
.LBB95_308:
                                        ; implicit-def: $vgpr134
.LBB95_309:
	ds_load_b32 v134, v133
.LBB95_310:
	s_and_saveexec_b32 s5, s1
	s_cbranch_execz .LBB95_320
; %bb.311:
	v_dual_add_nc_u32 v130, -12, v0 :: v_dual_add_nc_u32 v131, -11, v0
	s_delay_alu instid0(VALU_DEP_1)
	v_cmp_lt_u32_e32 vcc_lo, 6, v130
	v_mov_b32_e32 v130, 11
	s_and_saveexec_b32 s1, vcc_lo
	s_cbranch_execz .LBB95_315
; %bb.312:
	v_and_b32_e32 v130, -8, v131
	s_mov_b32 s6, 0
	s_mov_b64 s[2:3], 18
	s_movk_i32 s7, 0xac
	s_delay_alu instid0(VALU_DEP_1)
	v_sub_nc_u32_e32 v132, 0, v130
.LBB95_313:                             ; =>This Inner Loop Header: Depth=1
	s_add_co_i32 m0, s2, -7
	v_movrels_b32_e32 v135, v34
	v_mov_b32_e32 v130, s7
	s_add_co_i32 m0, s2, -6
	s_add_co_i32 s7, s7, 32
	v_movrels_b32_e32 v144, v34
	ds_load_2addr_b32 v[136:137], v130 offset1:1
	ds_load_2addr_b32 v[138:139], v130 offset0:2 offset1:3
	s_add_co_i32 m0, s2, -5
	s_wait_dscnt 0x1
	v_fmac_f32_e32 v134, v135, v136
	ds_load_2addr_b32 v[140:141], v130 offset0:4 offset1:5
	ds_load_2addr_b32 v[142:143], v130 offset0:6 offset1:7
	v_movrels_b32_e32 v130, v34
	s_add_co_i32 m0, s2, -4
	v_fmac_f32_e32 v134, v144, v137
	v_movrels_b32_e32 v135, v34
	s_add_co_i32 m0, s2, -3
	s_wait_dscnt 0x2
	s_delay_alu instid0(VALU_DEP_2) | instskip(SKIP_2) | instid1(VALU_DEP_2)
	v_fmac_f32_e32 v134, v130, v138
	v_movrels_b32_e32 v130, v34
	s_add_co_i32 m0, s2, -2
	v_fmac_f32_e32 v134, v135, v139
	v_movrels_b32_e32 v135, v34
	s_add_co_i32 m0, s2, -1
	s_wait_dscnt 0x1
	s_delay_alu instid0(VALU_DEP_2)
	v_fmac_f32_e32 v134, v130, v140
	v_movrels_b32_e32 v130, v34
	s_mov_b32 m0, s2
	s_add_nc_u64 s[2:3], s[2:3], 8
	v_movrels_b32_e32 v136, v34
	v_dual_fmac_f32 v134, v135, v141 :: v_dual_add_nc_u32 v135, s2, v132
	s_add_co_i32 s8, s2, -7
	s_wait_dscnt 0x0
	s_delay_alu instid0(VALU_DEP_1) | instskip(NEXT) | instid1(VALU_DEP_2)
	v_fmac_f32_e32 v134, v130, v142
	v_cmp_eq_u32_e32 vcc_lo, 18, v135
	s_delay_alu instid0(VALU_DEP_2) | instskip(SKIP_1) | instid1(SALU_CYCLE_1)
	v_dual_mov_b32 v130, s8 :: v_dual_fmac_f32 v134, v136, v143
	s_or_b32 s6, vcc_lo, s6
	s_and_not1_b32 exec_lo, exec_lo, s6
	s_cbranch_execnz .LBB95_313
; %bb.314:
	s_or_b32 exec_lo, exec_lo, s6
.LBB95_315:
	s_delay_alu instid0(SALU_CYCLE_1) | instskip(SKIP_3) | instid1(VALU_DEP_1)
	s_or_b32 exec_lo, exec_lo, s1
	v_and_b32_e32 v132, 7, v131
	s_mov_b32 s2, 0
	s_mov_b32 s1, exec_lo
	v_cmpx_ne_u32_e32 0, v132
	s_cbranch_execz .LBB95_319
; %bb.316:
	v_lshl_add_u32 v135, v130, 2, 0x80
	v_mov_b32_e32 v131, 0
.LBB95_317:                             ; =>This Inner Loop Header: Depth=1
	v_cmp_eq_u32_e32 vcc_lo, 1, v130
	ds_load_b32 v137, v135
	v_dual_add_nc_u32 v132, -1, v132 :: v_dual_add_nc_u32 v135, 4, v135
	v_cndmask_b32_e32 v136, v34, v35, vcc_lo
	v_cmp_eq_u32_e32 vcc_lo, 2, v130
	s_delay_alu instid0(VALU_DEP_2) | instskip(SKIP_1) | instid1(VALU_DEP_2)
	v_cndmask_b32_e32 v136, v136, v36, vcc_lo
	v_cmp_eq_u32_e32 vcc_lo, 3, v130
	v_cndmask_b32_e32 v136, v136, v37, vcc_lo
	v_cmp_eq_u32_e32 vcc_lo, 4, v130
	s_delay_alu instid0(VALU_DEP_2) | instskip(SKIP_1) | instid1(VALU_DEP_2)
	v_cndmask_b32_e32 v136, v136, v38, vcc_lo
	v_cmp_eq_u32_e32 vcc_lo, 5, v130
	;; [unrolled: 5-line block ×14, first 2 shown]
	v_cndmask_b32_e32 v136, v136, v63, vcc_lo
	v_cmp_eq_u32_e32 vcc_lo, 30, v130
	s_delay_alu instid0(VALU_DEP_2) | instskip(SKIP_2) | instid1(VALU_DEP_3)
	v_cndmask_b32_e32 v136, v136, v64, vcc_lo
	v_cmp_eq_u32_e32 vcc_lo, 31, v130
	v_add_nc_u64_e32 v[130:131], 1, v[130:131]
	v_cndmask_b32_e32 v136, v136, v65, vcc_lo
	v_cmp_eq_u32_e32 vcc_lo, 0, v132
	s_wait_dscnt 0x0
	s_delay_alu instid0(VALU_DEP_2) | instskip(SKIP_1) | instid1(SALU_CYCLE_1)
	v_fmac_f32_e32 v134, v136, v137
	s_or_b32 s2, vcc_lo, s2
	s_and_not1_b32 exec_lo, exec_lo, s2
	s_cbranch_execnz .LBB95_317
; %bb.318:
	s_or_b32 exec_lo, exec_lo, s2
.LBB95_319:
	s_delay_alu instid0(SALU_CYCLE_1)
	s_or_b32 exec_lo, exec_lo, s1
.LBB95_320:
	s_delay_alu instid0(SALU_CYCLE_1)
	s_or_b32 exec_lo, exec_lo, s5
	v_mov_b32_e32 v44, 0
	ds_load_b32 v44, v44 offset:40
	s_wait_dscnt 0x0
	v_mul_f32_e32 v44, v134, v44
.LBB95_321:
	s_or_b32 exec_lo, exec_lo, s4
	v_cmp_lt_u32_e64 s1, 9, v0
	ds_store_b32 v133, v43
	s_wait_dscnt 0x0
	s_barrier_signal -1
	s_barrier_wait -1
	s_and_saveexec_b32 s4, s1
	s_cbranch_execz .LBB95_337
; %bb.322:
	s_and_not1_b32 vcc_lo, exec_lo, s33
	s_cbranch_vccnz .LBB95_324
; %bb.323:
	v_cmp_eq_u32_e32 vcc_lo, 1, v0
	ds_load_b32 v131, v133
	v_cndmask_b32_e32 v130, v34, v35, vcc_lo
	v_cmp_eq_u32_e32 vcc_lo, 2, v0
	s_delay_alu instid0(VALU_DEP_2) | instskip(SKIP_1) | instid1(VALU_DEP_2)
	v_cndmask_b32_e32 v130, v130, v36, vcc_lo
	v_cmp_eq_u32_e32 vcc_lo, 3, v0
	v_cndmask_b32_e32 v130, v130, v37, vcc_lo
	v_cmp_eq_u32_e32 vcc_lo, 4, v0
	s_delay_alu instid0(VALU_DEP_2) | instskip(SKIP_1) | instid1(VALU_DEP_2)
	v_cndmask_b32_e32 v130, v130, v38, vcc_lo
	v_cmp_eq_u32_e32 vcc_lo, 5, v0
	;; [unrolled: 5-line block ×15, first 2 shown]
	v_cndmask_b32_e32 v130, v130, v65, vcc_lo
	s_wait_dscnt 0x0
	s_delay_alu instid0(VALU_DEP_1)
	v_mul_f32_e32 v134, v130, v131
	s_cbranch_execz .LBB95_325
	s_branch .LBB95_326
.LBB95_324:
                                        ; implicit-def: $vgpr134
.LBB95_325:
	ds_load_b32 v134, v133
.LBB95_326:
	s_and_saveexec_b32 s5, s0
	s_cbranch_execz .LBB95_336
; %bb.327:
	v_dual_add_nc_u32 v130, -11, v0 :: v_dual_add_nc_u32 v131, -10, v0
	s_delay_alu instid0(VALU_DEP_1)
	v_cmp_lt_u32_e32 vcc_lo, 6, v130
	v_mov_b32_e32 v130, 10
	s_and_saveexec_b32 s0, vcc_lo
	s_cbranch_execz .LBB95_331
; %bb.328:
	v_and_b32_e32 v130, -8, v131
	s_mov_b32 s6, 0
	s_mov_b64 s[2:3], 17
	s_movk_i32 s7, 0xa8
	s_delay_alu instid0(VALU_DEP_1)
	v_sub_nc_u32_e32 v132, 0, v130
.LBB95_329:                             ; =>This Inner Loop Header: Depth=1
	s_add_co_i32 m0, s2, -7
	v_movrels_b32_e32 v135, v34
	v_mov_b32_e32 v130, s7
	s_add_co_i32 m0, s2, -6
	s_add_co_i32 s7, s7, 32
	v_movrels_b32_e32 v144, v34
	s_add_co_i32 m0, s2, -5
	ds_load_2addr_b64 v[136:139], v130 offset1:1
	ds_load_2addr_b64 v[140:143], v130 offset0:2 offset1:3
	v_movrels_b32_e32 v130, v34
	s_add_co_i32 m0, s2, -4
	s_wait_dscnt 0x1
	v_fmac_f32_e32 v134, v135, v136
	v_movrels_b32_e32 v135, v34
	s_add_co_i32 m0, s2, -3
	s_delay_alu instid0(VALU_DEP_2) | instskip(NEXT) | instid1(VALU_DEP_1)
	v_fmac_f32_e32 v134, v144, v137
	v_fmac_f32_e32 v134, v130, v138
	v_movrels_b32_e32 v130, v34
	s_add_co_i32 m0, s2, -2
	s_delay_alu instid0(VALU_DEP_2) | instskip(SKIP_3) | instid1(VALU_DEP_2)
	v_fmac_f32_e32 v134, v135, v139
	v_movrels_b32_e32 v135, v34
	s_add_co_i32 m0, s2, -1
	s_wait_dscnt 0x0
	v_fmac_f32_e32 v134, v130, v140
	v_movrels_b32_e32 v130, v34
	s_mov_b32 m0, s2
	s_add_nc_u64 s[2:3], s[2:3], 8
	v_movrels_b32_e32 v136, v34
	v_dual_fmac_f32 v134, v135, v141 :: v_dual_add_nc_u32 v135, s2, v132
	s_add_co_i32 s8, s2, -7
	s_delay_alu instid0(VALU_DEP_1) | instskip(NEXT) | instid1(VALU_DEP_2)
	v_fmac_f32_e32 v134, v130, v142
	v_cmp_eq_u32_e32 vcc_lo, 17, v135
	s_delay_alu instid0(VALU_DEP_2) | instskip(SKIP_1) | instid1(SALU_CYCLE_1)
	v_dual_mov_b32 v130, s8 :: v_dual_fmac_f32 v134, v136, v143
	s_or_b32 s6, vcc_lo, s6
	s_and_not1_b32 exec_lo, exec_lo, s6
	s_cbranch_execnz .LBB95_329
; %bb.330:
	s_or_b32 exec_lo, exec_lo, s6
.LBB95_331:
	s_delay_alu instid0(SALU_CYCLE_1) | instskip(SKIP_3) | instid1(VALU_DEP_1)
	s_or_b32 exec_lo, exec_lo, s0
	v_and_b32_e32 v132, 7, v131
	s_mov_b32 s2, 0
	s_mov_b32 s0, exec_lo
	v_cmpx_ne_u32_e32 0, v132
	s_cbranch_execz .LBB95_335
; %bb.332:
	v_lshl_add_u32 v135, v130, 2, 0x80
	v_mov_b32_e32 v131, 0
.LBB95_333:                             ; =>This Inner Loop Header: Depth=1
	v_cmp_eq_u32_e32 vcc_lo, 1, v130
	ds_load_b32 v137, v135
	v_dual_add_nc_u32 v132, -1, v132 :: v_dual_add_nc_u32 v135, 4, v135
	v_cndmask_b32_e32 v136, v34, v35, vcc_lo
	v_cmp_eq_u32_e32 vcc_lo, 2, v130
	s_delay_alu instid0(VALU_DEP_2) | instskip(SKIP_1) | instid1(VALU_DEP_2)
	v_cndmask_b32_e32 v136, v136, v36, vcc_lo
	v_cmp_eq_u32_e32 vcc_lo, 3, v130
	v_cndmask_b32_e32 v136, v136, v37, vcc_lo
	v_cmp_eq_u32_e32 vcc_lo, 4, v130
	s_delay_alu instid0(VALU_DEP_2) | instskip(SKIP_1) | instid1(VALU_DEP_2)
	v_cndmask_b32_e32 v136, v136, v38, vcc_lo
	v_cmp_eq_u32_e32 vcc_lo, 5, v130
	;; [unrolled: 5-line block ×14, first 2 shown]
	v_cndmask_b32_e32 v136, v136, v63, vcc_lo
	v_cmp_eq_u32_e32 vcc_lo, 30, v130
	s_delay_alu instid0(VALU_DEP_2) | instskip(SKIP_2) | instid1(VALU_DEP_3)
	v_cndmask_b32_e32 v136, v136, v64, vcc_lo
	v_cmp_eq_u32_e32 vcc_lo, 31, v130
	v_add_nc_u64_e32 v[130:131], 1, v[130:131]
	v_cndmask_b32_e32 v136, v136, v65, vcc_lo
	v_cmp_eq_u32_e32 vcc_lo, 0, v132
	s_wait_dscnt 0x0
	s_delay_alu instid0(VALU_DEP_2) | instskip(SKIP_1) | instid1(SALU_CYCLE_1)
	v_fmac_f32_e32 v134, v136, v137
	s_or_b32 s2, vcc_lo, s2
	s_and_not1_b32 exec_lo, exec_lo, s2
	s_cbranch_execnz .LBB95_333
; %bb.334:
	s_or_b32 exec_lo, exec_lo, s2
.LBB95_335:
	s_delay_alu instid0(SALU_CYCLE_1)
	s_or_b32 exec_lo, exec_lo, s0
.LBB95_336:
	s_delay_alu instid0(SALU_CYCLE_1)
	s_or_b32 exec_lo, exec_lo, s5
	v_mov_b32_e32 v43, 0
	ds_load_b32 v43, v43 offset:36
	s_wait_dscnt 0x0
	v_mul_f32_e32 v43, v134, v43
.LBB95_337:
	s_or_b32 exec_lo, exec_lo, s4
	v_cmp_lt_u32_e64 s0, 8, v0
	ds_store_b32 v133, v42
	s_wait_dscnt 0x0
	s_barrier_signal -1
	s_barrier_wait -1
	s_and_saveexec_b32 s4, s0
	s_cbranch_execz .LBB95_353
; %bb.338:
	s_and_not1_b32 vcc_lo, exec_lo, s33
	s_cbranch_vccnz .LBB95_340
; %bb.339:
	v_cmp_eq_u32_e32 vcc_lo, 1, v0
	ds_load_b32 v131, v133
	v_cndmask_b32_e32 v130, v34, v35, vcc_lo
	v_cmp_eq_u32_e32 vcc_lo, 2, v0
	s_delay_alu instid0(VALU_DEP_2) | instskip(SKIP_1) | instid1(VALU_DEP_2)
	v_cndmask_b32_e32 v130, v130, v36, vcc_lo
	v_cmp_eq_u32_e32 vcc_lo, 3, v0
	v_cndmask_b32_e32 v130, v130, v37, vcc_lo
	v_cmp_eq_u32_e32 vcc_lo, 4, v0
	s_delay_alu instid0(VALU_DEP_2) | instskip(SKIP_1) | instid1(VALU_DEP_2)
	v_cndmask_b32_e32 v130, v130, v38, vcc_lo
	v_cmp_eq_u32_e32 vcc_lo, 5, v0
	;; [unrolled: 5-line block ×15, first 2 shown]
	v_cndmask_b32_e32 v130, v130, v65, vcc_lo
	s_wait_dscnt 0x0
	s_delay_alu instid0(VALU_DEP_1)
	v_mul_f32_e32 v134, v130, v131
	s_cbranch_execz .LBB95_341
	s_branch .LBB95_342
.LBB95_340:
                                        ; implicit-def: $vgpr134
.LBB95_341:
	ds_load_b32 v134, v133
.LBB95_342:
	s_and_saveexec_b32 s5, s1
	s_cbranch_execz .LBB95_352
; %bb.343:
	v_dual_add_nc_u32 v130, -10, v0 :: v_dual_add_nc_u32 v131, -9, v0
	s_delay_alu instid0(VALU_DEP_1)
	v_cmp_lt_u32_e32 vcc_lo, 6, v130
	v_mov_b32_e32 v130, 9
	s_and_saveexec_b32 s1, vcc_lo
	s_cbranch_execz .LBB95_347
; %bb.344:
	v_and_b32_e32 v130, -8, v131
	s_mov_b32 s6, 0
	s_mov_b64 s[2:3], 16
	s_movk_i32 s7, 0xa4
	s_delay_alu instid0(VALU_DEP_1)
	v_sub_nc_u32_e32 v132, 0, v130
.LBB95_345:                             ; =>This Inner Loop Header: Depth=1
	s_add_co_i32 m0, s2, -7
	v_movrels_b32_e32 v135, v34
	v_mov_b32_e32 v130, s7
	s_add_co_i32 m0, s2, -6
	s_add_co_i32 s7, s7, 32
	v_movrels_b32_e32 v144, v34
	ds_load_2addr_b32 v[136:137], v130 offset1:1
	ds_load_2addr_b32 v[138:139], v130 offset0:2 offset1:3
	s_add_co_i32 m0, s2, -5
	s_wait_dscnt 0x1
	v_fmac_f32_e32 v134, v135, v136
	ds_load_2addr_b32 v[140:141], v130 offset0:4 offset1:5
	ds_load_2addr_b32 v[142:143], v130 offset0:6 offset1:7
	v_movrels_b32_e32 v130, v34
	s_add_co_i32 m0, s2, -4
	v_fmac_f32_e32 v134, v144, v137
	v_movrels_b32_e32 v135, v34
	s_add_co_i32 m0, s2, -3
	s_wait_dscnt 0x2
	s_delay_alu instid0(VALU_DEP_2) | instskip(SKIP_2) | instid1(VALU_DEP_2)
	v_fmac_f32_e32 v134, v130, v138
	v_movrels_b32_e32 v130, v34
	s_add_co_i32 m0, s2, -2
	v_fmac_f32_e32 v134, v135, v139
	v_movrels_b32_e32 v135, v34
	s_add_co_i32 m0, s2, -1
	s_wait_dscnt 0x1
	s_delay_alu instid0(VALU_DEP_2)
	v_fmac_f32_e32 v134, v130, v140
	v_movrels_b32_e32 v130, v34
	s_mov_b32 m0, s2
	s_add_nc_u64 s[2:3], s[2:3], 8
	v_movrels_b32_e32 v136, v34
	v_dual_fmac_f32 v134, v135, v141 :: v_dual_add_nc_u32 v135, s2, v132
	s_add_co_i32 s8, s2, -7
	s_wait_dscnt 0x0
	s_delay_alu instid0(VALU_DEP_1) | instskip(NEXT) | instid1(VALU_DEP_2)
	v_fmac_f32_e32 v134, v130, v142
	v_cmp_eq_u32_e32 vcc_lo, 16, v135
	s_delay_alu instid0(VALU_DEP_2) | instskip(SKIP_1) | instid1(SALU_CYCLE_1)
	v_dual_mov_b32 v130, s8 :: v_dual_fmac_f32 v134, v136, v143
	s_or_b32 s6, vcc_lo, s6
	s_and_not1_b32 exec_lo, exec_lo, s6
	s_cbranch_execnz .LBB95_345
; %bb.346:
	s_or_b32 exec_lo, exec_lo, s6
.LBB95_347:
	s_delay_alu instid0(SALU_CYCLE_1) | instskip(SKIP_3) | instid1(VALU_DEP_1)
	s_or_b32 exec_lo, exec_lo, s1
	v_and_b32_e32 v132, 7, v131
	s_mov_b32 s2, 0
	s_mov_b32 s1, exec_lo
	v_cmpx_ne_u32_e32 0, v132
	s_cbranch_execz .LBB95_351
; %bb.348:
	v_lshl_add_u32 v135, v130, 2, 0x80
	v_mov_b32_e32 v131, 0
.LBB95_349:                             ; =>This Inner Loop Header: Depth=1
	v_cmp_eq_u32_e32 vcc_lo, 1, v130
	ds_load_b32 v137, v135
	v_dual_add_nc_u32 v132, -1, v132 :: v_dual_add_nc_u32 v135, 4, v135
	v_cndmask_b32_e32 v136, v34, v35, vcc_lo
	v_cmp_eq_u32_e32 vcc_lo, 2, v130
	s_delay_alu instid0(VALU_DEP_2) | instskip(SKIP_1) | instid1(VALU_DEP_2)
	v_cndmask_b32_e32 v136, v136, v36, vcc_lo
	v_cmp_eq_u32_e32 vcc_lo, 3, v130
	v_cndmask_b32_e32 v136, v136, v37, vcc_lo
	v_cmp_eq_u32_e32 vcc_lo, 4, v130
	s_delay_alu instid0(VALU_DEP_2) | instskip(SKIP_1) | instid1(VALU_DEP_2)
	v_cndmask_b32_e32 v136, v136, v38, vcc_lo
	v_cmp_eq_u32_e32 vcc_lo, 5, v130
	;; [unrolled: 5-line block ×14, first 2 shown]
	v_cndmask_b32_e32 v136, v136, v63, vcc_lo
	v_cmp_eq_u32_e32 vcc_lo, 30, v130
	s_delay_alu instid0(VALU_DEP_2) | instskip(SKIP_2) | instid1(VALU_DEP_3)
	v_cndmask_b32_e32 v136, v136, v64, vcc_lo
	v_cmp_eq_u32_e32 vcc_lo, 31, v130
	v_add_nc_u64_e32 v[130:131], 1, v[130:131]
	v_cndmask_b32_e32 v136, v136, v65, vcc_lo
	v_cmp_eq_u32_e32 vcc_lo, 0, v132
	s_wait_dscnt 0x0
	s_delay_alu instid0(VALU_DEP_2) | instskip(SKIP_1) | instid1(SALU_CYCLE_1)
	v_fmac_f32_e32 v134, v136, v137
	s_or_b32 s2, vcc_lo, s2
	s_and_not1_b32 exec_lo, exec_lo, s2
	s_cbranch_execnz .LBB95_349
; %bb.350:
	s_or_b32 exec_lo, exec_lo, s2
.LBB95_351:
	s_delay_alu instid0(SALU_CYCLE_1)
	s_or_b32 exec_lo, exec_lo, s1
.LBB95_352:
	s_delay_alu instid0(SALU_CYCLE_1)
	s_or_b32 exec_lo, exec_lo, s5
	v_mov_b32_e32 v42, 0
	ds_load_b32 v42, v42 offset:32
	s_wait_dscnt 0x0
	v_mul_f32_e32 v42, v134, v42
.LBB95_353:
	s_or_b32 exec_lo, exec_lo, s4
	v_cmp_lt_u32_e64 s1, 7, v0
	ds_store_b32 v133, v41
	s_wait_dscnt 0x0
	s_barrier_signal -1
	s_barrier_wait -1
	s_and_saveexec_b32 s4, s1
	s_cbranch_execz .LBB95_369
; %bb.354:
	s_and_not1_b32 vcc_lo, exec_lo, s33
	s_cbranch_vccnz .LBB95_356
; %bb.355:
	v_cmp_eq_u32_e32 vcc_lo, 1, v0
	ds_load_b32 v131, v133
	v_cndmask_b32_e32 v130, v34, v35, vcc_lo
	v_cmp_eq_u32_e32 vcc_lo, 2, v0
	s_delay_alu instid0(VALU_DEP_2) | instskip(SKIP_1) | instid1(VALU_DEP_2)
	v_cndmask_b32_e32 v130, v130, v36, vcc_lo
	v_cmp_eq_u32_e32 vcc_lo, 3, v0
	v_cndmask_b32_e32 v130, v130, v37, vcc_lo
	v_cmp_eq_u32_e32 vcc_lo, 4, v0
	s_delay_alu instid0(VALU_DEP_2) | instskip(SKIP_1) | instid1(VALU_DEP_2)
	v_cndmask_b32_e32 v130, v130, v38, vcc_lo
	v_cmp_eq_u32_e32 vcc_lo, 5, v0
	;; [unrolled: 5-line block ×15, first 2 shown]
	v_cndmask_b32_e32 v130, v130, v65, vcc_lo
	s_wait_dscnt 0x0
	s_delay_alu instid0(VALU_DEP_1)
	v_mul_f32_e32 v134, v130, v131
	s_cbranch_execz .LBB95_357
	s_branch .LBB95_358
.LBB95_356:
                                        ; implicit-def: $vgpr134
.LBB95_357:
	ds_load_b32 v134, v133
.LBB95_358:
	s_and_saveexec_b32 s5, s0
	s_cbranch_execz .LBB95_368
; %bb.359:
	v_add_nc_u32_e32 v130, -9, v0
	s_delay_alu instid0(VALU_DEP_1)
	v_cmp_lt_u32_e32 vcc_lo, 6, v130
	v_mov_b32_e32 v130, 8
	s_and_saveexec_b32 s0, vcc_lo
	s_cbranch_execz .LBB95_363
; %bb.360:
	v_and_b32_e32 v130, 24, v0
	s_mov_b32 s6, 0
	s_mov_b64 s[2:3], 15
	s_movk_i32 s7, 0xa0
	s_delay_alu instid0(VALU_DEP_1)
	v_sub_nc_u32_e32 v132, 0, v130
.LBB95_361:                             ; =>This Inner Loop Header: Depth=1
	s_add_co_i32 m0, s2, -7
	v_movrels_b32_e32 v131, v34
	v_mov_b32_e32 v130, s7
	s_add_co_i32 m0, s2, -6
	s_add_co_i32 s7, s7, 32
	v_movrels_b32_e32 v135, v34
	s_add_co_i32 m0, s2, -5
	ds_load_b128 v[136:139], v130
	ds_load_b128 v[140:143], v130 offset:16
	v_movrels_b32_e32 v130, v34
	s_add_co_i32 m0, s2, -4
	s_wait_dscnt 0x1
	v_fmac_f32_e32 v134, v131, v136
	v_movrels_b32_e32 v131, v34
	s_add_co_i32 m0, s2, -3
	s_delay_alu instid0(VALU_DEP_2) | instskip(NEXT) | instid1(VALU_DEP_1)
	v_fmac_f32_e32 v134, v135, v137
	v_fmac_f32_e32 v134, v130, v138
	v_movrels_b32_e32 v130, v34
	s_add_co_i32 m0, s2, -2
	s_delay_alu instid0(VALU_DEP_2) | instskip(SKIP_3) | instid1(VALU_DEP_2)
	v_fmac_f32_e32 v134, v131, v139
	v_movrels_b32_e32 v131, v34
	s_add_co_i32 m0, s2, -1
	s_wait_dscnt 0x0
	v_fmac_f32_e32 v134, v130, v140
	v_movrels_b32_e32 v130, v34
	s_mov_b32 m0, s2
	s_add_nc_u64 s[2:3], s[2:3], 8
	v_movrels_b32_e32 v135, v34
	v_dual_fmac_f32 v134, v131, v141 :: v_dual_add_nc_u32 v131, s2, v132
	s_add_co_i32 s8, s2, -7
	s_delay_alu instid0(VALU_DEP_1) | instskip(NEXT) | instid1(VALU_DEP_2)
	v_fmac_f32_e32 v134, v130, v142
	v_cmp_eq_u32_e32 vcc_lo, 7, v131
	s_delay_alu instid0(VALU_DEP_2) | instskip(SKIP_1) | instid1(SALU_CYCLE_1)
	v_dual_mov_b32 v130, s8 :: v_dual_fmac_f32 v134, v135, v143
	s_or_b32 s6, vcc_lo, s6
	s_and_not1_b32 exec_lo, exec_lo, s6
	s_cbranch_execnz .LBB95_361
; %bb.362:
	s_or_b32 exec_lo, exec_lo, s6
.LBB95_363:
	s_delay_alu instid0(SALU_CYCLE_1) | instskip(SKIP_3) | instid1(VALU_DEP_1)
	s_or_b32 exec_lo, exec_lo, s0
	v_and_b32_e32 v132, 7, v0
	s_mov_b32 s2, 0
	s_mov_b32 s0, exec_lo
	v_cmpx_ne_u32_e32 0, v132
	s_cbranch_execz .LBB95_367
; %bb.364:
	v_lshl_add_u32 v135, v130, 2, 0x80
	v_mov_b32_e32 v131, 0
.LBB95_365:                             ; =>This Inner Loop Header: Depth=1
	v_cmp_eq_u32_e32 vcc_lo, 1, v130
	ds_load_b32 v137, v135
	v_dual_add_nc_u32 v132, -1, v132 :: v_dual_add_nc_u32 v135, 4, v135
	v_cndmask_b32_e32 v136, v34, v35, vcc_lo
	v_cmp_eq_u32_e32 vcc_lo, 2, v130
	s_delay_alu instid0(VALU_DEP_2) | instskip(SKIP_1) | instid1(VALU_DEP_2)
	v_cndmask_b32_e32 v136, v136, v36, vcc_lo
	v_cmp_eq_u32_e32 vcc_lo, 3, v130
	v_cndmask_b32_e32 v136, v136, v37, vcc_lo
	v_cmp_eq_u32_e32 vcc_lo, 4, v130
	s_delay_alu instid0(VALU_DEP_2) | instskip(SKIP_1) | instid1(VALU_DEP_2)
	v_cndmask_b32_e32 v136, v136, v38, vcc_lo
	v_cmp_eq_u32_e32 vcc_lo, 5, v130
	v_cndmask_b32_e32 v136, v136, v39, vcc_lo
	v_cmp_eq_u32_e32 vcc_lo, 6, v130
	s_delay_alu instid0(VALU_DEP_2) | instskip(SKIP_1) | instid1(VALU_DEP_2)
	v_cndmask_b32_e32 v136, v136, v40, vcc_lo
	v_cmp_eq_u32_e32 vcc_lo, 7, v130
	v_cndmask_b32_e32 v136, v136, v41, vcc_lo
	v_cmp_eq_u32_e32 vcc_lo, 8, v130
	s_delay_alu instid0(VALU_DEP_2) | instskip(SKIP_1) | instid1(VALU_DEP_2)
	v_cndmask_b32_e32 v136, v136, v42, vcc_lo
	v_cmp_eq_u32_e32 vcc_lo, 9, v130
	v_cndmask_b32_e32 v136, v136, v43, vcc_lo
	v_cmp_eq_u32_e32 vcc_lo, 10, v130
	s_delay_alu instid0(VALU_DEP_2) | instskip(SKIP_1) | instid1(VALU_DEP_2)
	v_cndmask_b32_e32 v136, v136, v44, vcc_lo
	v_cmp_eq_u32_e32 vcc_lo, 11, v130
	v_cndmask_b32_e32 v136, v136, v45, vcc_lo
	v_cmp_eq_u32_e32 vcc_lo, 12, v130
	s_delay_alu instid0(VALU_DEP_2) | instskip(SKIP_1) | instid1(VALU_DEP_2)
	v_cndmask_b32_e32 v136, v136, v46, vcc_lo
	v_cmp_eq_u32_e32 vcc_lo, 13, v130
	v_cndmask_b32_e32 v136, v136, v47, vcc_lo
	v_cmp_eq_u32_e32 vcc_lo, 14, v130
	s_delay_alu instid0(VALU_DEP_2) | instskip(SKIP_1) | instid1(VALU_DEP_2)
	v_cndmask_b32_e32 v136, v136, v48, vcc_lo
	v_cmp_eq_u32_e32 vcc_lo, 15, v130
	v_cndmask_b32_e32 v136, v136, v49, vcc_lo
	v_cmp_eq_u32_e32 vcc_lo, 16, v130
	s_delay_alu instid0(VALU_DEP_2) | instskip(SKIP_1) | instid1(VALU_DEP_2)
	v_cndmask_b32_e32 v136, v136, v50, vcc_lo
	v_cmp_eq_u32_e32 vcc_lo, 17, v130
	v_cndmask_b32_e32 v136, v136, v51, vcc_lo
	v_cmp_eq_u32_e32 vcc_lo, 18, v130
	s_delay_alu instid0(VALU_DEP_2) | instskip(SKIP_1) | instid1(VALU_DEP_2)
	v_cndmask_b32_e32 v136, v136, v52, vcc_lo
	v_cmp_eq_u32_e32 vcc_lo, 19, v130
	v_cndmask_b32_e32 v136, v136, v53, vcc_lo
	v_cmp_eq_u32_e32 vcc_lo, 20, v130
	s_delay_alu instid0(VALU_DEP_2) | instskip(SKIP_1) | instid1(VALU_DEP_2)
	v_cndmask_b32_e32 v136, v136, v54, vcc_lo
	v_cmp_eq_u32_e32 vcc_lo, 21, v130
	v_cndmask_b32_e32 v136, v136, v55, vcc_lo
	v_cmp_eq_u32_e32 vcc_lo, 22, v130
	s_delay_alu instid0(VALU_DEP_2) | instskip(SKIP_1) | instid1(VALU_DEP_2)
	v_cndmask_b32_e32 v136, v136, v56, vcc_lo
	v_cmp_eq_u32_e32 vcc_lo, 23, v130
	v_cndmask_b32_e32 v136, v136, v57, vcc_lo
	v_cmp_eq_u32_e32 vcc_lo, 24, v130
	s_delay_alu instid0(VALU_DEP_2) | instskip(SKIP_1) | instid1(VALU_DEP_2)
	v_cndmask_b32_e32 v136, v136, v58, vcc_lo
	v_cmp_eq_u32_e32 vcc_lo, 25, v130
	v_cndmask_b32_e32 v136, v136, v59, vcc_lo
	v_cmp_eq_u32_e32 vcc_lo, 26, v130
	s_delay_alu instid0(VALU_DEP_2) | instskip(SKIP_1) | instid1(VALU_DEP_2)
	v_cndmask_b32_e32 v136, v136, v60, vcc_lo
	v_cmp_eq_u32_e32 vcc_lo, 27, v130
	v_cndmask_b32_e32 v136, v136, v61, vcc_lo
	v_cmp_eq_u32_e32 vcc_lo, 28, v130
	s_delay_alu instid0(VALU_DEP_2) | instskip(SKIP_1) | instid1(VALU_DEP_2)
	v_cndmask_b32_e32 v136, v136, v62, vcc_lo
	v_cmp_eq_u32_e32 vcc_lo, 29, v130
	v_cndmask_b32_e32 v136, v136, v63, vcc_lo
	v_cmp_eq_u32_e32 vcc_lo, 30, v130
	s_delay_alu instid0(VALU_DEP_2) | instskip(SKIP_2) | instid1(VALU_DEP_3)
	v_cndmask_b32_e32 v136, v136, v64, vcc_lo
	v_cmp_eq_u32_e32 vcc_lo, 31, v130
	v_add_nc_u64_e32 v[130:131], 1, v[130:131]
	v_cndmask_b32_e32 v136, v136, v65, vcc_lo
	v_cmp_eq_u32_e32 vcc_lo, 0, v132
	s_wait_dscnt 0x0
	s_delay_alu instid0(VALU_DEP_2) | instskip(SKIP_1) | instid1(SALU_CYCLE_1)
	v_fmac_f32_e32 v134, v136, v137
	s_or_b32 s2, vcc_lo, s2
	s_and_not1_b32 exec_lo, exec_lo, s2
	s_cbranch_execnz .LBB95_365
; %bb.366:
	s_or_b32 exec_lo, exec_lo, s2
.LBB95_367:
	s_delay_alu instid0(SALU_CYCLE_1)
	s_or_b32 exec_lo, exec_lo, s0
.LBB95_368:
	s_delay_alu instid0(SALU_CYCLE_1)
	s_or_b32 exec_lo, exec_lo, s5
	v_mov_b32_e32 v41, 0
	ds_load_b32 v41, v41 offset:28
	s_wait_dscnt 0x0
	v_mul_f32_e32 v41, v134, v41
.LBB95_369:
	s_or_b32 exec_lo, exec_lo, s4
	v_cmp_lt_u32_e64 s0, 6, v0
	ds_store_b32 v133, v40
	s_wait_dscnt 0x0
	s_barrier_signal -1
	s_barrier_wait -1
	s_and_saveexec_b32 s4, s0
	s_cbranch_execz .LBB95_385
; %bb.370:
	s_and_not1_b32 vcc_lo, exec_lo, s33
	s_cbranch_vccnz .LBB95_372
; %bb.371:
	v_cmp_eq_u32_e32 vcc_lo, 1, v0
	ds_load_b32 v131, v133
	v_cndmask_b32_e32 v130, v34, v35, vcc_lo
	v_cmp_eq_u32_e32 vcc_lo, 2, v0
	s_delay_alu instid0(VALU_DEP_2) | instskip(SKIP_1) | instid1(VALU_DEP_2)
	v_cndmask_b32_e32 v130, v130, v36, vcc_lo
	v_cmp_eq_u32_e32 vcc_lo, 3, v0
	v_cndmask_b32_e32 v130, v130, v37, vcc_lo
	v_cmp_eq_u32_e32 vcc_lo, 4, v0
	s_delay_alu instid0(VALU_DEP_2) | instskip(SKIP_1) | instid1(VALU_DEP_2)
	v_cndmask_b32_e32 v130, v130, v38, vcc_lo
	v_cmp_eq_u32_e32 vcc_lo, 5, v0
	;; [unrolled: 5-line block ×15, first 2 shown]
	v_cndmask_b32_e32 v130, v130, v65, vcc_lo
	s_wait_dscnt 0x0
	s_delay_alu instid0(VALU_DEP_1)
	v_mul_f32_e32 v134, v130, v131
	s_cbranch_execz .LBB95_373
	s_branch .LBB95_374
.LBB95_372:
                                        ; implicit-def: $vgpr134
.LBB95_373:
	ds_load_b32 v134, v133
.LBB95_374:
	s_and_saveexec_b32 s5, s1
	s_cbranch_execz .LBB95_384
; %bb.375:
	v_dual_add_nc_u32 v130, -8, v0 :: v_dual_add_nc_u32 v131, -7, v0
	s_delay_alu instid0(VALU_DEP_1)
	v_cmp_lt_u32_e32 vcc_lo, 6, v130
	v_mov_b32_e32 v130, 7
	s_and_saveexec_b32 s1, vcc_lo
	s_cbranch_execz .LBB95_379
; %bb.376:
	v_and_b32_e32 v130, -8, v131
	s_mov_b32 s6, 0
	s_mov_b64 s[2:3], 14
	s_movk_i32 s7, 0x9c
	s_delay_alu instid0(VALU_DEP_1)
	v_sub_nc_u32_e32 v132, 0, v130
.LBB95_377:                             ; =>This Inner Loop Header: Depth=1
	s_add_co_i32 m0, s2, -7
	v_movrels_b32_e32 v135, v34
	v_mov_b32_e32 v130, s7
	s_add_co_i32 m0, s2, -6
	s_add_co_i32 s7, s7, 32
	v_movrels_b32_e32 v144, v34
	ds_load_2addr_b32 v[136:137], v130 offset1:1
	ds_load_2addr_b32 v[138:139], v130 offset0:2 offset1:3
	s_add_co_i32 m0, s2, -5
	s_wait_dscnt 0x1
	v_fmac_f32_e32 v134, v135, v136
	ds_load_2addr_b32 v[140:141], v130 offset0:4 offset1:5
	ds_load_2addr_b32 v[142:143], v130 offset0:6 offset1:7
	v_movrels_b32_e32 v130, v34
	s_add_co_i32 m0, s2, -4
	v_fmac_f32_e32 v134, v144, v137
	v_movrels_b32_e32 v135, v34
	s_add_co_i32 m0, s2, -3
	s_wait_dscnt 0x2
	s_delay_alu instid0(VALU_DEP_2) | instskip(SKIP_2) | instid1(VALU_DEP_2)
	v_fmac_f32_e32 v134, v130, v138
	v_movrels_b32_e32 v130, v34
	s_add_co_i32 m0, s2, -2
	v_fmac_f32_e32 v134, v135, v139
	v_movrels_b32_e32 v135, v34
	s_add_co_i32 m0, s2, -1
	s_wait_dscnt 0x1
	s_delay_alu instid0(VALU_DEP_2)
	v_fmac_f32_e32 v134, v130, v140
	v_movrels_b32_e32 v130, v34
	s_mov_b32 m0, s2
	s_add_nc_u64 s[2:3], s[2:3], 8
	v_movrels_b32_e32 v136, v34
	v_dual_fmac_f32 v134, v135, v141 :: v_dual_add_nc_u32 v135, s2, v132
	s_add_co_i32 s8, s2, -7
	s_wait_dscnt 0x0
	s_delay_alu instid0(VALU_DEP_1) | instskip(NEXT) | instid1(VALU_DEP_2)
	v_fmac_f32_e32 v134, v130, v142
	v_cmp_eq_u32_e32 vcc_lo, 14, v135
	s_delay_alu instid0(VALU_DEP_2) | instskip(SKIP_1) | instid1(SALU_CYCLE_1)
	v_dual_mov_b32 v130, s8 :: v_dual_fmac_f32 v134, v136, v143
	s_or_b32 s6, vcc_lo, s6
	s_and_not1_b32 exec_lo, exec_lo, s6
	s_cbranch_execnz .LBB95_377
; %bb.378:
	s_or_b32 exec_lo, exec_lo, s6
.LBB95_379:
	s_delay_alu instid0(SALU_CYCLE_1) | instskip(SKIP_3) | instid1(VALU_DEP_1)
	s_or_b32 exec_lo, exec_lo, s1
	v_and_b32_e32 v132, 7, v131
	s_mov_b32 s2, 0
	s_mov_b32 s1, exec_lo
	v_cmpx_ne_u32_e32 0, v132
	s_cbranch_execz .LBB95_383
; %bb.380:
	v_lshl_add_u32 v135, v130, 2, 0x80
	v_mov_b32_e32 v131, 0
.LBB95_381:                             ; =>This Inner Loop Header: Depth=1
	v_cmp_eq_u32_e32 vcc_lo, 1, v130
	ds_load_b32 v137, v135
	v_dual_add_nc_u32 v132, -1, v132 :: v_dual_add_nc_u32 v135, 4, v135
	v_cndmask_b32_e32 v136, v34, v35, vcc_lo
	v_cmp_eq_u32_e32 vcc_lo, 2, v130
	s_delay_alu instid0(VALU_DEP_2) | instskip(SKIP_1) | instid1(VALU_DEP_2)
	v_cndmask_b32_e32 v136, v136, v36, vcc_lo
	v_cmp_eq_u32_e32 vcc_lo, 3, v130
	v_cndmask_b32_e32 v136, v136, v37, vcc_lo
	v_cmp_eq_u32_e32 vcc_lo, 4, v130
	s_delay_alu instid0(VALU_DEP_2) | instskip(SKIP_1) | instid1(VALU_DEP_2)
	v_cndmask_b32_e32 v136, v136, v38, vcc_lo
	v_cmp_eq_u32_e32 vcc_lo, 5, v130
	;; [unrolled: 5-line block ×14, first 2 shown]
	v_cndmask_b32_e32 v136, v136, v63, vcc_lo
	v_cmp_eq_u32_e32 vcc_lo, 30, v130
	s_delay_alu instid0(VALU_DEP_2) | instskip(SKIP_2) | instid1(VALU_DEP_3)
	v_cndmask_b32_e32 v136, v136, v64, vcc_lo
	v_cmp_eq_u32_e32 vcc_lo, 31, v130
	v_add_nc_u64_e32 v[130:131], 1, v[130:131]
	v_cndmask_b32_e32 v136, v136, v65, vcc_lo
	v_cmp_eq_u32_e32 vcc_lo, 0, v132
	s_wait_dscnt 0x0
	s_delay_alu instid0(VALU_DEP_2) | instskip(SKIP_1) | instid1(SALU_CYCLE_1)
	v_fmac_f32_e32 v134, v136, v137
	s_or_b32 s2, vcc_lo, s2
	s_and_not1_b32 exec_lo, exec_lo, s2
	s_cbranch_execnz .LBB95_381
; %bb.382:
	s_or_b32 exec_lo, exec_lo, s2
.LBB95_383:
	s_delay_alu instid0(SALU_CYCLE_1)
	s_or_b32 exec_lo, exec_lo, s1
.LBB95_384:
	s_delay_alu instid0(SALU_CYCLE_1)
	s_or_b32 exec_lo, exec_lo, s5
	v_mov_b32_e32 v40, 0
	ds_load_b32 v40, v40 offset:24
	s_wait_dscnt 0x0
	v_mul_f32_e32 v40, v134, v40
.LBB95_385:
	s_or_b32 exec_lo, exec_lo, s4
	v_cmp_lt_u32_e64 s1, 5, v0
	ds_store_b32 v133, v39
	s_wait_dscnt 0x0
	s_barrier_signal -1
	s_barrier_wait -1
	s_and_saveexec_b32 s4, s1
	s_cbranch_execz .LBB95_401
; %bb.386:
	s_and_not1_b32 vcc_lo, exec_lo, s33
	s_cbranch_vccnz .LBB95_388
; %bb.387:
	v_cmp_eq_u32_e32 vcc_lo, 1, v0
	ds_load_b32 v131, v133
	v_cndmask_b32_e32 v130, v34, v35, vcc_lo
	v_cmp_eq_u32_e32 vcc_lo, 2, v0
	s_delay_alu instid0(VALU_DEP_2) | instskip(SKIP_1) | instid1(VALU_DEP_2)
	v_cndmask_b32_e32 v130, v130, v36, vcc_lo
	v_cmp_eq_u32_e32 vcc_lo, 3, v0
	v_cndmask_b32_e32 v130, v130, v37, vcc_lo
	v_cmp_eq_u32_e32 vcc_lo, 4, v0
	s_delay_alu instid0(VALU_DEP_2) | instskip(SKIP_1) | instid1(VALU_DEP_2)
	v_cndmask_b32_e32 v130, v130, v38, vcc_lo
	v_cmp_eq_u32_e32 vcc_lo, 5, v0
	;; [unrolled: 5-line block ×15, first 2 shown]
	v_cndmask_b32_e32 v130, v130, v65, vcc_lo
	s_wait_dscnt 0x0
	s_delay_alu instid0(VALU_DEP_1)
	v_mul_f32_e32 v134, v130, v131
	s_cbranch_execz .LBB95_389
	s_branch .LBB95_390
.LBB95_388:
                                        ; implicit-def: $vgpr134
.LBB95_389:
	ds_load_b32 v134, v133
.LBB95_390:
	s_and_saveexec_b32 s5, s0
	s_cbranch_execz .LBB95_400
; %bb.391:
	v_dual_add_nc_u32 v132, -7, v0 :: v_dual_add_nc_u32 v131, -6, v0
	v_mov_b32_e32 v130, 6
	s_mov_b32 s0, exec_lo
	s_delay_alu instid0(VALU_DEP_2)
	v_cmpx_lt_u32_e32 6, v132
	s_cbranch_execz .LBB95_395
; %bb.392:
	v_and_b32_e32 v130, -8, v131
	s_mov_b32 s6, 0
	s_mov_b64 s[2:3], 13
	s_movk_i32 s7, 0x98
	s_delay_alu instid0(VALU_DEP_1)
	v_sub_nc_u32_e32 v132, 0, v130
.LBB95_393:                             ; =>This Inner Loop Header: Depth=1
	s_add_co_i32 m0, s2, -7
	v_movrels_b32_e32 v135, v34
	v_mov_b32_e32 v130, s7
	s_add_co_i32 m0, s2, -6
	s_add_co_i32 s7, s7, 32
	v_movrels_b32_e32 v144, v34
	s_add_co_i32 m0, s2, -5
	ds_load_2addr_b64 v[136:139], v130 offset1:1
	ds_load_2addr_b64 v[140:143], v130 offset0:2 offset1:3
	v_movrels_b32_e32 v130, v34
	s_add_co_i32 m0, s2, -4
	s_wait_dscnt 0x1
	v_fmac_f32_e32 v134, v135, v136
	v_movrels_b32_e32 v135, v34
	s_add_co_i32 m0, s2, -3
	s_delay_alu instid0(VALU_DEP_2) | instskip(NEXT) | instid1(VALU_DEP_1)
	v_fmac_f32_e32 v134, v144, v137
	v_fmac_f32_e32 v134, v130, v138
	v_movrels_b32_e32 v130, v34
	s_add_co_i32 m0, s2, -2
	s_delay_alu instid0(VALU_DEP_2) | instskip(SKIP_3) | instid1(VALU_DEP_2)
	v_fmac_f32_e32 v134, v135, v139
	v_movrels_b32_e32 v135, v34
	s_add_co_i32 m0, s2, -1
	s_wait_dscnt 0x0
	v_fmac_f32_e32 v134, v130, v140
	v_movrels_b32_e32 v130, v34
	s_mov_b32 m0, s2
	s_add_nc_u64 s[2:3], s[2:3], 8
	v_movrels_b32_e32 v136, v34
	v_dual_fmac_f32 v134, v135, v141 :: v_dual_add_nc_u32 v135, s2, v132
	s_add_co_i32 s8, s2, -7
	s_delay_alu instid0(VALU_DEP_1) | instskip(NEXT) | instid1(VALU_DEP_2)
	v_fmac_f32_e32 v134, v130, v142
	v_cmp_eq_u32_e32 vcc_lo, 13, v135
	s_delay_alu instid0(VALU_DEP_2) | instskip(SKIP_1) | instid1(SALU_CYCLE_1)
	v_dual_mov_b32 v130, s8 :: v_dual_fmac_f32 v134, v136, v143
	s_or_b32 s6, vcc_lo, s6
	s_and_not1_b32 exec_lo, exec_lo, s6
	s_cbranch_execnz .LBB95_393
; %bb.394:
	s_or_b32 exec_lo, exec_lo, s6
.LBB95_395:
	s_delay_alu instid0(SALU_CYCLE_1) | instskip(SKIP_3) | instid1(VALU_DEP_1)
	s_or_b32 exec_lo, exec_lo, s0
	v_and_b32_e32 v132, 7, v131
	s_mov_b32 s2, 0
	s_mov_b32 s0, exec_lo
	v_cmpx_ne_u32_e32 0, v132
	s_cbranch_execz .LBB95_399
; %bb.396:
	v_lshl_add_u32 v135, v130, 2, 0x80
	v_mov_b32_e32 v131, 0
.LBB95_397:                             ; =>This Inner Loop Header: Depth=1
	v_cmp_eq_u32_e32 vcc_lo, 1, v130
	ds_load_b32 v137, v135
	v_dual_add_nc_u32 v132, -1, v132 :: v_dual_add_nc_u32 v135, 4, v135
	v_cndmask_b32_e32 v136, v34, v35, vcc_lo
	v_cmp_eq_u32_e32 vcc_lo, 2, v130
	s_delay_alu instid0(VALU_DEP_2) | instskip(SKIP_1) | instid1(VALU_DEP_2)
	v_cndmask_b32_e32 v136, v136, v36, vcc_lo
	v_cmp_eq_u32_e32 vcc_lo, 3, v130
	v_cndmask_b32_e32 v136, v136, v37, vcc_lo
	v_cmp_eq_u32_e32 vcc_lo, 4, v130
	s_delay_alu instid0(VALU_DEP_2) | instskip(SKIP_1) | instid1(VALU_DEP_2)
	v_cndmask_b32_e32 v136, v136, v38, vcc_lo
	v_cmp_eq_u32_e32 vcc_lo, 5, v130
	;; [unrolled: 5-line block ×14, first 2 shown]
	v_cndmask_b32_e32 v136, v136, v63, vcc_lo
	v_cmp_eq_u32_e32 vcc_lo, 30, v130
	s_delay_alu instid0(VALU_DEP_2) | instskip(SKIP_2) | instid1(VALU_DEP_3)
	v_cndmask_b32_e32 v136, v136, v64, vcc_lo
	v_cmp_eq_u32_e32 vcc_lo, 31, v130
	v_add_nc_u64_e32 v[130:131], 1, v[130:131]
	v_cndmask_b32_e32 v136, v136, v65, vcc_lo
	v_cmp_eq_u32_e32 vcc_lo, 0, v132
	s_wait_dscnt 0x0
	s_delay_alu instid0(VALU_DEP_2) | instskip(SKIP_1) | instid1(SALU_CYCLE_1)
	v_fmac_f32_e32 v134, v136, v137
	s_or_b32 s2, vcc_lo, s2
	s_and_not1_b32 exec_lo, exec_lo, s2
	s_cbranch_execnz .LBB95_397
; %bb.398:
	s_or_b32 exec_lo, exec_lo, s2
.LBB95_399:
	s_delay_alu instid0(SALU_CYCLE_1)
	s_or_b32 exec_lo, exec_lo, s0
.LBB95_400:
	s_delay_alu instid0(SALU_CYCLE_1)
	s_or_b32 exec_lo, exec_lo, s5
	v_mov_b32_e32 v39, 0
	ds_load_b32 v39, v39 offset:20
	s_wait_dscnt 0x0
	v_mul_f32_e32 v39, v134, v39
.LBB95_401:
	s_or_b32 exec_lo, exec_lo, s4
	v_cmp_lt_u32_e64 s0, 4, v0
	ds_store_b32 v133, v38
	s_wait_dscnt 0x0
	s_barrier_signal -1
	s_barrier_wait -1
	s_and_saveexec_b32 s4, s0
	s_cbranch_execz .LBB95_417
; %bb.402:
	s_and_not1_b32 vcc_lo, exec_lo, s33
	s_cbranch_vccnz .LBB95_404
; %bb.403:
	v_cmp_eq_u32_e32 vcc_lo, 1, v0
	ds_load_b32 v131, v133
	v_cndmask_b32_e32 v130, v34, v35, vcc_lo
	v_cmp_eq_u32_e32 vcc_lo, 2, v0
	s_delay_alu instid0(VALU_DEP_2) | instskip(SKIP_1) | instid1(VALU_DEP_2)
	v_cndmask_b32_e32 v130, v130, v36, vcc_lo
	v_cmp_eq_u32_e32 vcc_lo, 3, v0
	v_cndmask_b32_e32 v130, v130, v37, vcc_lo
	v_cmp_eq_u32_e32 vcc_lo, 4, v0
	s_delay_alu instid0(VALU_DEP_2) | instskip(SKIP_1) | instid1(VALU_DEP_2)
	v_cndmask_b32_e32 v130, v130, v38, vcc_lo
	v_cmp_eq_u32_e32 vcc_lo, 5, v0
	;; [unrolled: 5-line block ×15, first 2 shown]
	v_cndmask_b32_e32 v130, v130, v65, vcc_lo
	s_wait_dscnt 0x0
	s_delay_alu instid0(VALU_DEP_1)
	v_mul_f32_e32 v134, v130, v131
	s_cbranch_execz .LBB95_405
	s_branch .LBB95_406
.LBB95_404:
                                        ; implicit-def: $vgpr134
.LBB95_405:
	ds_load_b32 v134, v133
.LBB95_406:
	s_and_saveexec_b32 s5, s1
	s_cbranch_execz .LBB95_416
; %bb.407:
	v_dual_add_nc_u32 v130, -6, v0 :: v_dual_add_nc_u32 v131, -5, v0
	s_delay_alu instid0(VALU_DEP_1)
	v_cmp_lt_u32_e32 vcc_lo, 6, v130
	v_mov_b32_e32 v130, 5
	s_and_saveexec_b32 s1, vcc_lo
	s_cbranch_execz .LBB95_411
; %bb.408:
	v_and_b32_e32 v130, -8, v131
	s_mov_b32 s6, 0
	s_mov_b64 s[2:3], 12
	s_movk_i32 s7, 0x94
	s_delay_alu instid0(VALU_DEP_1)
	v_sub_nc_u32_e32 v132, 0, v130
.LBB95_409:                             ; =>This Inner Loop Header: Depth=1
	s_add_co_i32 m0, s2, -7
	v_movrels_b32_e32 v135, v34
	v_mov_b32_e32 v130, s7
	s_add_co_i32 m0, s2, -6
	s_add_co_i32 s7, s7, 32
	v_movrels_b32_e32 v144, v34
	ds_load_2addr_b32 v[136:137], v130 offset1:1
	ds_load_2addr_b32 v[138:139], v130 offset0:2 offset1:3
	s_add_co_i32 m0, s2, -5
	s_wait_dscnt 0x1
	v_fmac_f32_e32 v134, v135, v136
	ds_load_2addr_b32 v[140:141], v130 offset0:4 offset1:5
	ds_load_2addr_b32 v[142:143], v130 offset0:6 offset1:7
	v_movrels_b32_e32 v130, v34
	s_add_co_i32 m0, s2, -4
	v_fmac_f32_e32 v134, v144, v137
	v_movrels_b32_e32 v135, v34
	s_add_co_i32 m0, s2, -3
	s_wait_dscnt 0x2
	s_delay_alu instid0(VALU_DEP_2) | instskip(SKIP_2) | instid1(VALU_DEP_2)
	v_fmac_f32_e32 v134, v130, v138
	v_movrels_b32_e32 v130, v34
	s_add_co_i32 m0, s2, -2
	v_fmac_f32_e32 v134, v135, v139
	v_movrels_b32_e32 v135, v34
	s_add_co_i32 m0, s2, -1
	s_wait_dscnt 0x1
	s_delay_alu instid0(VALU_DEP_2)
	v_fmac_f32_e32 v134, v130, v140
	v_movrels_b32_e32 v130, v34
	s_mov_b32 m0, s2
	s_add_nc_u64 s[2:3], s[2:3], 8
	v_movrels_b32_e32 v136, v34
	v_dual_fmac_f32 v134, v135, v141 :: v_dual_add_nc_u32 v135, s2, v132
	s_add_co_i32 s8, s2, -7
	s_wait_dscnt 0x0
	s_delay_alu instid0(VALU_DEP_1) | instskip(NEXT) | instid1(VALU_DEP_2)
	v_fmac_f32_e32 v134, v130, v142
	v_cmp_eq_u32_e32 vcc_lo, 12, v135
	s_delay_alu instid0(VALU_DEP_2) | instskip(SKIP_1) | instid1(SALU_CYCLE_1)
	v_dual_mov_b32 v130, s8 :: v_dual_fmac_f32 v134, v136, v143
	s_or_b32 s6, vcc_lo, s6
	s_and_not1_b32 exec_lo, exec_lo, s6
	s_cbranch_execnz .LBB95_409
; %bb.410:
	s_or_b32 exec_lo, exec_lo, s6
.LBB95_411:
	s_delay_alu instid0(SALU_CYCLE_1) | instskip(SKIP_3) | instid1(VALU_DEP_1)
	s_or_b32 exec_lo, exec_lo, s1
	v_and_b32_e32 v132, 7, v131
	s_mov_b32 s2, 0
	s_mov_b32 s1, exec_lo
	v_cmpx_ne_u32_e32 0, v132
	s_cbranch_execz .LBB95_415
; %bb.412:
	v_lshl_add_u32 v135, v130, 2, 0x80
	v_mov_b32_e32 v131, 0
.LBB95_413:                             ; =>This Inner Loop Header: Depth=1
	v_cmp_eq_u32_e32 vcc_lo, 1, v130
	ds_load_b32 v137, v135
	v_dual_add_nc_u32 v132, -1, v132 :: v_dual_add_nc_u32 v135, 4, v135
	v_cndmask_b32_e32 v136, v34, v35, vcc_lo
	v_cmp_eq_u32_e32 vcc_lo, 2, v130
	s_delay_alu instid0(VALU_DEP_2) | instskip(SKIP_1) | instid1(VALU_DEP_2)
	v_cndmask_b32_e32 v136, v136, v36, vcc_lo
	v_cmp_eq_u32_e32 vcc_lo, 3, v130
	v_cndmask_b32_e32 v136, v136, v37, vcc_lo
	v_cmp_eq_u32_e32 vcc_lo, 4, v130
	s_delay_alu instid0(VALU_DEP_2) | instskip(SKIP_1) | instid1(VALU_DEP_2)
	v_cndmask_b32_e32 v136, v136, v38, vcc_lo
	v_cmp_eq_u32_e32 vcc_lo, 5, v130
	v_cndmask_b32_e32 v136, v136, v39, vcc_lo
	v_cmp_eq_u32_e32 vcc_lo, 6, v130
	s_delay_alu instid0(VALU_DEP_2) | instskip(SKIP_1) | instid1(VALU_DEP_2)
	v_cndmask_b32_e32 v136, v136, v40, vcc_lo
	v_cmp_eq_u32_e32 vcc_lo, 7, v130
	v_cndmask_b32_e32 v136, v136, v41, vcc_lo
	v_cmp_eq_u32_e32 vcc_lo, 8, v130
	s_delay_alu instid0(VALU_DEP_2) | instskip(SKIP_1) | instid1(VALU_DEP_2)
	v_cndmask_b32_e32 v136, v136, v42, vcc_lo
	v_cmp_eq_u32_e32 vcc_lo, 9, v130
	v_cndmask_b32_e32 v136, v136, v43, vcc_lo
	v_cmp_eq_u32_e32 vcc_lo, 10, v130
	s_delay_alu instid0(VALU_DEP_2) | instskip(SKIP_1) | instid1(VALU_DEP_2)
	v_cndmask_b32_e32 v136, v136, v44, vcc_lo
	v_cmp_eq_u32_e32 vcc_lo, 11, v130
	v_cndmask_b32_e32 v136, v136, v45, vcc_lo
	v_cmp_eq_u32_e32 vcc_lo, 12, v130
	s_delay_alu instid0(VALU_DEP_2) | instskip(SKIP_1) | instid1(VALU_DEP_2)
	v_cndmask_b32_e32 v136, v136, v46, vcc_lo
	v_cmp_eq_u32_e32 vcc_lo, 13, v130
	v_cndmask_b32_e32 v136, v136, v47, vcc_lo
	v_cmp_eq_u32_e32 vcc_lo, 14, v130
	s_delay_alu instid0(VALU_DEP_2) | instskip(SKIP_1) | instid1(VALU_DEP_2)
	v_cndmask_b32_e32 v136, v136, v48, vcc_lo
	v_cmp_eq_u32_e32 vcc_lo, 15, v130
	v_cndmask_b32_e32 v136, v136, v49, vcc_lo
	v_cmp_eq_u32_e32 vcc_lo, 16, v130
	s_delay_alu instid0(VALU_DEP_2) | instskip(SKIP_1) | instid1(VALU_DEP_2)
	v_cndmask_b32_e32 v136, v136, v50, vcc_lo
	v_cmp_eq_u32_e32 vcc_lo, 17, v130
	v_cndmask_b32_e32 v136, v136, v51, vcc_lo
	v_cmp_eq_u32_e32 vcc_lo, 18, v130
	s_delay_alu instid0(VALU_DEP_2) | instskip(SKIP_1) | instid1(VALU_DEP_2)
	v_cndmask_b32_e32 v136, v136, v52, vcc_lo
	v_cmp_eq_u32_e32 vcc_lo, 19, v130
	v_cndmask_b32_e32 v136, v136, v53, vcc_lo
	v_cmp_eq_u32_e32 vcc_lo, 20, v130
	s_delay_alu instid0(VALU_DEP_2) | instskip(SKIP_1) | instid1(VALU_DEP_2)
	v_cndmask_b32_e32 v136, v136, v54, vcc_lo
	v_cmp_eq_u32_e32 vcc_lo, 21, v130
	v_cndmask_b32_e32 v136, v136, v55, vcc_lo
	v_cmp_eq_u32_e32 vcc_lo, 22, v130
	s_delay_alu instid0(VALU_DEP_2) | instskip(SKIP_1) | instid1(VALU_DEP_2)
	v_cndmask_b32_e32 v136, v136, v56, vcc_lo
	v_cmp_eq_u32_e32 vcc_lo, 23, v130
	v_cndmask_b32_e32 v136, v136, v57, vcc_lo
	v_cmp_eq_u32_e32 vcc_lo, 24, v130
	s_delay_alu instid0(VALU_DEP_2) | instskip(SKIP_1) | instid1(VALU_DEP_2)
	v_cndmask_b32_e32 v136, v136, v58, vcc_lo
	v_cmp_eq_u32_e32 vcc_lo, 25, v130
	v_cndmask_b32_e32 v136, v136, v59, vcc_lo
	v_cmp_eq_u32_e32 vcc_lo, 26, v130
	s_delay_alu instid0(VALU_DEP_2) | instskip(SKIP_1) | instid1(VALU_DEP_2)
	v_cndmask_b32_e32 v136, v136, v60, vcc_lo
	v_cmp_eq_u32_e32 vcc_lo, 27, v130
	v_cndmask_b32_e32 v136, v136, v61, vcc_lo
	v_cmp_eq_u32_e32 vcc_lo, 28, v130
	s_delay_alu instid0(VALU_DEP_2) | instskip(SKIP_1) | instid1(VALU_DEP_2)
	v_cndmask_b32_e32 v136, v136, v62, vcc_lo
	v_cmp_eq_u32_e32 vcc_lo, 29, v130
	v_cndmask_b32_e32 v136, v136, v63, vcc_lo
	v_cmp_eq_u32_e32 vcc_lo, 30, v130
	s_delay_alu instid0(VALU_DEP_2) | instskip(SKIP_2) | instid1(VALU_DEP_3)
	v_cndmask_b32_e32 v136, v136, v64, vcc_lo
	v_cmp_eq_u32_e32 vcc_lo, 31, v130
	v_add_nc_u64_e32 v[130:131], 1, v[130:131]
	v_cndmask_b32_e32 v136, v136, v65, vcc_lo
	v_cmp_eq_u32_e32 vcc_lo, 0, v132
	s_wait_dscnt 0x0
	s_delay_alu instid0(VALU_DEP_2) | instskip(SKIP_1) | instid1(SALU_CYCLE_1)
	v_fmac_f32_e32 v134, v136, v137
	s_or_b32 s2, vcc_lo, s2
	s_and_not1_b32 exec_lo, exec_lo, s2
	s_cbranch_execnz .LBB95_413
; %bb.414:
	s_or_b32 exec_lo, exec_lo, s2
.LBB95_415:
	s_delay_alu instid0(SALU_CYCLE_1)
	s_or_b32 exec_lo, exec_lo, s1
.LBB95_416:
	s_delay_alu instid0(SALU_CYCLE_1)
	s_or_b32 exec_lo, exec_lo, s5
	v_mov_b32_e32 v38, 0
	ds_load_b32 v38, v38 offset:16
	s_wait_dscnt 0x0
	v_mul_f32_e32 v38, v134, v38
.LBB95_417:
	s_or_b32 exec_lo, exec_lo, s4
	v_cmp_lt_u32_e64 s1, 3, v0
	ds_store_b32 v133, v37
	s_wait_dscnt 0x0
	s_barrier_signal -1
	s_barrier_wait -1
	s_and_saveexec_b32 s4, s1
	s_cbranch_execz .LBB95_433
; %bb.418:
	s_and_not1_b32 vcc_lo, exec_lo, s33
	s_cbranch_vccnz .LBB95_420
; %bb.419:
	v_cmp_eq_u32_e32 vcc_lo, 1, v0
	ds_load_b32 v131, v133
	v_cndmask_b32_e32 v130, v34, v35, vcc_lo
	v_cmp_eq_u32_e32 vcc_lo, 2, v0
	s_delay_alu instid0(VALU_DEP_2) | instskip(SKIP_1) | instid1(VALU_DEP_2)
	v_cndmask_b32_e32 v130, v130, v36, vcc_lo
	v_cmp_eq_u32_e32 vcc_lo, 3, v0
	v_cndmask_b32_e32 v130, v130, v37, vcc_lo
	v_cmp_eq_u32_e32 vcc_lo, 4, v0
	s_delay_alu instid0(VALU_DEP_2) | instskip(SKIP_1) | instid1(VALU_DEP_2)
	v_cndmask_b32_e32 v130, v130, v38, vcc_lo
	v_cmp_eq_u32_e32 vcc_lo, 5, v0
	;; [unrolled: 5-line block ×15, first 2 shown]
	v_cndmask_b32_e32 v130, v130, v65, vcc_lo
	s_wait_dscnt 0x0
	s_delay_alu instid0(VALU_DEP_1)
	v_mul_f32_e32 v134, v130, v131
	s_cbranch_execz .LBB95_421
	s_branch .LBB95_422
.LBB95_420:
                                        ; implicit-def: $vgpr134
.LBB95_421:
	ds_load_b32 v134, v133
.LBB95_422:
	s_and_saveexec_b32 s5, s0
	s_cbranch_execz .LBB95_432
; %bb.423:
	v_dual_add_nc_u32 v130, -5, v0 :: v_dual_add_nc_u32 v131, -4, v0
	s_delay_alu instid0(VALU_DEP_1)
	v_cmp_lt_u32_e32 vcc_lo, 6, v130
	v_mov_b32_e32 v130, 4
	s_and_saveexec_b32 s0, vcc_lo
	s_cbranch_execz .LBB95_427
; %bb.424:
	v_and_b32_e32 v130, -8, v131
	s_mov_b32 s6, 0
	s_mov_b64 s[2:3], 5
	s_movk_i32 s7, 0x90
	s_delay_alu instid0(VALU_DEP_1)
	v_sub_nc_u32_e32 v132, 0, v130
.LBB95_425:                             ; =>This Inner Loop Header: Depth=1
	s_add_co_i32 m0, s2, -1
	v_movrels_b32_e32 v135, v34
	v_mov_b32_e32 v130, s7
	s_mov_b32 m0, s2
	s_add_co_i32 s7, s7, 32
	v_movrels_b32_e32 v144, v34
	s_add_co_i32 m0, s2, 1
	ds_load_b128 v[136:139], v130
	ds_load_b128 v[140:143], v130 offset:16
	v_movrels_b32_e32 v130, v34
	s_add_co_i32 m0, s2, 2
	s_wait_dscnt 0x1
	v_fmac_f32_e32 v134, v135, v136
	v_movrels_b32_e32 v135, v34
	s_add_co_i32 m0, s2, 3
	s_delay_alu instid0(VALU_DEP_2) | instskip(NEXT) | instid1(VALU_DEP_1)
	v_fmac_f32_e32 v134, v144, v137
	v_fmac_f32_e32 v134, v130, v138
	v_movrels_b32_e32 v130, v34
	s_add_co_i32 m0, s2, 4
	s_delay_alu instid0(VALU_DEP_2) | instskip(SKIP_3) | instid1(VALU_DEP_2)
	v_fmac_f32_e32 v134, v135, v139
	v_movrels_b32_e32 v135, v34
	s_add_co_i32 m0, s2, 5
	s_wait_dscnt 0x0
	v_fmac_f32_e32 v134, v130, v140
	v_movrels_b32_e32 v130, v34
	s_add_co_i32 m0, s2, 6
	s_add_nc_u64 s[2:3], s[2:3], 8
	v_movrels_b32_e32 v136, v34
	v_dual_fmac_f32 v134, v135, v141 :: v_dual_add_nc_u32 v135, s2, v132
	s_add_co_i32 s8, s2, -1
	s_delay_alu instid0(VALU_DEP_1) | instskip(NEXT) | instid1(VALU_DEP_2)
	v_fmac_f32_e32 v134, v130, v142
	v_cmp_eq_u32_e32 vcc_lo, 5, v135
	s_delay_alu instid0(VALU_DEP_2) | instskip(SKIP_1) | instid1(SALU_CYCLE_1)
	v_dual_mov_b32 v130, s8 :: v_dual_fmac_f32 v134, v136, v143
	s_or_b32 s6, vcc_lo, s6
	s_and_not1_b32 exec_lo, exec_lo, s6
	s_cbranch_execnz .LBB95_425
; %bb.426:
	s_or_b32 exec_lo, exec_lo, s6
.LBB95_427:
	s_delay_alu instid0(SALU_CYCLE_1) | instskip(SKIP_3) | instid1(VALU_DEP_1)
	s_or_b32 exec_lo, exec_lo, s0
	v_and_b32_e32 v132, 7, v131
	s_mov_b32 s2, 0
	s_mov_b32 s0, exec_lo
	v_cmpx_ne_u32_e32 0, v132
	s_cbranch_execz .LBB95_431
; %bb.428:
	v_lshl_add_u32 v135, v130, 2, 0x80
	v_mov_b32_e32 v131, 0
.LBB95_429:                             ; =>This Inner Loop Header: Depth=1
	v_cmp_eq_u32_e32 vcc_lo, 1, v130
	ds_load_b32 v137, v135
	v_dual_add_nc_u32 v132, -1, v132 :: v_dual_add_nc_u32 v135, 4, v135
	v_cndmask_b32_e32 v136, v34, v35, vcc_lo
	v_cmp_eq_u32_e32 vcc_lo, 2, v130
	s_delay_alu instid0(VALU_DEP_2) | instskip(SKIP_1) | instid1(VALU_DEP_2)
	v_cndmask_b32_e32 v136, v136, v36, vcc_lo
	v_cmp_eq_u32_e32 vcc_lo, 3, v130
	v_cndmask_b32_e32 v136, v136, v37, vcc_lo
	v_cmp_eq_u32_e32 vcc_lo, 4, v130
	s_delay_alu instid0(VALU_DEP_2) | instskip(SKIP_1) | instid1(VALU_DEP_2)
	v_cndmask_b32_e32 v136, v136, v38, vcc_lo
	v_cmp_eq_u32_e32 vcc_lo, 5, v130
	;; [unrolled: 5-line block ×14, first 2 shown]
	v_cndmask_b32_e32 v136, v136, v63, vcc_lo
	v_cmp_eq_u32_e32 vcc_lo, 30, v130
	s_delay_alu instid0(VALU_DEP_2) | instskip(SKIP_2) | instid1(VALU_DEP_3)
	v_cndmask_b32_e32 v136, v136, v64, vcc_lo
	v_cmp_eq_u32_e32 vcc_lo, 31, v130
	v_add_nc_u64_e32 v[130:131], 1, v[130:131]
	v_cndmask_b32_e32 v136, v136, v65, vcc_lo
	v_cmp_eq_u32_e32 vcc_lo, 0, v132
	s_wait_dscnt 0x0
	s_delay_alu instid0(VALU_DEP_2) | instskip(SKIP_1) | instid1(SALU_CYCLE_1)
	v_fmac_f32_e32 v134, v136, v137
	s_or_b32 s2, vcc_lo, s2
	s_and_not1_b32 exec_lo, exec_lo, s2
	s_cbranch_execnz .LBB95_429
; %bb.430:
	s_or_b32 exec_lo, exec_lo, s2
.LBB95_431:
	s_delay_alu instid0(SALU_CYCLE_1)
	s_or_b32 exec_lo, exec_lo, s0
.LBB95_432:
	s_delay_alu instid0(SALU_CYCLE_1)
	s_or_b32 exec_lo, exec_lo, s5
	v_mov_b32_e32 v37, 0
	ds_load_b32 v37, v37 offset:12
	s_wait_dscnt 0x0
	v_mul_f32_e32 v37, v134, v37
.LBB95_433:
	s_or_b32 exec_lo, exec_lo, s4
	v_cmp_lt_u32_e64 s0, 2, v0
	ds_store_b32 v133, v36
	s_wait_dscnt 0x0
	s_barrier_signal -1
	s_barrier_wait -1
	s_and_saveexec_b32 s4, s0
	s_cbranch_execz .LBB95_449
; %bb.434:
	s_and_not1_b32 vcc_lo, exec_lo, s33
	s_cbranch_vccnz .LBB95_436
; %bb.435:
	v_cmp_eq_u32_e32 vcc_lo, 1, v0
	ds_load_b32 v131, v133
	v_cndmask_b32_e32 v130, v34, v35, vcc_lo
	v_cmp_eq_u32_e32 vcc_lo, 2, v0
	s_delay_alu instid0(VALU_DEP_2) | instskip(SKIP_1) | instid1(VALU_DEP_2)
	v_cndmask_b32_e32 v130, v130, v36, vcc_lo
	v_cmp_eq_u32_e32 vcc_lo, 3, v0
	v_cndmask_b32_e32 v130, v130, v37, vcc_lo
	v_cmp_eq_u32_e32 vcc_lo, 4, v0
	s_delay_alu instid0(VALU_DEP_2) | instskip(SKIP_1) | instid1(VALU_DEP_2)
	v_cndmask_b32_e32 v130, v130, v38, vcc_lo
	v_cmp_eq_u32_e32 vcc_lo, 5, v0
	;; [unrolled: 5-line block ×15, first 2 shown]
	v_cndmask_b32_e32 v130, v130, v65, vcc_lo
	s_wait_dscnt 0x0
	s_delay_alu instid0(VALU_DEP_1)
	v_mul_f32_e32 v134, v130, v131
	s_cbranch_execz .LBB95_437
	s_branch .LBB95_438
.LBB95_436:
                                        ; implicit-def: $vgpr134
.LBB95_437:
	ds_load_b32 v134, v133
.LBB95_438:
	s_and_saveexec_b32 s5, s1
	s_cbranch_execz .LBB95_448
; %bb.439:
	v_dual_add_nc_u32 v130, -4, v0 :: v_dual_add_nc_u32 v131, -3, v0
	s_delay_alu instid0(VALU_DEP_1)
	v_cmp_lt_u32_e32 vcc_lo, 6, v130
	v_mov_b32_e32 v130, 3
	s_and_saveexec_b32 s1, vcc_lo
	s_cbranch_execz .LBB95_443
; %bb.440:
	v_and_b32_e32 v130, -8, v131
	s_mov_b32 s6, 0
	s_mov_b64 s[2:3], 10
	s_movk_i32 s7, 0x8c
	s_delay_alu instid0(VALU_DEP_1)
	v_sub_nc_u32_e32 v132, 0, v130
.LBB95_441:                             ; =>This Inner Loop Header: Depth=1
	s_add_co_i32 m0, s2, -7
	v_movrels_b32_e32 v135, v34
	v_mov_b32_e32 v130, s7
	s_add_co_i32 m0, s2, -6
	s_add_co_i32 s7, s7, 32
	v_movrels_b32_e32 v144, v34
	ds_load_2addr_b32 v[136:137], v130 offset1:1
	ds_load_2addr_b32 v[138:139], v130 offset0:2 offset1:3
	s_add_co_i32 m0, s2, -5
	s_wait_dscnt 0x1
	v_fmac_f32_e32 v134, v135, v136
	ds_load_2addr_b32 v[140:141], v130 offset0:4 offset1:5
	ds_load_2addr_b32 v[142:143], v130 offset0:6 offset1:7
	v_movrels_b32_e32 v130, v34
	s_add_co_i32 m0, s2, -4
	v_fmac_f32_e32 v134, v144, v137
	v_movrels_b32_e32 v135, v34
	s_add_co_i32 m0, s2, -3
	s_wait_dscnt 0x2
	s_delay_alu instid0(VALU_DEP_2) | instskip(SKIP_2) | instid1(VALU_DEP_2)
	v_fmac_f32_e32 v134, v130, v138
	v_movrels_b32_e32 v130, v34
	s_add_co_i32 m0, s2, -2
	v_fmac_f32_e32 v134, v135, v139
	v_movrels_b32_e32 v135, v34
	s_add_co_i32 m0, s2, -1
	s_wait_dscnt 0x1
	s_delay_alu instid0(VALU_DEP_2)
	v_fmac_f32_e32 v134, v130, v140
	v_movrels_b32_e32 v130, v34
	s_mov_b32 m0, s2
	s_add_nc_u64 s[2:3], s[2:3], 8
	v_movrels_b32_e32 v136, v34
	v_dual_fmac_f32 v134, v135, v141 :: v_dual_add_nc_u32 v135, s2, v132
	s_add_co_i32 s8, s2, -7
	s_wait_dscnt 0x0
	s_delay_alu instid0(VALU_DEP_1) | instskip(NEXT) | instid1(VALU_DEP_2)
	v_fmac_f32_e32 v134, v130, v142
	v_cmp_eq_u32_e32 vcc_lo, 10, v135
	s_delay_alu instid0(VALU_DEP_2) | instskip(SKIP_1) | instid1(SALU_CYCLE_1)
	v_dual_mov_b32 v130, s8 :: v_dual_fmac_f32 v134, v136, v143
	s_or_b32 s6, vcc_lo, s6
	s_and_not1_b32 exec_lo, exec_lo, s6
	s_cbranch_execnz .LBB95_441
; %bb.442:
	s_or_b32 exec_lo, exec_lo, s6
.LBB95_443:
	s_delay_alu instid0(SALU_CYCLE_1) | instskip(SKIP_3) | instid1(VALU_DEP_1)
	s_or_b32 exec_lo, exec_lo, s1
	v_and_b32_e32 v132, 7, v131
	s_mov_b32 s2, 0
	s_mov_b32 s1, exec_lo
	v_cmpx_ne_u32_e32 0, v132
	s_cbranch_execz .LBB95_447
; %bb.444:
	v_lshl_add_u32 v135, v130, 2, 0x80
	v_mov_b32_e32 v131, 0
.LBB95_445:                             ; =>This Inner Loop Header: Depth=1
	v_cmp_eq_u32_e32 vcc_lo, 1, v130
	ds_load_b32 v137, v135
	v_dual_add_nc_u32 v132, -1, v132 :: v_dual_add_nc_u32 v135, 4, v135
	v_cndmask_b32_e32 v136, v34, v35, vcc_lo
	v_cmp_eq_u32_e32 vcc_lo, 2, v130
	s_delay_alu instid0(VALU_DEP_2) | instskip(SKIP_1) | instid1(VALU_DEP_2)
	v_cndmask_b32_e32 v136, v136, v36, vcc_lo
	v_cmp_eq_u32_e32 vcc_lo, 3, v130
	v_cndmask_b32_e32 v136, v136, v37, vcc_lo
	v_cmp_eq_u32_e32 vcc_lo, 4, v130
	s_delay_alu instid0(VALU_DEP_2) | instskip(SKIP_1) | instid1(VALU_DEP_2)
	v_cndmask_b32_e32 v136, v136, v38, vcc_lo
	v_cmp_eq_u32_e32 vcc_lo, 5, v130
	;; [unrolled: 5-line block ×14, first 2 shown]
	v_cndmask_b32_e32 v136, v136, v63, vcc_lo
	v_cmp_eq_u32_e32 vcc_lo, 30, v130
	s_delay_alu instid0(VALU_DEP_2) | instskip(SKIP_2) | instid1(VALU_DEP_3)
	v_cndmask_b32_e32 v136, v136, v64, vcc_lo
	v_cmp_eq_u32_e32 vcc_lo, 31, v130
	v_add_nc_u64_e32 v[130:131], 1, v[130:131]
	v_cndmask_b32_e32 v136, v136, v65, vcc_lo
	v_cmp_eq_u32_e32 vcc_lo, 0, v132
	s_wait_dscnt 0x0
	s_delay_alu instid0(VALU_DEP_2) | instskip(SKIP_1) | instid1(SALU_CYCLE_1)
	v_fmac_f32_e32 v134, v136, v137
	s_or_b32 s2, vcc_lo, s2
	s_and_not1_b32 exec_lo, exec_lo, s2
	s_cbranch_execnz .LBB95_445
; %bb.446:
	s_or_b32 exec_lo, exec_lo, s2
.LBB95_447:
	s_delay_alu instid0(SALU_CYCLE_1)
	s_or_b32 exec_lo, exec_lo, s1
.LBB95_448:
	s_delay_alu instid0(SALU_CYCLE_1)
	s_or_b32 exec_lo, exec_lo, s5
	v_mov_b32_e32 v36, 0
	ds_load_b32 v36, v36 offset:8
	s_wait_dscnt 0x0
	v_mul_f32_e32 v36, v134, v36
.LBB95_449:
	s_or_b32 exec_lo, exec_lo, s4
	v_cmp_lt_u32_e64 s1, 1, v0
	ds_store_b32 v133, v35
	s_wait_dscnt 0x0
	s_barrier_signal -1
	s_barrier_wait -1
	s_and_saveexec_b32 s4, s1
	s_cbranch_execz .LBB95_465
; %bb.450:
	s_and_not1_b32 vcc_lo, exec_lo, s33
	s_cbranch_vccnz .LBB95_452
; %bb.451:
	v_cmp_eq_u32_e32 vcc_lo, 1, v0
	ds_load_b32 v131, v133
	v_cndmask_b32_e32 v130, v34, v35, vcc_lo
	v_cmp_eq_u32_e32 vcc_lo, 2, v0
	s_delay_alu instid0(VALU_DEP_2) | instskip(SKIP_1) | instid1(VALU_DEP_2)
	v_cndmask_b32_e32 v130, v130, v36, vcc_lo
	v_cmp_eq_u32_e32 vcc_lo, 3, v0
	v_cndmask_b32_e32 v130, v130, v37, vcc_lo
	v_cmp_eq_u32_e32 vcc_lo, 4, v0
	s_delay_alu instid0(VALU_DEP_2) | instskip(SKIP_1) | instid1(VALU_DEP_2)
	v_cndmask_b32_e32 v130, v130, v38, vcc_lo
	v_cmp_eq_u32_e32 vcc_lo, 5, v0
	v_cndmask_b32_e32 v130, v130, v39, vcc_lo
	v_cmp_eq_u32_e32 vcc_lo, 6, v0
	s_delay_alu instid0(VALU_DEP_2) | instskip(SKIP_1) | instid1(VALU_DEP_2)
	v_cndmask_b32_e32 v130, v130, v40, vcc_lo
	v_cmp_eq_u32_e32 vcc_lo, 7, v0
	v_cndmask_b32_e32 v130, v130, v41, vcc_lo
	v_cmp_eq_u32_e32 vcc_lo, 8, v0
	s_delay_alu instid0(VALU_DEP_2) | instskip(SKIP_1) | instid1(VALU_DEP_2)
	v_cndmask_b32_e32 v130, v130, v42, vcc_lo
	v_cmp_eq_u32_e32 vcc_lo, 9, v0
	v_cndmask_b32_e32 v130, v130, v43, vcc_lo
	v_cmp_eq_u32_e32 vcc_lo, 10, v0
	s_delay_alu instid0(VALU_DEP_2) | instskip(SKIP_1) | instid1(VALU_DEP_2)
	v_cndmask_b32_e32 v130, v130, v44, vcc_lo
	v_cmp_eq_u32_e32 vcc_lo, 11, v0
	v_cndmask_b32_e32 v130, v130, v45, vcc_lo
	v_cmp_eq_u32_e32 vcc_lo, 12, v0
	s_delay_alu instid0(VALU_DEP_2) | instskip(SKIP_1) | instid1(VALU_DEP_2)
	v_cndmask_b32_e32 v130, v130, v46, vcc_lo
	v_cmp_eq_u32_e32 vcc_lo, 13, v0
	v_cndmask_b32_e32 v130, v130, v47, vcc_lo
	v_cmp_eq_u32_e32 vcc_lo, 14, v0
	s_delay_alu instid0(VALU_DEP_2) | instskip(SKIP_1) | instid1(VALU_DEP_2)
	v_cndmask_b32_e32 v130, v130, v48, vcc_lo
	v_cmp_eq_u32_e32 vcc_lo, 15, v0
	v_cndmask_b32_e32 v130, v130, v49, vcc_lo
	v_cmp_eq_u32_e32 vcc_lo, 16, v0
	s_delay_alu instid0(VALU_DEP_2) | instskip(SKIP_1) | instid1(VALU_DEP_2)
	v_cndmask_b32_e32 v130, v130, v50, vcc_lo
	v_cmp_eq_u32_e32 vcc_lo, 17, v0
	v_cndmask_b32_e32 v130, v130, v51, vcc_lo
	v_cmp_eq_u32_e32 vcc_lo, 18, v0
	s_delay_alu instid0(VALU_DEP_2) | instskip(SKIP_1) | instid1(VALU_DEP_2)
	v_cndmask_b32_e32 v130, v130, v52, vcc_lo
	v_cmp_eq_u32_e32 vcc_lo, 19, v0
	v_cndmask_b32_e32 v130, v130, v53, vcc_lo
	v_cmp_eq_u32_e32 vcc_lo, 20, v0
	s_delay_alu instid0(VALU_DEP_2) | instskip(SKIP_1) | instid1(VALU_DEP_2)
	v_cndmask_b32_e32 v130, v130, v54, vcc_lo
	v_cmp_eq_u32_e32 vcc_lo, 21, v0
	v_cndmask_b32_e32 v130, v130, v55, vcc_lo
	v_cmp_eq_u32_e32 vcc_lo, 22, v0
	s_delay_alu instid0(VALU_DEP_2) | instskip(SKIP_1) | instid1(VALU_DEP_2)
	v_cndmask_b32_e32 v130, v130, v56, vcc_lo
	v_cmp_eq_u32_e32 vcc_lo, 23, v0
	v_cndmask_b32_e32 v130, v130, v57, vcc_lo
	v_cmp_eq_u32_e32 vcc_lo, 24, v0
	s_delay_alu instid0(VALU_DEP_2) | instskip(SKIP_1) | instid1(VALU_DEP_2)
	v_cndmask_b32_e32 v130, v130, v58, vcc_lo
	v_cmp_eq_u32_e32 vcc_lo, 25, v0
	v_cndmask_b32_e32 v130, v130, v59, vcc_lo
	v_cmp_eq_u32_e32 vcc_lo, 26, v0
	s_delay_alu instid0(VALU_DEP_2) | instskip(SKIP_1) | instid1(VALU_DEP_2)
	v_cndmask_b32_e32 v130, v130, v60, vcc_lo
	v_cmp_eq_u32_e32 vcc_lo, 27, v0
	v_cndmask_b32_e32 v130, v130, v61, vcc_lo
	v_cmp_eq_u32_e32 vcc_lo, 28, v0
	s_delay_alu instid0(VALU_DEP_2) | instskip(SKIP_1) | instid1(VALU_DEP_2)
	v_cndmask_b32_e32 v130, v130, v62, vcc_lo
	v_cmp_eq_u32_e32 vcc_lo, 29, v0
	v_cndmask_b32_e32 v130, v130, v63, vcc_lo
	v_cmp_eq_u32_e32 vcc_lo, 30, v0
	s_delay_alu instid0(VALU_DEP_2) | instskip(SKIP_1) | instid1(VALU_DEP_2)
	v_cndmask_b32_e32 v130, v130, v64, vcc_lo
	v_cmp_eq_u32_e32 vcc_lo, 31, v0
	v_cndmask_b32_e32 v130, v130, v65, vcc_lo
	s_wait_dscnt 0x0
	s_delay_alu instid0(VALU_DEP_1)
	v_mul_f32_e32 v134, v130, v131
	s_cbranch_execz .LBB95_453
	s_branch .LBB95_454
.LBB95_452:
                                        ; implicit-def: $vgpr134
.LBB95_453:
	ds_load_b32 v134, v133
.LBB95_454:
	s_and_saveexec_b32 s5, s0
	s_cbranch_execz .LBB95_464
; %bb.455:
	v_dual_add_nc_u32 v130, -3, v0 :: v_dual_add_nc_u32 v131, -2, v0
	s_delay_alu instid0(VALU_DEP_1)
	v_cmp_lt_u32_e32 vcc_lo, 6, v130
	v_mov_b32_e32 v130, 2
	s_and_saveexec_b32 s0, vcc_lo
	s_cbranch_execz .LBB95_459
; %bb.456:
	v_and_b32_e32 v130, -8, v131
	s_mov_b32 s6, 0
	s_mov_b64 s[2:3], 9
	s_movk_i32 s7, 0x88
	s_delay_alu instid0(VALU_DEP_1)
	v_sub_nc_u32_e32 v132, 0, v130
.LBB95_457:                             ; =>This Inner Loop Header: Depth=1
	s_add_co_i32 m0, s2, -7
	v_movrels_b32_e32 v135, v34
	v_mov_b32_e32 v130, s7
	s_add_co_i32 m0, s2, -6
	s_add_co_i32 s7, s7, 32
	v_movrels_b32_e32 v144, v34
	s_add_co_i32 m0, s2, -5
	ds_load_2addr_b64 v[136:139], v130 offset1:1
	ds_load_2addr_b64 v[140:143], v130 offset0:2 offset1:3
	v_movrels_b32_e32 v130, v34
	s_add_co_i32 m0, s2, -4
	s_wait_dscnt 0x1
	v_fmac_f32_e32 v134, v135, v136
	v_movrels_b32_e32 v135, v34
	s_add_co_i32 m0, s2, -3
	s_delay_alu instid0(VALU_DEP_2) | instskip(NEXT) | instid1(VALU_DEP_1)
	v_fmac_f32_e32 v134, v144, v137
	v_fmac_f32_e32 v134, v130, v138
	v_movrels_b32_e32 v130, v34
	s_add_co_i32 m0, s2, -2
	s_delay_alu instid0(VALU_DEP_2) | instskip(SKIP_3) | instid1(VALU_DEP_2)
	v_fmac_f32_e32 v134, v135, v139
	v_movrels_b32_e32 v135, v34
	s_add_co_i32 m0, s2, -1
	s_wait_dscnt 0x0
	v_fmac_f32_e32 v134, v130, v140
	v_movrels_b32_e32 v130, v34
	s_mov_b32 m0, s2
	s_add_nc_u64 s[2:3], s[2:3], 8
	v_movrels_b32_e32 v136, v34
	v_dual_fmac_f32 v134, v135, v141 :: v_dual_add_nc_u32 v135, s2, v132
	s_add_co_i32 s8, s2, -7
	s_delay_alu instid0(VALU_DEP_1) | instskip(NEXT) | instid1(VALU_DEP_2)
	v_fmac_f32_e32 v134, v130, v142
	v_cmp_eq_u32_e32 vcc_lo, 9, v135
	s_delay_alu instid0(VALU_DEP_2) | instskip(SKIP_1) | instid1(SALU_CYCLE_1)
	v_dual_mov_b32 v130, s8 :: v_dual_fmac_f32 v134, v136, v143
	s_or_b32 s6, vcc_lo, s6
	s_and_not1_b32 exec_lo, exec_lo, s6
	s_cbranch_execnz .LBB95_457
; %bb.458:
	s_or_b32 exec_lo, exec_lo, s6
.LBB95_459:
	s_delay_alu instid0(SALU_CYCLE_1) | instskip(SKIP_3) | instid1(VALU_DEP_1)
	s_or_b32 exec_lo, exec_lo, s0
	v_and_b32_e32 v132, 7, v131
	s_mov_b32 s2, 0
	s_mov_b32 s0, exec_lo
	v_cmpx_ne_u32_e32 0, v132
	s_cbranch_execz .LBB95_463
; %bb.460:
	v_lshl_add_u32 v135, v130, 2, 0x80
	v_mov_b32_e32 v131, 0
.LBB95_461:                             ; =>This Inner Loop Header: Depth=1
	v_cmp_eq_u32_e32 vcc_lo, 1, v130
	ds_load_b32 v137, v135
	v_dual_add_nc_u32 v132, -1, v132 :: v_dual_add_nc_u32 v135, 4, v135
	v_cndmask_b32_e32 v136, v34, v35, vcc_lo
	v_cmp_eq_u32_e32 vcc_lo, 2, v130
	s_delay_alu instid0(VALU_DEP_2) | instskip(SKIP_1) | instid1(VALU_DEP_2)
	v_cndmask_b32_e32 v136, v136, v36, vcc_lo
	v_cmp_eq_u32_e32 vcc_lo, 3, v130
	v_cndmask_b32_e32 v136, v136, v37, vcc_lo
	v_cmp_eq_u32_e32 vcc_lo, 4, v130
	s_delay_alu instid0(VALU_DEP_2) | instskip(SKIP_1) | instid1(VALU_DEP_2)
	v_cndmask_b32_e32 v136, v136, v38, vcc_lo
	v_cmp_eq_u32_e32 vcc_lo, 5, v130
	;; [unrolled: 5-line block ×14, first 2 shown]
	v_cndmask_b32_e32 v136, v136, v63, vcc_lo
	v_cmp_eq_u32_e32 vcc_lo, 30, v130
	s_delay_alu instid0(VALU_DEP_2) | instskip(SKIP_2) | instid1(VALU_DEP_3)
	v_cndmask_b32_e32 v136, v136, v64, vcc_lo
	v_cmp_eq_u32_e32 vcc_lo, 31, v130
	v_add_nc_u64_e32 v[130:131], 1, v[130:131]
	v_cndmask_b32_e32 v136, v136, v65, vcc_lo
	v_cmp_eq_u32_e32 vcc_lo, 0, v132
	s_wait_dscnt 0x0
	s_delay_alu instid0(VALU_DEP_2) | instskip(SKIP_1) | instid1(SALU_CYCLE_1)
	v_fmac_f32_e32 v134, v136, v137
	s_or_b32 s2, vcc_lo, s2
	s_and_not1_b32 exec_lo, exec_lo, s2
	s_cbranch_execnz .LBB95_461
; %bb.462:
	s_or_b32 exec_lo, exec_lo, s2
.LBB95_463:
	s_delay_alu instid0(SALU_CYCLE_1)
	s_or_b32 exec_lo, exec_lo, s0
.LBB95_464:
	s_delay_alu instid0(SALU_CYCLE_1)
	s_or_b32 exec_lo, exec_lo, s5
	v_mov_b32_e32 v35, 0
	ds_load_b32 v35, v35 offset:4
	s_wait_dscnt 0x0
	v_mul_f32_e32 v35, v134, v35
.LBB95_465:
	s_or_b32 exec_lo, exec_lo, s4
	s_mov_b32 s2, 0
	s_mov_b32 s3, exec_lo
	ds_store_b32 v133, v34
	s_wait_dscnt 0x0
	s_barrier_signal -1
	s_barrier_wait -1
	v_cmpx_ne_u32_e32 0, v0
	s_cbranch_execz .LBB95_481
; %bb.466:
	s_and_not1_b32 vcc_lo, exec_lo, s33
	s_cbranch_vccnz .LBB95_468
; %bb.467:
	v_cmp_eq_u32_e32 vcc_lo, 1, v0
	ds_load_b32 v131, v133
	v_cndmask_b32_e32 v130, v34, v35, vcc_lo
	v_cmp_eq_u32_e32 vcc_lo, 2, v0
	s_delay_alu instid0(VALU_DEP_2) | instskip(SKIP_1) | instid1(VALU_DEP_2)
	v_cndmask_b32_e32 v130, v130, v36, vcc_lo
	v_cmp_eq_u32_e32 vcc_lo, 3, v0
	v_cndmask_b32_e32 v130, v130, v37, vcc_lo
	v_cmp_eq_u32_e32 vcc_lo, 4, v0
	s_delay_alu instid0(VALU_DEP_2) | instskip(SKIP_1) | instid1(VALU_DEP_2)
	v_cndmask_b32_e32 v130, v130, v38, vcc_lo
	v_cmp_eq_u32_e32 vcc_lo, 5, v0
	;; [unrolled: 5-line block ×15, first 2 shown]
	v_cndmask_b32_e32 v130, v130, v65, vcc_lo
	s_wait_dscnt 0x0
	s_delay_alu instid0(VALU_DEP_1)
	v_mul_f32_e32 v134, v130, v131
	s_cbranch_execz .LBB95_469
	s_branch .LBB95_470
.LBB95_468:
                                        ; implicit-def: $vgpr134
.LBB95_469:
	ds_load_b32 v134, v133
.LBB95_470:
	s_and_saveexec_b32 s4, s1
	s_cbranch_execz .LBB95_480
; %bb.471:
	v_dual_add_nc_u32 v130, -2, v0 :: v_dual_add_nc_u32 v131, -1, v0
	s_delay_alu instid0(VALU_DEP_1)
	v_cmp_lt_u32_e32 vcc_lo, 6, v130
	v_mov_b32_e32 v130, 1
	s_and_saveexec_b32 s5, vcc_lo
	s_cbranch_execz .LBB95_475
; %bb.472:
	v_and_b32_e32 v130, -8, v131
	s_mov_b32 s6, 0
	s_mov_b64 s[0:1], 8
	s_movk_i32 s7, 0x84
	s_delay_alu instid0(VALU_DEP_1)
	v_sub_nc_u32_e32 v132, 0, v130
.LBB95_473:                             ; =>This Inner Loop Header: Depth=1
	s_add_co_i32 m0, s0, -7
	v_movrels_b32_e32 v135, v34
	v_mov_b32_e32 v130, s7
	s_add_co_i32 m0, s0, -6
	s_add_co_i32 s7, s7, 32
	v_movrels_b32_e32 v144, v34
	ds_load_2addr_b32 v[136:137], v130 offset1:1
	ds_load_2addr_b32 v[138:139], v130 offset0:2 offset1:3
	s_add_co_i32 m0, s0, -5
	s_wait_dscnt 0x1
	v_fmac_f32_e32 v134, v135, v136
	ds_load_2addr_b32 v[140:141], v130 offset0:4 offset1:5
	ds_load_2addr_b32 v[142:143], v130 offset0:6 offset1:7
	v_movrels_b32_e32 v130, v34
	s_add_co_i32 m0, s0, -4
	v_fmac_f32_e32 v134, v144, v137
	v_movrels_b32_e32 v135, v34
	s_add_co_i32 m0, s0, -3
	s_wait_dscnt 0x2
	s_delay_alu instid0(VALU_DEP_2) | instskip(SKIP_2) | instid1(VALU_DEP_2)
	v_fmac_f32_e32 v134, v130, v138
	v_movrels_b32_e32 v130, v34
	s_add_co_i32 m0, s0, -2
	v_fmac_f32_e32 v134, v135, v139
	v_movrels_b32_e32 v135, v34
	s_add_co_i32 m0, s0, -1
	s_wait_dscnt 0x1
	s_delay_alu instid0(VALU_DEP_2)
	v_fmac_f32_e32 v134, v130, v140
	v_movrels_b32_e32 v130, v34
	s_mov_b32 m0, s0
	s_add_nc_u64 s[0:1], s[0:1], 8
	v_movrels_b32_e32 v136, v34
	v_dual_fmac_f32 v134, v135, v141 :: v_dual_add_nc_u32 v135, s0, v132
	s_add_co_i32 s8, s0, -7
	s_wait_dscnt 0x0
	s_delay_alu instid0(VALU_DEP_1) | instskip(NEXT) | instid1(VALU_DEP_2)
	v_fmac_f32_e32 v134, v130, v142
	v_cmp_eq_u32_e32 vcc_lo, 8, v135
	s_delay_alu instid0(VALU_DEP_2) | instskip(SKIP_1) | instid1(SALU_CYCLE_1)
	v_dual_mov_b32 v130, s8 :: v_dual_fmac_f32 v134, v136, v143
	s_or_b32 s6, vcc_lo, s6
	s_and_not1_b32 exec_lo, exec_lo, s6
	s_cbranch_execnz .LBB95_473
; %bb.474:
	s_or_b32 exec_lo, exec_lo, s6
.LBB95_475:
	s_delay_alu instid0(SALU_CYCLE_1) | instskip(SKIP_3) | instid1(VALU_DEP_1)
	s_or_b32 exec_lo, exec_lo, s5
	v_and_b32_e32 v132, 7, v131
	s_mov_b32 s1, 0
	s_mov_b32 s0, exec_lo
	v_cmpx_ne_u32_e32 0, v132
	s_cbranch_execz .LBB95_479
; %bb.476:
	v_lshl_add_u32 v135, v130, 2, 0x80
	v_mov_b32_e32 v131, 0
.LBB95_477:                             ; =>This Inner Loop Header: Depth=1
	v_cmp_eq_u32_e32 vcc_lo, 1, v130
	ds_load_b32 v137, v135
	v_dual_add_nc_u32 v132, -1, v132 :: v_dual_add_nc_u32 v135, 4, v135
	v_cndmask_b32_e32 v136, v34, v35, vcc_lo
	v_cmp_eq_u32_e32 vcc_lo, 2, v130
	s_delay_alu instid0(VALU_DEP_2) | instskip(SKIP_1) | instid1(VALU_DEP_2)
	v_cndmask_b32_e32 v136, v136, v36, vcc_lo
	v_cmp_eq_u32_e32 vcc_lo, 3, v130
	v_cndmask_b32_e32 v136, v136, v37, vcc_lo
	v_cmp_eq_u32_e32 vcc_lo, 4, v130
	s_delay_alu instid0(VALU_DEP_2) | instskip(SKIP_1) | instid1(VALU_DEP_2)
	v_cndmask_b32_e32 v136, v136, v38, vcc_lo
	v_cmp_eq_u32_e32 vcc_lo, 5, v130
	;; [unrolled: 5-line block ×14, first 2 shown]
	v_cndmask_b32_e32 v136, v136, v63, vcc_lo
	v_cmp_eq_u32_e32 vcc_lo, 30, v130
	s_delay_alu instid0(VALU_DEP_2) | instskip(SKIP_2) | instid1(VALU_DEP_3)
	v_cndmask_b32_e32 v136, v136, v64, vcc_lo
	v_cmp_eq_u32_e32 vcc_lo, 31, v130
	v_add_nc_u64_e32 v[130:131], 1, v[130:131]
	v_cndmask_b32_e32 v136, v136, v65, vcc_lo
	v_cmp_eq_u32_e32 vcc_lo, 0, v132
	s_wait_dscnt 0x0
	s_delay_alu instid0(VALU_DEP_2) | instskip(SKIP_1) | instid1(SALU_CYCLE_1)
	v_fmac_f32_e32 v134, v136, v137
	s_or_b32 s1, vcc_lo, s1
	s_and_not1_b32 exec_lo, exec_lo, s1
	s_cbranch_execnz .LBB95_477
; %bb.478:
	s_or_b32 exec_lo, exec_lo, s1
.LBB95_479:
	s_delay_alu instid0(SALU_CYCLE_1)
	s_or_b32 exec_lo, exec_lo, s0
.LBB95_480:
	s_delay_alu instid0(SALU_CYCLE_1)
	s_or_b32 exec_lo, exec_lo, s4
	v_mov_b32_e32 v34, 0
	ds_load_b32 v34, v34
	s_wait_dscnt 0x0
	v_mul_f32_e32 v34, v134, v34
.LBB95_481:
	s_or_b32 exec_lo, exec_lo, s3
	s_delay_alu instid0(SALU_CYCLE_1)
	s_and_b32 vcc_lo, exec_lo, s2
	s_cbranch_vccz .LBB95_795
.LBB95_482:
	v_cmp_eq_u32_e64 s0, 0, v0
	s_wait_loadcnt_dscnt 0x1f20
	ds_store_b32 v133, v3
	s_wait_loadcnt_dscnt 0x0
	s_barrier_signal -1
	s_barrier_wait -1
	s_and_saveexec_b32 s1, s0
	s_cbranch_execz .LBB95_488
; %bb.483:
	s_and_b32 vcc_lo, exec_lo, s33
	s_cbranch_vccz .LBB95_485
; %bb.484:
	v_cmp_eq_u32_e32 vcc_lo, 1, v0
	ds_load_b32 v34, v133
	v_cndmask_b32_e32 v3, v2, v3, vcc_lo
	v_cmp_eq_u32_e32 vcc_lo, 2, v0
	s_delay_alu instid0(VALU_DEP_2) | instskip(SKIP_1) | instid1(VALU_DEP_2)
	v_cndmask_b32_e32 v3, v3, v4, vcc_lo
	v_cmp_eq_u32_e32 vcc_lo, 3, v0
	v_cndmask_b32_e32 v3, v3, v5, vcc_lo
	v_cmp_eq_u32_e32 vcc_lo, 4, v0
	s_delay_alu instid0(VALU_DEP_2) | instskip(SKIP_1) | instid1(VALU_DEP_2)
	v_cndmask_b32_e32 v3, v3, v6, vcc_lo
	v_cmp_eq_u32_e32 vcc_lo, 5, v0
	;; [unrolled: 5-line block ×15, first 2 shown]
	v_cndmask_b32_e32 v3, v3, v33, vcc_lo
	s_wait_dscnt 0x0
	s_delay_alu instid0(VALU_DEP_1)
	v_mul_f32_e32 v3, v3, v34
	s_cbranch_execz .LBB95_486
	s_branch .LBB95_487
.LBB95_485:
                                        ; implicit-def: $vgpr3
.LBB95_486:
	ds_load_b32 v3, v133
.LBB95_487:
	v_mov_b32_e32 v34, 0
	ds_load_b32 v34, v34 offset:4
	s_wait_dscnt 0x0
	v_mul_f32_e32 v3, v3, v34
.LBB95_488:
	s_or_b32 exec_lo, exec_lo, s1
	v_cndmask_b32_e64 v36, 0, 1, s33
	s_mov_b32 s1, exec_lo
	ds_store_b32 v133, v4
	s_wait_dscnt 0x0
	s_barrier_signal -1
	s_barrier_wait -1
	v_cmpx_gt_u32_e32 2, v0
	s_cbranch_execz .LBB95_494
; %bb.489:
	s_and_not1_b32 vcc_lo, exec_lo, s33
	s_cbranch_vccnz .LBB95_491
; %bb.490:
	v_cmp_eq_u32_e32 vcc_lo, 1, v0
	v_cndmask_b32_e32 v34, v2, v3, vcc_lo
	v_cmp_eq_u32_e32 vcc_lo, 2, v0
	s_delay_alu instid0(VALU_DEP_2) | instskip(SKIP_4) | instid1(VALU_DEP_2)
	v_cndmask_b32_e32 v4, v34, v4, vcc_lo
	v_cmp_eq_u32_e32 vcc_lo, 3, v0
	ds_load_b32 v34, v133
	v_cndmask_b32_e32 v4, v4, v5, vcc_lo
	v_cmp_eq_u32_e32 vcc_lo, 4, v0
	v_cndmask_b32_e32 v4, v4, v6, vcc_lo
	v_cmp_eq_u32_e32 vcc_lo, 5, v0
	s_delay_alu instid0(VALU_DEP_2) | instskip(SKIP_1) | instid1(VALU_DEP_2)
	v_cndmask_b32_e32 v4, v4, v7, vcc_lo
	v_cmp_eq_u32_e32 vcc_lo, 6, v0
	v_cndmask_b32_e32 v4, v4, v8, vcc_lo
	v_cmp_eq_u32_e32 vcc_lo, 7, v0
	s_delay_alu instid0(VALU_DEP_2) | instskip(SKIP_1) | instid1(VALU_DEP_2)
	;; [unrolled: 5-line block ×13, first 2 shown]
	v_cndmask_b32_e32 v4, v4, v31, vcc_lo
	v_cmp_eq_u32_e32 vcc_lo, 30, v0
	v_cndmask_b32_e32 v4, v4, v32, vcc_lo
	v_cmp_eq_u32_e32 vcc_lo, 31, v0
	s_delay_alu instid0(VALU_DEP_2) | instskip(SKIP_1) | instid1(VALU_DEP_1)
	v_cndmask_b32_e32 v4, v4, v33, vcc_lo
	s_wait_dscnt 0x0
	v_mul_f32_e32 v4, v4, v34
	s_cbranch_execz .LBB95_492
	s_branch .LBB95_493
.LBB95_491:
                                        ; implicit-def: $vgpr4
.LBB95_492:
	ds_load_b32 v4, v133
.LBB95_493:
	v_mov_b32_e32 v34, 0
	ds_load_2addr_b32 v[34:35], v34 offset0:2 offset1:33
	s_wait_dscnt 0x0
	v_fma_f32 v35, v3, v35, v4
	s_delay_alu instid0(VALU_DEP_1) | instskip(NEXT) | instid1(VALU_DEP_1)
	v_cndmask_b32_e64 v4, v4, v35, s0
	v_mul_f32_e32 v4, v4, v34
.LBB95_494:
	s_or_b32 exec_lo, exec_lo, s1
	v_add_nc_u32_e32 v37, 1, v0
	v_cmp_gt_u32_e64 s1, 3, v0
	ds_store_b32 v133, v5
	s_wait_dscnt 0x0
	s_barrier_signal -1
	s_barrier_wait -1
	s_and_saveexec_b32 s2, s1
	s_cbranch_execz .LBB95_502
; %bb.495:
	v_cmp_ne_u32_e32 vcc_lo, 1, v36
	s_cbranch_vccnz .LBB95_497
; %bb.496:
	v_cmp_eq_u32_e32 vcc_lo, 1, v0
	ds_load_b32 v35, v133
	v_cndmask_b32_e32 v34, v2, v3, vcc_lo
	v_cmp_eq_u32_e32 vcc_lo, 2, v0
	s_delay_alu instid0(VALU_DEP_2) | instskip(SKIP_1) | instid1(VALU_DEP_2)
	v_cndmask_b32_e32 v34, v34, v4, vcc_lo
	v_cmp_eq_u32_e32 vcc_lo, 3, v0
	v_cndmask_b32_e32 v34, v34, v5, vcc_lo
	v_cmp_eq_u32_e32 vcc_lo, 4, v0
	s_delay_alu instid0(VALU_DEP_2) | instskip(SKIP_1) | instid1(VALU_DEP_2)
	v_cndmask_b32_e32 v34, v34, v6, vcc_lo
	v_cmp_eq_u32_e32 vcc_lo, 5, v0
	;; [unrolled: 5-line block ×15, first 2 shown]
	v_cndmask_b32_e32 v34, v34, v33, vcc_lo
	s_wait_dscnt 0x0
	s_delay_alu instid0(VALU_DEP_1)
	v_mul_f32_e32 v34, v34, v35
	s_cbranch_execz .LBB95_498
	s_branch .LBB95_499
.LBB95_497:
                                        ; implicit-def: $vgpr34
.LBB95_498:
	ds_load_b32 v34, v133
.LBB95_499:
	s_mov_b32 s3, exec_lo
	v_cmpx_ne_u32_e32 2, v0
	s_cbranch_execz .LBB95_501
; %bb.500:
	v_cmp_eq_u32_e32 vcc_lo, 1, v37
	v_dual_mov_b32 v38, 0 :: v_dual_cndmask_b32 v35, v2, v3
	v_cmp_eq_u32_e32 vcc_lo, 2, v37
	ds_load_b32 v38, v38 offset:136
	v_cndmask_b32_e32 v35, v35, v4, vcc_lo
	v_cmp_eq_u32_e32 vcc_lo, 3, v37
	s_delay_alu instid0(VALU_DEP_2) | instskip(SKIP_4) | instid1(VALU_DEP_2)
	v_cndmask_b32_e32 v5, v35, v5, vcc_lo
	v_cmp_eq_u32_e32 vcc_lo, 4, v37
	ds_load_b32 v35, v133 offset:4
	v_cndmask_b32_e32 v5, v5, v6, vcc_lo
	v_cmp_eq_u32_e32 vcc_lo, 5, v37
	v_cndmask_b32_e32 v5, v5, v7, vcc_lo
	v_cmp_eq_u32_e32 vcc_lo, 6, v37
	s_delay_alu instid0(VALU_DEP_2) | instskip(SKIP_1) | instid1(VALU_DEP_2)
	v_cndmask_b32_e32 v5, v5, v8, vcc_lo
	v_cmp_eq_u32_e32 vcc_lo, 7, v37
	v_cndmask_b32_e32 v5, v5, v9, vcc_lo
	v_cmp_eq_u32_e32 vcc_lo, 8, v37
	s_delay_alu instid0(VALU_DEP_2) | instskip(SKIP_1) | instid1(VALU_DEP_2)
	;; [unrolled: 5-line block ×13, first 2 shown]
	v_cndmask_b32_e32 v5, v5, v32, vcc_lo
	v_cmp_eq_u32_e32 vcc_lo, 31, v37
	v_cndmask_b32_e32 v5, v5, v33, vcc_lo
	s_wait_dscnt 0x0
	s_delay_alu instid0(VALU_DEP_1) | instskip(NEXT) | instid1(VALU_DEP_1)
	v_fmac_f32_e32 v34, v5, v35
	v_fma_f32 v5, v4, v38, v34
	s_delay_alu instid0(VALU_DEP_1)
	v_cndmask_b32_e64 v34, v34, v5, s0
.LBB95_501:
	s_or_b32 exec_lo, exec_lo, s3
	v_mov_b32_e32 v5, 0
	ds_load_b32 v5, v5 offset:12
	s_wait_dscnt 0x0
	v_mul_f32_e32 v5, v34, v5
.LBB95_502:
	s_or_b32 exec_lo, exec_lo, s2
	s_delay_alu instid0(SALU_CYCLE_1)
	s_mov_b32 s2, exec_lo
	ds_store_b32 v133, v6
	s_wait_dscnt 0x0
	s_barrier_signal -1
	s_barrier_wait -1
	v_cmpx_gt_u32_e32 4, v0
	s_cbranch_execz .LBB95_512
; %bb.503:
	v_cmp_ne_u32_e32 vcc_lo, 1, v36
	s_cbranch_vccnz .LBB95_505
; %bb.504:
	v_cmp_eq_u32_e32 vcc_lo, 1, v0
	ds_load_b32 v35, v133
	v_cndmask_b32_e32 v34, v2, v3, vcc_lo
	v_cmp_eq_u32_e32 vcc_lo, 2, v0
	s_delay_alu instid0(VALU_DEP_2) | instskip(SKIP_1) | instid1(VALU_DEP_2)
	v_cndmask_b32_e32 v34, v34, v4, vcc_lo
	v_cmp_eq_u32_e32 vcc_lo, 3, v0
	v_cndmask_b32_e32 v34, v34, v5, vcc_lo
	v_cmp_eq_u32_e32 vcc_lo, 4, v0
	s_delay_alu instid0(VALU_DEP_2) | instskip(SKIP_1) | instid1(VALU_DEP_2)
	v_cndmask_b32_e32 v34, v34, v6, vcc_lo
	v_cmp_eq_u32_e32 vcc_lo, 5, v0
	;; [unrolled: 5-line block ×15, first 2 shown]
	v_cndmask_b32_e32 v34, v34, v33, vcc_lo
	s_wait_dscnt 0x0
	s_delay_alu instid0(VALU_DEP_1)
	v_mul_f32_e32 v38, v34, v35
	s_cbranch_execz .LBB95_506
	s_branch .LBB95_507
.LBB95_505:
                                        ; implicit-def: $vgpr38
.LBB95_506:
	ds_load_b32 v38, v133
.LBB95_507:
	s_mov_b32 s3, exec_lo
	v_cmpx_ne_u32_e32 3, v0
	s_cbranch_execz .LBB95_511
; %bb.508:
	v_mov_b64_e32 v[34:35], v[0:1]
	v_lshl_add_u32 v39, v0, 2, 0x84
	s_mov_b32 s4, 0
.LBB95_509:                             ; =>This Inner Loop Header: Depth=1
	s_delay_alu instid0(VALU_DEP_2)
	v_add_nc_u64_e32 v[34:35], 1, v[34:35]
	ds_load_b32 v41, v39
	v_add_nc_u32_e32 v39, 4, v39
	v_cmp_eq_u32_e32 vcc_lo, 1, v34
	v_cndmask_b32_e32 v40, v2, v3, vcc_lo
	v_cmp_eq_u32_e32 vcc_lo, 2, v34
	s_delay_alu instid0(VALU_DEP_2) | instskip(SKIP_1) | instid1(VALU_DEP_2)
	v_cndmask_b32_e32 v40, v40, v4, vcc_lo
	v_cmp_eq_u32_e32 vcc_lo, 3, v34
	v_cndmask_b32_e32 v40, v40, v5, vcc_lo
	v_cmp_eq_u32_e32 vcc_lo, 4, v34
	s_delay_alu instid0(VALU_DEP_2) | instskip(SKIP_1) | instid1(VALU_DEP_2)
	v_cndmask_b32_e32 v40, v40, v6, vcc_lo
	;; [unrolled: 5-line block ×15, first 2 shown]
	v_cmp_eq_u32_e32 vcc_lo, 31, v34
	v_cndmask_b32_e32 v40, v40, v33, vcc_lo
	v_cmp_lt_u32_e32 vcc_lo, 2, v34
	s_wait_dscnt 0x0
	s_delay_alu instid0(VALU_DEP_2) | instskip(SKIP_1) | instid1(SALU_CYCLE_1)
	v_fmac_f32_e32 v38, v40, v41
	s_or_b32 s4, vcc_lo, s4
	s_and_not1_b32 exec_lo, exec_lo, s4
	s_cbranch_execnz .LBB95_509
; %bb.510:
	s_or_b32 exec_lo, exec_lo, s4
.LBB95_511:
	s_delay_alu instid0(SALU_CYCLE_1)
	s_or_b32 exec_lo, exec_lo, s3
	v_mov_b32_e32 v6, 0
	ds_load_b32 v6, v6 offset:16
	s_wait_dscnt 0x0
	v_mul_f32_e32 v6, v38, v6
.LBB95_512:
	s_or_b32 exec_lo, exec_lo, s2
	v_cmp_gt_u32_e64 s2, 5, v0
	ds_store_b32 v133, v7
	s_wait_dscnt 0x0
	s_barrier_signal -1
	s_barrier_wait -1
	s_and_saveexec_b32 s3, s2
	s_cbranch_execz .LBB95_522
; %bb.513:
	v_cmp_ne_u32_e32 vcc_lo, 1, v36
	s_cbranch_vccnz .LBB95_515
; %bb.514:
	v_cmp_eq_u32_e32 vcc_lo, 1, v0
	ds_load_b32 v35, v133
	v_cndmask_b32_e32 v34, v2, v3, vcc_lo
	v_cmp_eq_u32_e32 vcc_lo, 2, v0
	s_delay_alu instid0(VALU_DEP_2) | instskip(SKIP_1) | instid1(VALU_DEP_2)
	v_cndmask_b32_e32 v34, v34, v4, vcc_lo
	v_cmp_eq_u32_e32 vcc_lo, 3, v0
	v_cndmask_b32_e32 v34, v34, v5, vcc_lo
	v_cmp_eq_u32_e32 vcc_lo, 4, v0
	s_delay_alu instid0(VALU_DEP_2) | instskip(SKIP_1) | instid1(VALU_DEP_2)
	v_cndmask_b32_e32 v34, v34, v6, vcc_lo
	v_cmp_eq_u32_e32 vcc_lo, 5, v0
	;; [unrolled: 5-line block ×15, first 2 shown]
	v_cndmask_b32_e32 v34, v34, v33, vcc_lo
	s_wait_dscnt 0x0
	s_delay_alu instid0(VALU_DEP_1)
	v_mul_f32_e32 v38, v34, v35
	s_cbranch_execz .LBB95_516
	s_branch .LBB95_517
.LBB95_515:
                                        ; implicit-def: $vgpr38
.LBB95_516:
	ds_load_b32 v38, v133
.LBB95_517:
	s_mov_b32 s4, exec_lo
	v_cmpx_ne_u32_e32 4, v0
	s_cbranch_execz .LBB95_521
; %bb.518:
	v_mov_b64_e32 v[34:35], v[0:1]
	v_lshl_add_u32 v39, v0, 2, 0x84
	s_mov_b32 s5, 0
.LBB95_519:                             ; =>This Inner Loop Header: Depth=1
	s_delay_alu instid0(VALU_DEP_2)
	v_add_nc_u64_e32 v[34:35], 1, v[34:35]
	ds_load_b32 v41, v39
	v_add_nc_u32_e32 v39, 4, v39
	v_cmp_eq_u32_e32 vcc_lo, 1, v34
	v_cndmask_b32_e32 v40, v2, v3, vcc_lo
	v_cmp_eq_u32_e32 vcc_lo, 2, v34
	s_delay_alu instid0(VALU_DEP_2) | instskip(SKIP_1) | instid1(VALU_DEP_2)
	v_cndmask_b32_e32 v40, v40, v4, vcc_lo
	v_cmp_eq_u32_e32 vcc_lo, 3, v34
	v_cndmask_b32_e32 v40, v40, v5, vcc_lo
	v_cmp_eq_u32_e32 vcc_lo, 4, v34
	s_delay_alu instid0(VALU_DEP_2) | instskip(SKIP_1) | instid1(VALU_DEP_2)
	v_cndmask_b32_e32 v40, v40, v6, vcc_lo
	;; [unrolled: 5-line block ×15, first 2 shown]
	v_cmp_eq_u32_e32 vcc_lo, 31, v34
	v_cndmask_b32_e32 v40, v40, v33, vcc_lo
	v_cmp_lt_u32_e32 vcc_lo, 3, v34
	s_wait_dscnt 0x0
	s_delay_alu instid0(VALU_DEP_2) | instskip(SKIP_1) | instid1(SALU_CYCLE_1)
	v_fmac_f32_e32 v38, v40, v41
	s_or_b32 s5, vcc_lo, s5
	s_and_not1_b32 exec_lo, exec_lo, s5
	s_cbranch_execnz .LBB95_519
; %bb.520:
	s_or_b32 exec_lo, exec_lo, s5
.LBB95_521:
	s_delay_alu instid0(SALU_CYCLE_1)
	s_or_b32 exec_lo, exec_lo, s4
	v_mov_b32_e32 v7, 0
	ds_load_b32 v7, v7 offset:20
	s_wait_dscnt 0x0
	v_mul_f32_e32 v7, v38, v7
.LBB95_522:
	s_or_b32 exec_lo, exec_lo, s3
	s_delay_alu instid0(SALU_CYCLE_1)
	s_mov_b32 s3, exec_lo
	ds_store_b32 v133, v8
	s_wait_dscnt 0x0
	s_barrier_signal -1
	s_barrier_wait -1
	v_cmpx_gt_u32_e32 6, v0
	s_cbranch_execz .LBB95_532
; %bb.523:
	v_cmp_ne_u32_e32 vcc_lo, 1, v36
	s_cbranch_vccnz .LBB95_525
; %bb.524:
	v_cmp_eq_u32_e32 vcc_lo, 1, v0
	ds_load_b32 v35, v133
	v_cndmask_b32_e32 v34, v2, v3, vcc_lo
	v_cmp_eq_u32_e32 vcc_lo, 2, v0
	s_delay_alu instid0(VALU_DEP_2) | instskip(SKIP_1) | instid1(VALU_DEP_2)
	v_cndmask_b32_e32 v34, v34, v4, vcc_lo
	v_cmp_eq_u32_e32 vcc_lo, 3, v0
	v_cndmask_b32_e32 v34, v34, v5, vcc_lo
	v_cmp_eq_u32_e32 vcc_lo, 4, v0
	s_delay_alu instid0(VALU_DEP_2) | instskip(SKIP_1) | instid1(VALU_DEP_2)
	v_cndmask_b32_e32 v34, v34, v6, vcc_lo
	v_cmp_eq_u32_e32 vcc_lo, 5, v0
	;; [unrolled: 5-line block ×15, first 2 shown]
	v_cndmask_b32_e32 v34, v34, v33, vcc_lo
	s_wait_dscnt 0x0
	s_delay_alu instid0(VALU_DEP_1)
	v_mul_f32_e32 v38, v34, v35
	s_cbranch_execz .LBB95_526
	s_branch .LBB95_527
.LBB95_525:
                                        ; implicit-def: $vgpr38
.LBB95_526:
	ds_load_b32 v38, v133
.LBB95_527:
	s_mov_b32 s4, exec_lo
	v_cmpx_ne_u32_e32 5, v0
	s_cbranch_execz .LBB95_531
; %bb.528:
	v_mov_b64_e32 v[34:35], v[0:1]
	v_lshl_add_u32 v39, v0, 2, 0x84
	s_mov_b32 s5, 0
.LBB95_529:                             ; =>This Inner Loop Header: Depth=1
	s_delay_alu instid0(VALU_DEP_2)
	v_add_nc_u64_e32 v[34:35], 1, v[34:35]
	ds_load_b32 v41, v39
	v_add_nc_u32_e32 v39, 4, v39
	v_cmp_eq_u32_e32 vcc_lo, 1, v34
	v_cndmask_b32_e32 v40, v2, v3, vcc_lo
	v_cmp_eq_u32_e32 vcc_lo, 2, v34
	s_delay_alu instid0(VALU_DEP_2) | instskip(SKIP_1) | instid1(VALU_DEP_2)
	v_cndmask_b32_e32 v40, v40, v4, vcc_lo
	v_cmp_eq_u32_e32 vcc_lo, 3, v34
	v_cndmask_b32_e32 v40, v40, v5, vcc_lo
	v_cmp_eq_u32_e32 vcc_lo, 4, v34
	s_delay_alu instid0(VALU_DEP_2) | instskip(SKIP_1) | instid1(VALU_DEP_2)
	v_cndmask_b32_e32 v40, v40, v6, vcc_lo
	;; [unrolled: 5-line block ×15, first 2 shown]
	v_cmp_eq_u32_e32 vcc_lo, 31, v34
	v_cndmask_b32_e32 v40, v40, v33, vcc_lo
	v_cmp_lt_u32_e32 vcc_lo, 4, v34
	s_wait_dscnt 0x0
	s_delay_alu instid0(VALU_DEP_2) | instskip(SKIP_1) | instid1(SALU_CYCLE_1)
	v_fmac_f32_e32 v38, v40, v41
	s_or_b32 s5, vcc_lo, s5
	s_and_not1_b32 exec_lo, exec_lo, s5
	s_cbranch_execnz .LBB95_529
; %bb.530:
	s_or_b32 exec_lo, exec_lo, s5
.LBB95_531:
	s_delay_alu instid0(SALU_CYCLE_1)
	s_or_b32 exec_lo, exec_lo, s4
	v_mov_b32_e32 v8, 0
	ds_load_b32 v8, v8 offset:24
	s_wait_dscnt 0x0
	v_mul_f32_e32 v8, v38, v8
.LBB95_532:
	s_or_b32 exec_lo, exec_lo, s3
	v_cmp_gt_u32_e64 s3, 7, v0
	ds_store_b32 v133, v9
	s_wait_dscnt 0x0
	s_barrier_signal -1
	s_barrier_wait -1
	s_and_saveexec_b32 s4, s3
	s_cbranch_execz .LBB95_542
; %bb.533:
	v_cmp_ne_u32_e32 vcc_lo, 1, v36
	s_cbranch_vccnz .LBB95_535
; %bb.534:
	v_cmp_eq_u32_e32 vcc_lo, 1, v0
	ds_load_b32 v35, v133
	v_cndmask_b32_e32 v34, v2, v3, vcc_lo
	v_cmp_eq_u32_e32 vcc_lo, 2, v0
	s_delay_alu instid0(VALU_DEP_2) | instskip(SKIP_1) | instid1(VALU_DEP_2)
	v_cndmask_b32_e32 v34, v34, v4, vcc_lo
	v_cmp_eq_u32_e32 vcc_lo, 3, v0
	v_cndmask_b32_e32 v34, v34, v5, vcc_lo
	v_cmp_eq_u32_e32 vcc_lo, 4, v0
	s_delay_alu instid0(VALU_DEP_2) | instskip(SKIP_1) | instid1(VALU_DEP_2)
	v_cndmask_b32_e32 v34, v34, v6, vcc_lo
	v_cmp_eq_u32_e32 vcc_lo, 5, v0
	;; [unrolled: 5-line block ×15, first 2 shown]
	v_cndmask_b32_e32 v34, v34, v33, vcc_lo
	s_wait_dscnt 0x0
	s_delay_alu instid0(VALU_DEP_1)
	v_mul_f32_e32 v38, v34, v35
	s_cbranch_execz .LBB95_536
	s_branch .LBB95_537
.LBB95_535:
                                        ; implicit-def: $vgpr38
.LBB95_536:
	ds_load_b32 v38, v133
.LBB95_537:
	s_mov_b32 s5, exec_lo
	v_cmpx_ne_u32_e32 6, v0
	s_cbranch_execz .LBB95_541
; %bb.538:
	v_mov_b64_e32 v[34:35], v[0:1]
	v_lshl_add_u32 v39, v0, 2, 0x84
	s_mov_b32 s6, 0
.LBB95_539:                             ; =>This Inner Loop Header: Depth=1
	s_delay_alu instid0(VALU_DEP_2)
	v_add_nc_u64_e32 v[34:35], 1, v[34:35]
	ds_load_b32 v41, v39
	v_add_nc_u32_e32 v39, 4, v39
	v_cmp_eq_u32_e32 vcc_lo, 1, v34
	v_cndmask_b32_e32 v40, v2, v3, vcc_lo
	v_cmp_eq_u32_e32 vcc_lo, 2, v34
	s_delay_alu instid0(VALU_DEP_2) | instskip(SKIP_1) | instid1(VALU_DEP_2)
	v_cndmask_b32_e32 v40, v40, v4, vcc_lo
	v_cmp_eq_u32_e32 vcc_lo, 3, v34
	v_cndmask_b32_e32 v40, v40, v5, vcc_lo
	v_cmp_eq_u32_e32 vcc_lo, 4, v34
	s_delay_alu instid0(VALU_DEP_2) | instskip(SKIP_1) | instid1(VALU_DEP_2)
	v_cndmask_b32_e32 v40, v40, v6, vcc_lo
	;; [unrolled: 5-line block ×15, first 2 shown]
	v_cmp_eq_u32_e32 vcc_lo, 31, v34
	v_cndmask_b32_e32 v40, v40, v33, vcc_lo
	v_cmp_lt_u32_e32 vcc_lo, 5, v34
	s_wait_dscnt 0x0
	s_delay_alu instid0(VALU_DEP_2) | instskip(SKIP_1) | instid1(SALU_CYCLE_1)
	v_fmac_f32_e32 v38, v40, v41
	s_or_b32 s6, vcc_lo, s6
	s_and_not1_b32 exec_lo, exec_lo, s6
	s_cbranch_execnz .LBB95_539
; %bb.540:
	s_or_b32 exec_lo, exec_lo, s6
.LBB95_541:
	s_delay_alu instid0(SALU_CYCLE_1)
	s_or_b32 exec_lo, exec_lo, s5
	v_mov_b32_e32 v9, 0
	ds_load_b32 v9, v9 offset:28
	s_wait_dscnt 0x0
	v_mul_f32_e32 v9, v38, v9
.LBB95_542:
	s_or_b32 exec_lo, exec_lo, s4
	s_delay_alu instid0(SALU_CYCLE_1)
	s_mov_b32 s4, exec_lo
	ds_store_b32 v133, v10
	s_wait_dscnt 0x0
	s_barrier_signal -1
	s_barrier_wait -1
	v_cmpx_gt_u32_e32 8, v0
	s_cbranch_execz .LBB95_552
; %bb.543:
	v_cmp_ne_u32_e32 vcc_lo, 1, v36
	s_cbranch_vccnz .LBB95_545
; %bb.544:
	v_cmp_eq_u32_e32 vcc_lo, 1, v0
	ds_load_b32 v35, v133
	v_cndmask_b32_e32 v34, v2, v3, vcc_lo
	v_cmp_eq_u32_e32 vcc_lo, 2, v0
	s_delay_alu instid0(VALU_DEP_2) | instskip(SKIP_1) | instid1(VALU_DEP_2)
	v_cndmask_b32_e32 v34, v34, v4, vcc_lo
	v_cmp_eq_u32_e32 vcc_lo, 3, v0
	v_cndmask_b32_e32 v34, v34, v5, vcc_lo
	v_cmp_eq_u32_e32 vcc_lo, 4, v0
	s_delay_alu instid0(VALU_DEP_2) | instskip(SKIP_1) | instid1(VALU_DEP_2)
	v_cndmask_b32_e32 v34, v34, v6, vcc_lo
	v_cmp_eq_u32_e32 vcc_lo, 5, v0
	;; [unrolled: 5-line block ×15, first 2 shown]
	v_cndmask_b32_e32 v34, v34, v33, vcc_lo
	s_wait_dscnt 0x0
	s_delay_alu instid0(VALU_DEP_1)
	v_mul_f32_e32 v38, v34, v35
	s_cbranch_execz .LBB95_546
	s_branch .LBB95_547
.LBB95_545:
                                        ; implicit-def: $vgpr38
.LBB95_546:
	ds_load_b32 v38, v133
.LBB95_547:
	s_mov_b32 s5, exec_lo
	v_cmpx_ne_u32_e32 7, v0
	s_cbranch_execz .LBB95_551
; %bb.548:
	v_mov_b64_e32 v[34:35], v[0:1]
	v_lshl_add_u32 v39, v0, 2, 0x84
	s_mov_b32 s6, 0
.LBB95_549:                             ; =>This Inner Loop Header: Depth=1
	s_delay_alu instid0(VALU_DEP_2)
	v_add_nc_u64_e32 v[34:35], 1, v[34:35]
	ds_load_b32 v41, v39
	v_add_nc_u32_e32 v39, 4, v39
	v_cmp_eq_u32_e32 vcc_lo, 1, v34
	v_cndmask_b32_e32 v40, v2, v3, vcc_lo
	v_cmp_eq_u32_e32 vcc_lo, 2, v34
	s_delay_alu instid0(VALU_DEP_2) | instskip(SKIP_1) | instid1(VALU_DEP_2)
	v_cndmask_b32_e32 v40, v40, v4, vcc_lo
	v_cmp_eq_u32_e32 vcc_lo, 3, v34
	v_cndmask_b32_e32 v40, v40, v5, vcc_lo
	v_cmp_eq_u32_e32 vcc_lo, 4, v34
	s_delay_alu instid0(VALU_DEP_2) | instskip(SKIP_1) | instid1(VALU_DEP_2)
	v_cndmask_b32_e32 v40, v40, v6, vcc_lo
	;; [unrolled: 5-line block ×15, first 2 shown]
	v_cmp_eq_u32_e32 vcc_lo, 31, v34
	v_cndmask_b32_e32 v40, v40, v33, vcc_lo
	v_cmp_lt_u32_e32 vcc_lo, 6, v34
	s_wait_dscnt 0x0
	s_delay_alu instid0(VALU_DEP_2) | instskip(SKIP_1) | instid1(SALU_CYCLE_1)
	v_fmac_f32_e32 v38, v40, v41
	s_or_b32 s6, vcc_lo, s6
	s_and_not1_b32 exec_lo, exec_lo, s6
	s_cbranch_execnz .LBB95_549
; %bb.550:
	s_or_b32 exec_lo, exec_lo, s6
.LBB95_551:
	s_delay_alu instid0(SALU_CYCLE_1)
	s_or_b32 exec_lo, exec_lo, s5
	v_mov_b32_e32 v10, 0
	ds_load_b32 v10, v10 offset:32
	s_wait_dscnt 0x0
	v_mul_f32_e32 v10, v38, v10
.LBB95_552:
	s_or_b32 exec_lo, exec_lo, s4
	s_delay_alu instid0(SALU_CYCLE_1)
	s_mov_b32 s4, exec_lo
	ds_store_b32 v133, v11
	s_wait_dscnt 0x0
	s_barrier_signal -1
	s_barrier_wait -1
	v_cmpx_gt_u32_e32 9, v0
	s_cbranch_execz .LBB95_574
; %bb.553:
	v_cmp_ne_u32_e32 vcc_lo, 1, v36
	s_cbranch_vccnz .LBB95_555
; %bb.554:
	v_cmp_eq_u32_e32 vcc_lo, 1, v0
	ds_load_b32 v35, v133
	v_cndmask_b32_e32 v34, v2, v3, vcc_lo
	v_cmp_eq_u32_e32 vcc_lo, 2, v0
	s_delay_alu instid0(VALU_DEP_2) | instskip(SKIP_1) | instid1(VALU_DEP_2)
	v_cndmask_b32_e32 v34, v34, v4, vcc_lo
	v_cmp_eq_u32_e32 vcc_lo, 3, v0
	v_cndmask_b32_e32 v34, v34, v5, vcc_lo
	v_cmp_eq_u32_e32 vcc_lo, 4, v0
	s_delay_alu instid0(VALU_DEP_2) | instskip(SKIP_1) | instid1(VALU_DEP_2)
	v_cndmask_b32_e32 v34, v34, v6, vcc_lo
	v_cmp_eq_u32_e32 vcc_lo, 5, v0
	;; [unrolled: 5-line block ×15, first 2 shown]
	v_cndmask_b32_e32 v34, v34, v33, vcc_lo
	s_wait_dscnt 0x0
	s_delay_alu instid0(VALU_DEP_1)
	v_mul_f32_e32 v34, v34, v35
	s_cbranch_execz .LBB95_556
	s_branch .LBB95_557
.LBB95_555:
                                        ; implicit-def: $vgpr34
.LBB95_556:
	ds_load_b32 v34, v133
.LBB95_557:
	s_mov_b32 s5, exec_lo
	v_cmpx_ne_u32_e32 8, v0
	s_cbranch_execz .LBB95_573
; %bb.558:
	v_cmp_eq_u32_e32 vcc_lo, 1, v37
	ds_load_b32 v38, v133 offset:4
	v_cndmask_b32_e32 v35, v2, v3, vcc_lo
	v_cmp_eq_u32_e32 vcc_lo, 2, v37
	s_delay_alu instid0(VALU_DEP_2) | instskip(SKIP_1) | instid1(VALU_DEP_2)
	v_cndmask_b32_e32 v35, v35, v4, vcc_lo
	v_cmp_eq_u32_e32 vcc_lo, 3, v37
	v_cndmask_b32_e32 v35, v35, v5, vcc_lo
	v_cmp_eq_u32_e32 vcc_lo, 4, v37
	s_delay_alu instid0(VALU_DEP_2) | instskip(SKIP_1) | instid1(VALU_DEP_2)
	v_cndmask_b32_e32 v35, v35, v6, vcc_lo
	v_cmp_eq_u32_e32 vcc_lo, 5, v37
	;; [unrolled: 5-line block ×15, first 2 shown]
	v_cndmask_b32_e32 v35, v35, v33, vcc_lo
	s_wait_dscnt 0x0
	s_delay_alu instid0(VALU_DEP_1)
	v_fmac_f32_e32 v34, v35, v38
	s_and_saveexec_b32 s6, s3
	s_cbranch_execz .LBB95_572
; %bb.559:
	v_add_nc_u32_e32 v35, 2, v0
	ds_load_b32 v38, v133 offset:8
	s_mov_b32 s3, exec_lo
	v_cmp_eq_u32_e32 vcc_lo, 1, v35
	v_cndmask_b32_e32 v37, v2, v3, vcc_lo
	v_cmp_eq_u32_e32 vcc_lo, 2, v35
	s_delay_alu instid0(VALU_DEP_2) | instskip(SKIP_1) | instid1(VALU_DEP_2)
	v_cndmask_b32_e32 v37, v37, v4, vcc_lo
	v_cmp_eq_u32_e32 vcc_lo, 3, v35
	v_cndmask_b32_e32 v37, v37, v5, vcc_lo
	v_cmp_eq_u32_e32 vcc_lo, 4, v35
	s_delay_alu instid0(VALU_DEP_2) | instskip(SKIP_1) | instid1(VALU_DEP_2)
	v_cndmask_b32_e32 v37, v37, v6, vcc_lo
	;; [unrolled: 5-line block ×15, first 2 shown]
	v_cmp_eq_u32_e32 vcc_lo, 31, v35
	v_cndmask_b32_e32 v35, v37, v33, vcc_lo
	s_wait_dscnt 0x0
	s_delay_alu instid0(VALU_DEP_1)
	v_fmac_f32_e32 v34, v35, v38
	v_cmpx_ne_u32_e32 6, v0
	s_cbranch_execz .LBB95_571
; %bb.560:
	v_add_nc_u32_e32 v35, 3, v0
	ds_load_b32 v38, v133 offset:12
	v_cmp_eq_u32_e32 vcc_lo, 1, v35
	v_cndmask_b32_e32 v37, v2, v3, vcc_lo
	v_cmp_eq_u32_e32 vcc_lo, 2, v35
	s_delay_alu instid0(VALU_DEP_2) | instskip(SKIP_1) | instid1(VALU_DEP_2)
	v_cndmask_b32_e32 v37, v37, v4, vcc_lo
	v_cmp_eq_u32_e32 vcc_lo, 3, v35
	v_cndmask_b32_e32 v37, v37, v5, vcc_lo
	v_cmp_eq_u32_e32 vcc_lo, 4, v35
	s_delay_alu instid0(VALU_DEP_2) | instskip(SKIP_1) | instid1(VALU_DEP_2)
	v_cndmask_b32_e32 v37, v37, v6, vcc_lo
	v_cmp_eq_u32_e32 vcc_lo, 5, v35
	v_cndmask_b32_e32 v37, v37, v7, vcc_lo
	v_cmp_eq_u32_e32 vcc_lo, 6, v35
	s_delay_alu instid0(VALU_DEP_2) | instskip(SKIP_1) | instid1(VALU_DEP_2)
	v_cndmask_b32_e32 v37, v37, v8, vcc_lo
	v_cmp_eq_u32_e32 vcc_lo, 7, v35
	v_cndmask_b32_e32 v37, v37, v9, vcc_lo
	v_cmp_eq_u32_e32 vcc_lo, 8, v35
	s_delay_alu instid0(VALU_DEP_2) | instskip(SKIP_1) | instid1(VALU_DEP_2)
	v_cndmask_b32_e32 v37, v37, v10, vcc_lo
	v_cmp_eq_u32_e32 vcc_lo, 9, v35
	v_cndmask_b32_e32 v37, v37, v11, vcc_lo
	v_cmp_eq_u32_e32 vcc_lo, 10, v35
	s_delay_alu instid0(VALU_DEP_2) | instskip(SKIP_1) | instid1(VALU_DEP_2)
	v_cndmask_b32_e32 v37, v37, v12, vcc_lo
	v_cmp_eq_u32_e32 vcc_lo, 11, v35
	v_cndmask_b32_e32 v37, v37, v13, vcc_lo
	v_cmp_eq_u32_e32 vcc_lo, 12, v35
	s_delay_alu instid0(VALU_DEP_2) | instskip(SKIP_1) | instid1(VALU_DEP_2)
	v_cndmask_b32_e32 v37, v37, v14, vcc_lo
	v_cmp_eq_u32_e32 vcc_lo, 13, v35
	v_cndmask_b32_e32 v37, v37, v15, vcc_lo
	v_cmp_eq_u32_e32 vcc_lo, 14, v35
	s_delay_alu instid0(VALU_DEP_2) | instskip(SKIP_1) | instid1(VALU_DEP_2)
	v_cndmask_b32_e32 v37, v37, v16, vcc_lo
	v_cmp_eq_u32_e32 vcc_lo, 15, v35
	v_cndmask_b32_e32 v37, v37, v17, vcc_lo
	v_cmp_eq_u32_e32 vcc_lo, 16, v35
	s_delay_alu instid0(VALU_DEP_2) | instskip(SKIP_1) | instid1(VALU_DEP_2)
	v_cndmask_b32_e32 v37, v37, v18, vcc_lo
	v_cmp_eq_u32_e32 vcc_lo, 17, v35
	v_cndmask_b32_e32 v37, v37, v19, vcc_lo
	v_cmp_eq_u32_e32 vcc_lo, 18, v35
	s_delay_alu instid0(VALU_DEP_2) | instskip(SKIP_1) | instid1(VALU_DEP_2)
	v_cndmask_b32_e32 v37, v37, v20, vcc_lo
	v_cmp_eq_u32_e32 vcc_lo, 19, v35
	v_cndmask_b32_e32 v37, v37, v21, vcc_lo
	v_cmp_eq_u32_e32 vcc_lo, 20, v35
	s_delay_alu instid0(VALU_DEP_2) | instskip(SKIP_1) | instid1(VALU_DEP_2)
	v_cndmask_b32_e32 v37, v37, v22, vcc_lo
	v_cmp_eq_u32_e32 vcc_lo, 21, v35
	v_cndmask_b32_e32 v37, v37, v23, vcc_lo
	v_cmp_eq_u32_e32 vcc_lo, 22, v35
	s_delay_alu instid0(VALU_DEP_2) | instskip(SKIP_1) | instid1(VALU_DEP_2)
	v_cndmask_b32_e32 v37, v37, v24, vcc_lo
	v_cmp_eq_u32_e32 vcc_lo, 23, v35
	v_cndmask_b32_e32 v37, v37, v25, vcc_lo
	v_cmp_eq_u32_e32 vcc_lo, 24, v35
	s_delay_alu instid0(VALU_DEP_2) | instskip(SKIP_1) | instid1(VALU_DEP_2)
	v_cndmask_b32_e32 v37, v37, v26, vcc_lo
	v_cmp_eq_u32_e32 vcc_lo, 25, v35
	v_cndmask_b32_e32 v37, v37, v27, vcc_lo
	v_cmp_eq_u32_e32 vcc_lo, 26, v35
	s_delay_alu instid0(VALU_DEP_2) | instskip(SKIP_1) | instid1(VALU_DEP_2)
	v_cndmask_b32_e32 v37, v37, v28, vcc_lo
	v_cmp_eq_u32_e32 vcc_lo, 27, v35
	v_cndmask_b32_e32 v37, v37, v29, vcc_lo
	v_cmp_eq_u32_e32 vcc_lo, 28, v35
	s_delay_alu instid0(VALU_DEP_2) | instskip(SKIP_1) | instid1(VALU_DEP_2)
	v_cndmask_b32_e32 v37, v37, v30, vcc_lo
	v_cmp_eq_u32_e32 vcc_lo, 29, v35
	v_cndmask_b32_e32 v37, v37, v31, vcc_lo
	v_cmp_eq_u32_e32 vcc_lo, 30, v35
	s_delay_alu instid0(VALU_DEP_2) | instskip(SKIP_1) | instid1(VALU_DEP_2)
	v_cndmask_b32_e32 v37, v37, v32, vcc_lo
	v_cmp_eq_u32_e32 vcc_lo, 31, v35
	v_cndmask_b32_e32 v35, v37, v33, vcc_lo
	s_wait_dscnt 0x0
	s_delay_alu instid0(VALU_DEP_1)
	v_fmac_f32_e32 v34, v35, v38
	s_and_saveexec_b32 s7, s2
	s_cbranch_execz .LBB95_570
; %bb.561:
	v_add_nc_u32_e32 v35, 4, v0
	ds_load_b32 v38, v133 offset:16
	s_mov_b32 s2, exec_lo
	v_cmp_eq_u32_e32 vcc_lo, 1, v35
	v_cndmask_b32_e32 v37, v2, v3, vcc_lo
	v_cmp_eq_u32_e32 vcc_lo, 2, v35
	s_delay_alu instid0(VALU_DEP_2) | instskip(SKIP_1) | instid1(VALU_DEP_2)
	v_cndmask_b32_e32 v37, v37, v4, vcc_lo
	v_cmp_eq_u32_e32 vcc_lo, 3, v35
	v_cndmask_b32_e32 v37, v37, v5, vcc_lo
	v_cmp_eq_u32_e32 vcc_lo, 4, v35
	s_delay_alu instid0(VALU_DEP_2) | instskip(SKIP_1) | instid1(VALU_DEP_2)
	v_cndmask_b32_e32 v37, v37, v6, vcc_lo
	;; [unrolled: 5-line block ×15, first 2 shown]
	v_cmp_eq_u32_e32 vcc_lo, 31, v35
	v_cndmask_b32_e32 v35, v37, v33, vcc_lo
	s_wait_dscnt 0x0
	s_delay_alu instid0(VALU_DEP_1)
	v_fmac_f32_e32 v34, v35, v38
	v_cmpx_ne_u32_e32 4, v0
	s_cbranch_execz .LBB95_569
; %bb.562:
	v_add_nc_u32_e32 v35, 5, v0
	ds_load_b32 v38, v133 offset:20
	v_cmp_eq_u32_e32 vcc_lo, 1, v35
	v_cndmask_b32_e32 v37, v2, v3, vcc_lo
	v_cmp_eq_u32_e32 vcc_lo, 2, v35
	s_delay_alu instid0(VALU_DEP_2) | instskip(SKIP_1) | instid1(VALU_DEP_2)
	v_cndmask_b32_e32 v37, v37, v4, vcc_lo
	v_cmp_eq_u32_e32 vcc_lo, 3, v35
	v_cndmask_b32_e32 v37, v37, v5, vcc_lo
	v_cmp_eq_u32_e32 vcc_lo, 4, v35
	s_delay_alu instid0(VALU_DEP_2) | instskip(SKIP_1) | instid1(VALU_DEP_2)
	v_cndmask_b32_e32 v37, v37, v6, vcc_lo
	;; [unrolled: 5-line block ×15, first 2 shown]
	v_cmp_eq_u32_e32 vcc_lo, 31, v35
	v_cndmask_b32_e32 v35, v37, v33, vcc_lo
	s_wait_dscnt 0x0
	s_delay_alu instid0(VALU_DEP_1)
	v_fmac_f32_e32 v34, v35, v38
	s_and_saveexec_b32 s8, s1
	s_cbranch_execz .LBB95_568
; %bb.563:
	v_add_nc_u32_e32 v35, 6, v0
	ds_load_b32 v38, v133 offset:24
	s_mov_b32 s1, exec_lo
	v_cmp_eq_u32_e32 vcc_lo, 1, v35
	v_cndmask_b32_e32 v37, v2, v3, vcc_lo
	v_cmp_eq_u32_e32 vcc_lo, 2, v35
	s_delay_alu instid0(VALU_DEP_2) | instskip(SKIP_1) | instid1(VALU_DEP_2)
	v_cndmask_b32_e32 v37, v37, v4, vcc_lo
	v_cmp_eq_u32_e32 vcc_lo, 3, v35
	v_cndmask_b32_e32 v37, v37, v5, vcc_lo
	v_cmp_eq_u32_e32 vcc_lo, 4, v35
	s_delay_alu instid0(VALU_DEP_2) | instskip(SKIP_1) | instid1(VALU_DEP_2)
	v_cndmask_b32_e32 v37, v37, v6, vcc_lo
	;; [unrolled: 5-line block ×15, first 2 shown]
	v_cmp_eq_u32_e32 vcc_lo, 31, v35
	v_cndmask_b32_e32 v35, v37, v33, vcc_lo
	s_wait_dscnt 0x0
	s_delay_alu instid0(VALU_DEP_1)
	v_fmac_f32_e32 v34, v35, v38
	v_cmpx_ne_u32_e32 2, v0
	s_cbranch_execz .LBB95_567
; %bb.564:
	v_add_nc_u32_e32 v35, 7, v0
	s_delay_alu instid0(VALU_DEP_1) | instskip(SKIP_2) | instid1(VALU_DEP_2)
	v_cmp_eq_u32_e32 vcc_lo, 1, v35
	v_cndmask_b32_e32 v37, v2, v3, vcc_lo
	v_cmp_eq_u32_e32 vcc_lo, 2, v35
	v_cndmask_b32_e32 v37, v37, v4, vcc_lo
	v_cmp_eq_u32_e32 vcc_lo, 3, v35
	s_delay_alu instid0(VALU_DEP_2) | instskip(SKIP_1) | instid1(VALU_DEP_2)
	v_cndmask_b32_e32 v37, v37, v5, vcc_lo
	v_cmp_eq_u32_e32 vcc_lo, 4, v35
	v_cndmask_b32_e32 v37, v37, v6, vcc_lo
	v_cmp_eq_u32_e32 vcc_lo, 5, v35
	s_delay_alu instid0(VALU_DEP_2) | instskip(SKIP_1) | instid1(VALU_DEP_2)
	v_cndmask_b32_e32 v37, v37, v7, vcc_lo
	v_cmp_eq_u32_e32 vcc_lo, 6, v35
	v_cndmask_b32_e32 v37, v37, v8, vcc_lo
	v_cmp_eq_u32_e32 vcc_lo, 7, v35
	s_delay_alu instid0(VALU_DEP_2) | instskip(SKIP_1) | instid1(VALU_DEP_2)
	v_cndmask_b32_e32 v37, v37, v9, vcc_lo
	v_cmp_eq_u32_e32 vcc_lo, 8, v35
	v_cndmask_b32_e32 v37, v37, v10, vcc_lo
	v_cmp_eq_u32_e32 vcc_lo, 9, v35
	s_delay_alu instid0(VALU_DEP_2) | instskip(SKIP_4) | instid1(VALU_DEP_2)
	v_cndmask_b32_e32 v11, v37, v11, vcc_lo
	v_cmp_eq_u32_e32 vcc_lo, 10, v35
	ds_load_b32 v37, v133 offset:28
	v_cndmask_b32_e32 v11, v11, v12, vcc_lo
	v_cmp_eq_u32_e32 vcc_lo, 11, v35
	v_cndmask_b32_e32 v11, v11, v13, vcc_lo
	v_cmp_eq_u32_e32 vcc_lo, 12, v35
	s_delay_alu instid0(VALU_DEP_2) | instskip(SKIP_1) | instid1(VALU_DEP_2)
	v_cndmask_b32_e32 v11, v11, v14, vcc_lo
	v_cmp_eq_u32_e32 vcc_lo, 13, v35
	v_cndmask_b32_e32 v11, v11, v15, vcc_lo
	v_cmp_eq_u32_e32 vcc_lo, 14, v35
	s_delay_alu instid0(VALU_DEP_2) | instskip(SKIP_1) | instid1(VALU_DEP_2)
	;; [unrolled: 5-line block ×10, first 2 shown]
	v_cndmask_b32_e32 v11, v11, v32, vcc_lo
	v_cmp_eq_u32_e32 vcc_lo, 31, v35
	v_cndmask_b32_e32 v11, v11, v33, vcc_lo
	s_wait_dscnt 0x0
	s_delay_alu instid0(VALU_DEP_1)
	v_fmac_f32_e32 v34, v11, v37
	s_and_saveexec_b32 s9, s0
	s_cbranch_execz .LBB95_566
; %bb.565:
	ds_load_b32 v11, v133 offset:32
	s_wait_dscnt 0x0
	v_fmac_f32_e32 v34, v10, v11
.LBB95_566:
	s_or_b32 exec_lo, exec_lo, s9
.LBB95_567:
	s_delay_alu instid0(SALU_CYCLE_1)
	s_or_b32 exec_lo, exec_lo, s1
.LBB95_568:
	s_delay_alu instid0(SALU_CYCLE_1)
	s_or_b32 exec_lo, exec_lo, s8
.LBB95_569:
	s_delay_alu instid0(SALU_CYCLE_1)
	s_or_b32 exec_lo, exec_lo, s2
.LBB95_570:
	s_delay_alu instid0(SALU_CYCLE_1)
	s_or_b32 exec_lo, exec_lo, s7
.LBB95_571:
	s_delay_alu instid0(SALU_CYCLE_1)
	s_or_b32 exec_lo, exec_lo, s3
.LBB95_572:
	s_delay_alu instid0(SALU_CYCLE_1)
	s_or_b32 exec_lo, exec_lo, s6
.LBB95_573:
	s_delay_alu instid0(SALU_CYCLE_1)
	s_or_b32 exec_lo, exec_lo, s5
	v_mov_b32_e32 v11, 0
	ds_load_b32 v11, v11 offset:36
	s_wait_dscnt 0x0
	v_mul_f32_e32 v11, v34, v11
.LBB95_574:
	s_or_b32 exec_lo, exec_lo, s4
	s_delay_alu instid0(SALU_CYCLE_1)
	s_mov_b32 s0, exec_lo
	ds_store_b32 v133, v12
	s_wait_dscnt 0x0
	s_barrier_signal -1
	s_barrier_wait -1
	v_cmpx_gt_u32_e32 10, v0
	s_cbranch_execz .LBB95_584
; %bb.575:
	v_cmp_ne_u32_e32 vcc_lo, 1, v36
	s_cbranch_vccnz .LBB95_577
; %bb.576:
	v_cmp_eq_u32_e32 vcc_lo, 1, v0
	ds_load_b32 v35, v133
	v_cndmask_b32_e32 v34, v2, v3, vcc_lo
	v_cmp_eq_u32_e32 vcc_lo, 2, v0
	s_delay_alu instid0(VALU_DEP_2) | instskip(SKIP_1) | instid1(VALU_DEP_2)
	v_cndmask_b32_e32 v34, v34, v4, vcc_lo
	v_cmp_eq_u32_e32 vcc_lo, 3, v0
	v_cndmask_b32_e32 v34, v34, v5, vcc_lo
	v_cmp_eq_u32_e32 vcc_lo, 4, v0
	s_delay_alu instid0(VALU_DEP_2) | instskip(SKIP_1) | instid1(VALU_DEP_2)
	v_cndmask_b32_e32 v34, v34, v6, vcc_lo
	v_cmp_eq_u32_e32 vcc_lo, 5, v0
	;; [unrolled: 5-line block ×15, first 2 shown]
	v_cndmask_b32_e32 v34, v34, v33, vcc_lo
	s_wait_dscnt 0x0
	s_delay_alu instid0(VALU_DEP_1)
	v_mul_f32_e32 v37, v34, v35
	s_cbranch_execz .LBB95_578
	s_branch .LBB95_579
.LBB95_577:
                                        ; implicit-def: $vgpr37
.LBB95_578:
	ds_load_b32 v37, v133
.LBB95_579:
	s_mov_b32 s1, exec_lo
	v_cmpx_ne_u32_e32 9, v0
	s_cbranch_execz .LBB95_583
; %bb.580:
	v_mov_b64_e32 v[34:35], v[0:1]
	v_lshl_add_u32 v38, v0, 2, 0x84
	s_mov_b32 s2, 0
.LBB95_581:                             ; =>This Inner Loop Header: Depth=1
	s_delay_alu instid0(VALU_DEP_2)
	v_add_nc_u64_e32 v[34:35], 1, v[34:35]
	ds_load_b32 v40, v38
	v_add_nc_u32_e32 v38, 4, v38
	v_cmp_eq_u32_e32 vcc_lo, 1, v34
	v_cndmask_b32_e32 v39, v2, v3, vcc_lo
	v_cmp_eq_u32_e32 vcc_lo, 2, v34
	s_delay_alu instid0(VALU_DEP_2) | instskip(SKIP_1) | instid1(VALU_DEP_2)
	v_cndmask_b32_e32 v39, v39, v4, vcc_lo
	v_cmp_eq_u32_e32 vcc_lo, 3, v34
	v_cndmask_b32_e32 v39, v39, v5, vcc_lo
	v_cmp_eq_u32_e32 vcc_lo, 4, v34
	s_delay_alu instid0(VALU_DEP_2) | instskip(SKIP_1) | instid1(VALU_DEP_2)
	v_cndmask_b32_e32 v39, v39, v6, vcc_lo
	;; [unrolled: 5-line block ×15, first 2 shown]
	v_cmp_eq_u32_e32 vcc_lo, 31, v34
	v_cndmask_b32_e32 v39, v39, v33, vcc_lo
	v_cmp_lt_u32_e32 vcc_lo, 8, v34
	s_wait_dscnt 0x0
	s_delay_alu instid0(VALU_DEP_2) | instskip(SKIP_1) | instid1(SALU_CYCLE_1)
	v_fmac_f32_e32 v37, v39, v40
	s_or_b32 s2, vcc_lo, s2
	s_and_not1_b32 exec_lo, exec_lo, s2
	s_cbranch_execnz .LBB95_581
; %bb.582:
	s_or_b32 exec_lo, exec_lo, s2
.LBB95_583:
	s_delay_alu instid0(SALU_CYCLE_1)
	s_or_b32 exec_lo, exec_lo, s1
	v_mov_b32_e32 v12, 0
	ds_load_b32 v12, v12 offset:40
	s_wait_dscnt 0x0
	v_mul_f32_e32 v12, v37, v12
.LBB95_584:
	s_or_b32 exec_lo, exec_lo, s0
	s_delay_alu instid0(SALU_CYCLE_1)
	s_mov_b32 s0, exec_lo
	ds_store_b32 v133, v13
	s_wait_dscnt 0x0
	s_barrier_signal -1
	s_barrier_wait -1
	v_cmpx_gt_u32_e32 11, v0
	s_cbranch_execz .LBB95_594
; %bb.585:
	v_cmp_ne_u32_e32 vcc_lo, 1, v36
	s_cbranch_vccnz .LBB95_587
; %bb.586:
	v_cmp_eq_u32_e32 vcc_lo, 1, v0
	ds_load_b32 v35, v133
	v_cndmask_b32_e32 v34, v2, v3, vcc_lo
	v_cmp_eq_u32_e32 vcc_lo, 2, v0
	s_delay_alu instid0(VALU_DEP_2) | instskip(SKIP_1) | instid1(VALU_DEP_2)
	v_cndmask_b32_e32 v34, v34, v4, vcc_lo
	v_cmp_eq_u32_e32 vcc_lo, 3, v0
	v_cndmask_b32_e32 v34, v34, v5, vcc_lo
	v_cmp_eq_u32_e32 vcc_lo, 4, v0
	s_delay_alu instid0(VALU_DEP_2) | instskip(SKIP_1) | instid1(VALU_DEP_2)
	v_cndmask_b32_e32 v34, v34, v6, vcc_lo
	v_cmp_eq_u32_e32 vcc_lo, 5, v0
	;; [unrolled: 5-line block ×15, first 2 shown]
	v_cndmask_b32_e32 v34, v34, v33, vcc_lo
	s_wait_dscnt 0x0
	s_delay_alu instid0(VALU_DEP_1)
	v_mul_f32_e32 v37, v34, v35
	s_cbranch_execz .LBB95_588
	s_branch .LBB95_589
.LBB95_587:
                                        ; implicit-def: $vgpr37
.LBB95_588:
	ds_load_b32 v37, v133
.LBB95_589:
	s_mov_b32 s1, exec_lo
	v_cmpx_ne_u32_e32 10, v0
	s_cbranch_execz .LBB95_593
; %bb.590:
	v_mov_b64_e32 v[34:35], v[0:1]
	v_lshl_add_u32 v38, v0, 2, 0x84
	s_mov_b32 s2, 0
.LBB95_591:                             ; =>This Inner Loop Header: Depth=1
	s_delay_alu instid0(VALU_DEP_2)
	v_add_nc_u64_e32 v[34:35], 1, v[34:35]
	ds_load_b32 v40, v38
	v_add_nc_u32_e32 v38, 4, v38
	v_cmp_eq_u32_e32 vcc_lo, 1, v34
	v_cndmask_b32_e32 v39, v2, v3, vcc_lo
	v_cmp_eq_u32_e32 vcc_lo, 2, v34
	s_delay_alu instid0(VALU_DEP_2) | instskip(SKIP_1) | instid1(VALU_DEP_2)
	v_cndmask_b32_e32 v39, v39, v4, vcc_lo
	v_cmp_eq_u32_e32 vcc_lo, 3, v34
	v_cndmask_b32_e32 v39, v39, v5, vcc_lo
	v_cmp_eq_u32_e32 vcc_lo, 4, v34
	s_delay_alu instid0(VALU_DEP_2) | instskip(SKIP_1) | instid1(VALU_DEP_2)
	v_cndmask_b32_e32 v39, v39, v6, vcc_lo
	;; [unrolled: 5-line block ×15, first 2 shown]
	v_cmp_eq_u32_e32 vcc_lo, 31, v34
	v_cndmask_b32_e32 v39, v39, v33, vcc_lo
	v_cmp_lt_u32_e32 vcc_lo, 9, v34
	s_wait_dscnt 0x0
	s_delay_alu instid0(VALU_DEP_2) | instskip(SKIP_1) | instid1(SALU_CYCLE_1)
	v_fmac_f32_e32 v37, v39, v40
	s_or_b32 s2, vcc_lo, s2
	s_and_not1_b32 exec_lo, exec_lo, s2
	s_cbranch_execnz .LBB95_591
; %bb.592:
	s_or_b32 exec_lo, exec_lo, s2
.LBB95_593:
	s_delay_alu instid0(SALU_CYCLE_1)
	s_or_b32 exec_lo, exec_lo, s1
	v_mov_b32_e32 v13, 0
	ds_load_b32 v13, v13 offset:44
	s_wait_dscnt 0x0
	v_mul_f32_e32 v13, v37, v13
.LBB95_594:
	s_or_b32 exec_lo, exec_lo, s0
	s_delay_alu instid0(SALU_CYCLE_1)
	s_mov_b32 s0, exec_lo
	ds_store_b32 v133, v14
	s_wait_dscnt 0x0
	s_barrier_signal -1
	s_barrier_wait -1
	v_cmpx_gt_u32_e32 12, v0
	s_cbranch_execz .LBB95_604
; %bb.595:
	v_cmp_ne_u32_e32 vcc_lo, 1, v36
	s_cbranch_vccnz .LBB95_597
; %bb.596:
	v_cmp_eq_u32_e32 vcc_lo, 1, v0
	ds_load_b32 v35, v133
	v_cndmask_b32_e32 v34, v2, v3, vcc_lo
	v_cmp_eq_u32_e32 vcc_lo, 2, v0
	s_delay_alu instid0(VALU_DEP_2) | instskip(SKIP_1) | instid1(VALU_DEP_2)
	v_cndmask_b32_e32 v34, v34, v4, vcc_lo
	v_cmp_eq_u32_e32 vcc_lo, 3, v0
	v_cndmask_b32_e32 v34, v34, v5, vcc_lo
	v_cmp_eq_u32_e32 vcc_lo, 4, v0
	s_delay_alu instid0(VALU_DEP_2) | instskip(SKIP_1) | instid1(VALU_DEP_2)
	v_cndmask_b32_e32 v34, v34, v6, vcc_lo
	v_cmp_eq_u32_e32 vcc_lo, 5, v0
	;; [unrolled: 5-line block ×15, first 2 shown]
	v_cndmask_b32_e32 v34, v34, v33, vcc_lo
	s_wait_dscnt 0x0
	s_delay_alu instid0(VALU_DEP_1)
	v_mul_f32_e32 v37, v34, v35
	s_cbranch_execz .LBB95_598
	s_branch .LBB95_599
.LBB95_597:
                                        ; implicit-def: $vgpr37
.LBB95_598:
	ds_load_b32 v37, v133
.LBB95_599:
	s_mov_b32 s1, exec_lo
	v_cmpx_ne_u32_e32 11, v0
	s_cbranch_execz .LBB95_603
; %bb.600:
	v_mov_b64_e32 v[34:35], v[0:1]
	v_lshl_add_u32 v38, v0, 2, 0x84
	s_mov_b32 s2, 0
.LBB95_601:                             ; =>This Inner Loop Header: Depth=1
	s_delay_alu instid0(VALU_DEP_2)
	v_add_nc_u64_e32 v[34:35], 1, v[34:35]
	ds_load_b32 v40, v38
	v_add_nc_u32_e32 v38, 4, v38
	v_cmp_eq_u32_e32 vcc_lo, 1, v34
	v_cndmask_b32_e32 v39, v2, v3, vcc_lo
	v_cmp_eq_u32_e32 vcc_lo, 2, v34
	s_delay_alu instid0(VALU_DEP_2) | instskip(SKIP_1) | instid1(VALU_DEP_2)
	v_cndmask_b32_e32 v39, v39, v4, vcc_lo
	v_cmp_eq_u32_e32 vcc_lo, 3, v34
	v_cndmask_b32_e32 v39, v39, v5, vcc_lo
	v_cmp_eq_u32_e32 vcc_lo, 4, v34
	s_delay_alu instid0(VALU_DEP_2) | instskip(SKIP_1) | instid1(VALU_DEP_2)
	v_cndmask_b32_e32 v39, v39, v6, vcc_lo
	;; [unrolled: 5-line block ×15, first 2 shown]
	v_cmp_eq_u32_e32 vcc_lo, 31, v34
	v_cndmask_b32_e32 v39, v39, v33, vcc_lo
	v_cmp_lt_u32_e32 vcc_lo, 10, v34
	s_wait_dscnt 0x0
	s_delay_alu instid0(VALU_DEP_2) | instskip(SKIP_1) | instid1(SALU_CYCLE_1)
	v_fmac_f32_e32 v37, v39, v40
	s_or_b32 s2, vcc_lo, s2
	s_and_not1_b32 exec_lo, exec_lo, s2
	s_cbranch_execnz .LBB95_601
; %bb.602:
	s_or_b32 exec_lo, exec_lo, s2
.LBB95_603:
	s_delay_alu instid0(SALU_CYCLE_1)
	s_or_b32 exec_lo, exec_lo, s1
	v_mov_b32_e32 v14, 0
	ds_load_b32 v14, v14 offset:48
	s_wait_dscnt 0x0
	v_mul_f32_e32 v14, v37, v14
.LBB95_604:
	s_or_b32 exec_lo, exec_lo, s0
	s_delay_alu instid0(SALU_CYCLE_1)
	s_mov_b32 s0, exec_lo
	ds_store_b32 v133, v15
	s_wait_dscnt 0x0
	s_barrier_signal -1
	s_barrier_wait -1
	v_cmpx_gt_u32_e32 13, v0
	s_cbranch_execz .LBB95_614
; %bb.605:
	v_cmp_ne_u32_e32 vcc_lo, 1, v36
	s_cbranch_vccnz .LBB95_607
; %bb.606:
	v_cmp_eq_u32_e32 vcc_lo, 1, v0
	ds_load_b32 v35, v133
	v_cndmask_b32_e32 v34, v2, v3, vcc_lo
	v_cmp_eq_u32_e32 vcc_lo, 2, v0
	s_delay_alu instid0(VALU_DEP_2) | instskip(SKIP_1) | instid1(VALU_DEP_2)
	v_cndmask_b32_e32 v34, v34, v4, vcc_lo
	v_cmp_eq_u32_e32 vcc_lo, 3, v0
	v_cndmask_b32_e32 v34, v34, v5, vcc_lo
	v_cmp_eq_u32_e32 vcc_lo, 4, v0
	s_delay_alu instid0(VALU_DEP_2) | instskip(SKIP_1) | instid1(VALU_DEP_2)
	v_cndmask_b32_e32 v34, v34, v6, vcc_lo
	v_cmp_eq_u32_e32 vcc_lo, 5, v0
	;; [unrolled: 5-line block ×15, first 2 shown]
	v_cndmask_b32_e32 v34, v34, v33, vcc_lo
	s_wait_dscnt 0x0
	s_delay_alu instid0(VALU_DEP_1)
	v_mul_f32_e32 v37, v34, v35
	s_cbranch_execz .LBB95_608
	s_branch .LBB95_609
.LBB95_607:
                                        ; implicit-def: $vgpr37
.LBB95_608:
	ds_load_b32 v37, v133
.LBB95_609:
	s_mov_b32 s1, exec_lo
	v_cmpx_ne_u32_e32 12, v0
	s_cbranch_execz .LBB95_613
; %bb.610:
	v_mov_b64_e32 v[34:35], v[0:1]
	v_lshl_add_u32 v38, v0, 2, 0x84
	s_mov_b32 s2, 0
.LBB95_611:                             ; =>This Inner Loop Header: Depth=1
	s_delay_alu instid0(VALU_DEP_2)
	v_add_nc_u64_e32 v[34:35], 1, v[34:35]
	ds_load_b32 v40, v38
	v_add_nc_u32_e32 v38, 4, v38
	v_cmp_eq_u32_e32 vcc_lo, 1, v34
	v_cndmask_b32_e32 v39, v2, v3, vcc_lo
	v_cmp_eq_u32_e32 vcc_lo, 2, v34
	s_delay_alu instid0(VALU_DEP_2) | instskip(SKIP_1) | instid1(VALU_DEP_2)
	v_cndmask_b32_e32 v39, v39, v4, vcc_lo
	v_cmp_eq_u32_e32 vcc_lo, 3, v34
	v_cndmask_b32_e32 v39, v39, v5, vcc_lo
	v_cmp_eq_u32_e32 vcc_lo, 4, v34
	s_delay_alu instid0(VALU_DEP_2) | instskip(SKIP_1) | instid1(VALU_DEP_2)
	v_cndmask_b32_e32 v39, v39, v6, vcc_lo
	;; [unrolled: 5-line block ×15, first 2 shown]
	v_cmp_eq_u32_e32 vcc_lo, 31, v34
	v_cndmask_b32_e32 v39, v39, v33, vcc_lo
	v_cmp_lt_u32_e32 vcc_lo, 11, v34
	s_wait_dscnt 0x0
	s_delay_alu instid0(VALU_DEP_2) | instskip(SKIP_1) | instid1(SALU_CYCLE_1)
	v_fmac_f32_e32 v37, v39, v40
	s_or_b32 s2, vcc_lo, s2
	s_and_not1_b32 exec_lo, exec_lo, s2
	s_cbranch_execnz .LBB95_611
; %bb.612:
	s_or_b32 exec_lo, exec_lo, s2
.LBB95_613:
	s_delay_alu instid0(SALU_CYCLE_1)
	s_or_b32 exec_lo, exec_lo, s1
	v_mov_b32_e32 v15, 0
	ds_load_b32 v15, v15 offset:52
	s_wait_dscnt 0x0
	v_mul_f32_e32 v15, v37, v15
.LBB95_614:
	s_or_b32 exec_lo, exec_lo, s0
	s_delay_alu instid0(SALU_CYCLE_1)
	s_mov_b32 s0, exec_lo
	ds_store_b32 v133, v16
	s_wait_dscnt 0x0
	s_barrier_signal -1
	s_barrier_wait -1
	v_cmpx_gt_u32_e32 14, v0
	s_cbranch_execz .LBB95_624
; %bb.615:
	v_cmp_ne_u32_e32 vcc_lo, 1, v36
	s_cbranch_vccnz .LBB95_617
; %bb.616:
	v_cmp_eq_u32_e32 vcc_lo, 1, v0
	ds_load_b32 v35, v133
	v_cndmask_b32_e32 v34, v2, v3, vcc_lo
	v_cmp_eq_u32_e32 vcc_lo, 2, v0
	s_delay_alu instid0(VALU_DEP_2) | instskip(SKIP_1) | instid1(VALU_DEP_2)
	v_cndmask_b32_e32 v34, v34, v4, vcc_lo
	v_cmp_eq_u32_e32 vcc_lo, 3, v0
	v_cndmask_b32_e32 v34, v34, v5, vcc_lo
	v_cmp_eq_u32_e32 vcc_lo, 4, v0
	s_delay_alu instid0(VALU_DEP_2) | instskip(SKIP_1) | instid1(VALU_DEP_2)
	v_cndmask_b32_e32 v34, v34, v6, vcc_lo
	v_cmp_eq_u32_e32 vcc_lo, 5, v0
	;; [unrolled: 5-line block ×15, first 2 shown]
	v_cndmask_b32_e32 v34, v34, v33, vcc_lo
	s_wait_dscnt 0x0
	s_delay_alu instid0(VALU_DEP_1)
	v_mul_f32_e32 v37, v34, v35
	s_cbranch_execz .LBB95_618
	s_branch .LBB95_619
.LBB95_617:
                                        ; implicit-def: $vgpr37
.LBB95_618:
	ds_load_b32 v37, v133
.LBB95_619:
	s_mov_b32 s1, exec_lo
	v_cmpx_ne_u32_e32 13, v0
	s_cbranch_execz .LBB95_623
; %bb.620:
	v_mov_b64_e32 v[34:35], v[0:1]
	v_lshl_add_u32 v38, v0, 2, 0x84
	s_mov_b32 s2, 0
.LBB95_621:                             ; =>This Inner Loop Header: Depth=1
	s_delay_alu instid0(VALU_DEP_2)
	v_add_nc_u64_e32 v[34:35], 1, v[34:35]
	ds_load_b32 v40, v38
	v_add_nc_u32_e32 v38, 4, v38
	v_cmp_eq_u32_e32 vcc_lo, 1, v34
	v_cndmask_b32_e32 v39, v2, v3, vcc_lo
	v_cmp_eq_u32_e32 vcc_lo, 2, v34
	s_delay_alu instid0(VALU_DEP_2) | instskip(SKIP_1) | instid1(VALU_DEP_2)
	v_cndmask_b32_e32 v39, v39, v4, vcc_lo
	v_cmp_eq_u32_e32 vcc_lo, 3, v34
	v_cndmask_b32_e32 v39, v39, v5, vcc_lo
	v_cmp_eq_u32_e32 vcc_lo, 4, v34
	s_delay_alu instid0(VALU_DEP_2) | instskip(SKIP_1) | instid1(VALU_DEP_2)
	v_cndmask_b32_e32 v39, v39, v6, vcc_lo
	;; [unrolled: 5-line block ×15, first 2 shown]
	v_cmp_eq_u32_e32 vcc_lo, 31, v34
	v_cndmask_b32_e32 v39, v39, v33, vcc_lo
	v_cmp_lt_u32_e32 vcc_lo, 12, v34
	s_wait_dscnt 0x0
	s_delay_alu instid0(VALU_DEP_2) | instskip(SKIP_1) | instid1(SALU_CYCLE_1)
	v_fmac_f32_e32 v37, v39, v40
	s_or_b32 s2, vcc_lo, s2
	s_and_not1_b32 exec_lo, exec_lo, s2
	s_cbranch_execnz .LBB95_621
; %bb.622:
	s_or_b32 exec_lo, exec_lo, s2
.LBB95_623:
	s_delay_alu instid0(SALU_CYCLE_1)
	s_or_b32 exec_lo, exec_lo, s1
	v_mov_b32_e32 v16, 0
	ds_load_b32 v16, v16 offset:56
	s_wait_dscnt 0x0
	v_mul_f32_e32 v16, v37, v16
.LBB95_624:
	s_or_b32 exec_lo, exec_lo, s0
	s_delay_alu instid0(SALU_CYCLE_1)
	s_mov_b32 s0, exec_lo
	ds_store_b32 v133, v17
	s_wait_dscnt 0x0
	s_barrier_signal -1
	s_barrier_wait -1
	v_cmpx_gt_u32_e32 15, v0
	s_cbranch_execz .LBB95_634
; %bb.625:
	v_cmp_ne_u32_e32 vcc_lo, 1, v36
	s_cbranch_vccnz .LBB95_627
; %bb.626:
	v_cmp_eq_u32_e32 vcc_lo, 1, v0
	ds_load_b32 v35, v133
	v_cndmask_b32_e32 v34, v2, v3, vcc_lo
	v_cmp_eq_u32_e32 vcc_lo, 2, v0
	s_delay_alu instid0(VALU_DEP_2) | instskip(SKIP_1) | instid1(VALU_DEP_2)
	v_cndmask_b32_e32 v34, v34, v4, vcc_lo
	v_cmp_eq_u32_e32 vcc_lo, 3, v0
	v_cndmask_b32_e32 v34, v34, v5, vcc_lo
	v_cmp_eq_u32_e32 vcc_lo, 4, v0
	s_delay_alu instid0(VALU_DEP_2) | instskip(SKIP_1) | instid1(VALU_DEP_2)
	v_cndmask_b32_e32 v34, v34, v6, vcc_lo
	v_cmp_eq_u32_e32 vcc_lo, 5, v0
	;; [unrolled: 5-line block ×15, first 2 shown]
	v_cndmask_b32_e32 v34, v34, v33, vcc_lo
	s_wait_dscnt 0x0
	s_delay_alu instid0(VALU_DEP_1)
	v_mul_f32_e32 v37, v34, v35
	s_cbranch_execz .LBB95_628
	s_branch .LBB95_629
.LBB95_627:
                                        ; implicit-def: $vgpr37
.LBB95_628:
	ds_load_b32 v37, v133
.LBB95_629:
	s_mov_b32 s1, exec_lo
	v_cmpx_ne_u32_e32 14, v0
	s_cbranch_execz .LBB95_633
; %bb.630:
	v_mov_b64_e32 v[34:35], v[0:1]
	v_lshl_add_u32 v38, v0, 2, 0x84
	s_mov_b32 s2, 0
.LBB95_631:                             ; =>This Inner Loop Header: Depth=1
	s_delay_alu instid0(VALU_DEP_2)
	v_add_nc_u64_e32 v[34:35], 1, v[34:35]
	ds_load_b32 v40, v38
	v_add_nc_u32_e32 v38, 4, v38
	v_cmp_eq_u32_e32 vcc_lo, 1, v34
	v_cndmask_b32_e32 v39, v2, v3, vcc_lo
	v_cmp_eq_u32_e32 vcc_lo, 2, v34
	s_delay_alu instid0(VALU_DEP_2) | instskip(SKIP_1) | instid1(VALU_DEP_2)
	v_cndmask_b32_e32 v39, v39, v4, vcc_lo
	v_cmp_eq_u32_e32 vcc_lo, 3, v34
	v_cndmask_b32_e32 v39, v39, v5, vcc_lo
	v_cmp_eq_u32_e32 vcc_lo, 4, v34
	s_delay_alu instid0(VALU_DEP_2) | instskip(SKIP_1) | instid1(VALU_DEP_2)
	v_cndmask_b32_e32 v39, v39, v6, vcc_lo
	;; [unrolled: 5-line block ×15, first 2 shown]
	v_cmp_eq_u32_e32 vcc_lo, 31, v34
	v_cndmask_b32_e32 v39, v39, v33, vcc_lo
	v_cmp_lt_u32_e32 vcc_lo, 13, v34
	s_wait_dscnt 0x0
	s_delay_alu instid0(VALU_DEP_2) | instskip(SKIP_1) | instid1(SALU_CYCLE_1)
	v_fmac_f32_e32 v37, v39, v40
	s_or_b32 s2, vcc_lo, s2
	s_and_not1_b32 exec_lo, exec_lo, s2
	s_cbranch_execnz .LBB95_631
; %bb.632:
	s_or_b32 exec_lo, exec_lo, s2
.LBB95_633:
	s_delay_alu instid0(SALU_CYCLE_1)
	s_or_b32 exec_lo, exec_lo, s1
	v_mov_b32_e32 v17, 0
	ds_load_b32 v17, v17 offset:60
	s_wait_dscnt 0x0
	v_mul_f32_e32 v17, v37, v17
.LBB95_634:
	s_or_b32 exec_lo, exec_lo, s0
	s_delay_alu instid0(SALU_CYCLE_1)
	s_mov_b32 s0, exec_lo
	ds_store_b32 v133, v18
	s_wait_dscnt 0x0
	s_barrier_signal -1
	s_barrier_wait -1
	v_cmpx_gt_u32_e32 16, v0
	s_cbranch_execz .LBB95_644
; %bb.635:
	v_cmp_ne_u32_e32 vcc_lo, 1, v36
	s_cbranch_vccnz .LBB95_637
; %bb.636:
	v_cmp_eq_u32_e32 vcc_lo, 1, v0
	ds_load_b32 v35, v133
	v_cndmask_b32_e32 v34, v2, v3, vcc_lo
	v_cmp_eq_u32_e32 vcc_lo, 2, v0
	s_delay_alu instid0(VALU_DEP_2) | instskip(SKIP_1) | instid1(VALU_DEP_2)
	v_cndmask_b32_e32 v34, v34, v4, vcc_lo
	v_cmp_eq_u32_e32 vcc_lo, 3, v0
	v_cndmask_b32_e32 v34, v34, v5, vcc_lo
	v_cmp_eq_u32_e32 vcc_lo, 4, v0
	s_delay_alu instid0(VALU_DEP_2) | instskip(SKIP_1) | instid1(VALU_DEP_2)
	v_cndmask_b32_e32 v34, v34, v6, vcc_lo
	v_cmp_eq_u32_e32 vcc_lo, 5, v0
	;; [unrolled: 5-line block ×15, first 2 shown]
	v_cndmask_b32_e32 v34, v34, v33, vcc_lo
	s_wait_dscnt 0x0
	s_delay_alu instid0(VALU_DEP_1)
	v_mul_f32_e32 v37, v34, v35
	s_cbranch_execz .LBB95_638
	s_branch .LBB95_639
.LBB95_637:
                                        ; implicit-def: $vgpr37
.LBB95_638:
	ds_load_b32 v37, v133
.LBB95_639:
	s_mov_b32 s1, exec_lo
	v_cmpx_ne_u32_e32 15, v0
	s_cbranch_execz .LBB95_643
; %bb.640:
	v_mov_b64_e32 v[34:35], v[0:1]
	v_lshl_add_u32 v38, v0, 2, 0x84
	s_mov_b32 s2, 0
.LBB95_641:                             ; =>This Inner Loop Header: Depth=1
	s_delay_alu instid0(VALU_DEP_2)
	v_add_nc_u64_e32 v[34:35], 1, v[34:35]
	ds_load_b32 v40, v38
	v_add_nc_u32_e32 v38, 4, v38
	v_cmp_eq_u32_e32 vcc_lo, 1, v34
	v_cndmask_b32_e32 v39, v2, v3, vcc_lo
	v_cmp_eq_u32_e32 vcc_lo, 2, v34
	s_delay_alu instid0(VALU_DEP_2) | instskip(SKIP_1) | instid1(VALU_DEP_2)
	v_cndmask_b32_e32 v39, v39, v4, vcc_lo
	v_cmp_eq_u32_e32 vcc_lo, 3, v34
	v_cndmask_b32_e32 v39, v39, v5, vcc_lo
	v_cmp_eq_u32_e32 vcc_lo, 4, v34
	s_delay_alu instid0(VALU_DEP_2) | instskip(SKIP_1) | instid1(VALU_DEP_2)
	v_cndmask_b32_e32 v39, v39, v6, vcc_lo
	;; [unrolled: 5-line block ×15, first 2 shown]
	v_cmp_eq_u32_e32 vcc_lo, 31, v34
	v_cndmask_b32_e32 v39, v39, v33, vcc_lo
	v_cmp_lt_u32_e32 vcc_lo, 14, v34
	s_wait_dscnt 0x0
	s_delay_alu instid0(VALU_DEP_2) | instskip(SKIP_1) | instid1(SALU_CYCLE_1)
	v_fmac_f32_e32 v37, v39, v40
	s_or_b32 s2, vcc_lo, s2
	s_and_not1_b32 exec_lo, exec_lo, s2
	s_cbranch_execnz .LBB95_641
; %bb.642:
	s_or_b32 exec_lo, exec_lo, s2
.LBB95_643:
	s_delay_alu instid0(SALU_CYCLE_1)
	s_or_b32 exec_lo, exec_lo, s1
	v_mov_b32_e32 v18, 0
	ds_load_b32 v18, v18 offset:64
	s_wait_dscnt 0x0
	v_mul_f32_e32 v18, v37, v18
.LBB95_644:
	s_or_b32 exec_lo, exec_lo, s0
	s_delay_alu instid0(SALU_CYCLE_1)
	s_mov_b32 s0, exec_lo
	ds_store_b32 v133, v19
	s_wait_dscnt 0x0
	s_barrier_signal -1
	s_barrier_wait -1
	v_cmpx_gt_u32_e32 17, v0
	s_cbranch_execz .LBB95_654
; %bb.645:
	v_cmp_ne_u32_e32 vcc_lo, 1, v36
	s_cbranch_vccnz .LBB95_647
; %bb.646:
	v_cmp_eq_u32_e32 vcc_lo, 1, v0
	ds_load_b32 v35, v133
	v_cndmask_b32_e32 v34, v2, v3, vcc_lo
	v_cmp_eq_u32_e32 vcc_lo, 2, v0
	s_delay_alu instid0(VALU_DEP_2) | instskip(SKIP_1) | instid1(VALU_DEP_2)
	v_cndmask_b32_e32 v34, v34, v4, vcc_lo
	v_cmp_eq_u32_e32 vcc_lo, 3, v0
	v_cndmask_b32_e32 v34, v34, v5, vcc_lo
	v_cmp_eq_u32_e32 vcc_lo, 4, v0
	s_delay_alu instid0(VALU_DEP_2) | instskip(SKIP_1) | instid1(VALU_DEP_2)
	v_cndmask_b32_e32 v34, v34, v6, vcc_lo
	v_cmp_eq_u32_e32 vcc_lo, 5, v0
	;; [unrolled: 5-line block ×15, first 2 shown]
	v_cndmask_b32_e32 v34, v34, v33, vcc_lo
	s_wait_dscnt 0x0
	s_delay_alu instid0(VALU_DEP_1)
	v_mul_f32_e32 v37, v34, v35
	s_cbranch_execz .LBB95_648
	s_branch .LBB95_649
.LBB95_647:
                                        ; implicit-def: $vgpr37
.LBB95_648:
	ds_load_b32 v37, v133
.LBB95_649:
	s_mov_b32 s1, exec_lo
	v_cmpx_ne_u32_e32 16, v0
	s_cbranch_execz .LBB95_653
; %bb.650:
	v_mov_b64_e32 v[34:35], v[0:1]
	v_lshl_add_u32 v38, v0, 2, 0x84
	s_mov_b32 s2, 0
.LBB95_651:                             ; =>This Inner Loop Header: Depth=1
	s_delay_alu instid0(VALU_DEP_2)
	v_add_nc_u64_e32 v[34:35], 1, v[34:35]
	ds_load_b32 v40, v38
	v_add_nc_u32_e32 v38, 4, v38
	v_cmp_eq_u32_e32 vcc_lo, 1, v34
	v_cndmask_b32_e32 v39, v2, v3, vcc_lo
	v_cmp_eq_u32_e32 vcc_lo, 2, v34
	s_delay_alu instid0(VALU_DEP_2) | instskip(SKIP_1) | instid1(VALU_DEP_2)
	v_cndmask_b32_e32 v39, v39, v4, vcc_lo
	v_cmp_eq_u32_e32 vcc_lo, 3, v34
	v_cndmask_b32_e32 v39, v39, v5, vcc_lo
	v_cmp_eq_u32_e32 vcc_lo, 4, v34
	s_delay_alu instid0(VALU_DEP_2) | instskip(SKIP_1) | instid1(VALU_DEP_2)
	v_cndmask_b32_e32 v39, v39, v6, vcc_lo
	;; [unrolled: 5-line block ×15, first 2 shown]
	v_cmp_eq_u32_e32 vcc_lo, 31, v34
	v_cndmask_b32_e32 v39, v39, v33, vcc_lo
	v_cmp_lt_u32_e32 vcc_lo, 15, v34
	s_wait_dscnt 0x0
	s_delay_alu instid0(VALU_DEP_2) | instskip(SKIP_1) | instid1(SALU_CYCLE_1)
	v_fmac_f32_e32 v37, v39, v40
	s_or_b32 s2, vcc_lo, s2
	s_and_not1_b32 exec_lo, exec_lo, s2
	s_cbranch_execnz .LBB95_651
; %bb.652:
	s_or_b32 exec_lo, exec_lo, s2
.LBB95_653:
	s_delay_alu instid0(SALU_CYCLE_1)
	s_or_b32 exec_lo, exec_lo, s1
	v_mov_b32_e32 v19, 0
	ds_load_b32 v19, v19 offset:68
	s_wait_dscnt 0x0
	v_mul_f32_e32 v19, v37, v19
.LBB95_654:
	s_or_b32 exec_lo, exec_lo, s0
	s_delay_alu instid0(SALU_CYCLE_1)
	s_mov_b32 s0, exec_lo
	ds_store_b32 v133, v20
	s_wait_dscnt 0x0
	s_barrier_signal -1
	s_barrier_wait -1
	v_cmpx_gt_u32_e32 18, v0
	s_cbranch_execz .LBB95_664
; %bb.655:
	v_cmp_ne_u32_e32 vcc_lo, 1, v36
	s_cbranch_vccnz .LBB95_657
; %bb.656:
	v_cmp_eq_u32_e32 vcc_lo, 1, v0
	ds_load_b32 v35, v133
	v_cndmask_b32_e32 v34, v2, v3, vcc_lo
	v_cmp_eq_u32_e32 vcc_lo, 2, v0
	s_delay_alu instid0(VALU_DEP_2) | instskip(SKIP_1) | instid1(VALU_DEP_2)
	v_cndmask_b32_e32 v34, v34, v4, vcc_lo
	v_cmp_eq_u32_e32 vcc_lo, 3, v0
	v_cndmask_b32_e32 v34, v34, v5, vcc_lo
	v_cmp_eq_u32_e32 vcc_lo, 4, v0
	s_delay_alu instid0(VALU_DEP_2) | instskip(SKIP_1) | instid1(VALU_DEP_2)
	v_cndmask_b32_e32 v34, v34, v6, vcc_lo
	v_cmp_eq_u32_e32 vcc_lo, 5, v0
	;; [unrolled: 5-line block ×15, first 2 shown]
	v_cndmask_b32_e32 v34, v34, v33, vcc_lo
	s_wait_dscnt 0x0
	s_delay_alu instid0(VALU_DEP_1)
	v_mul_f32_e32 v37, v34, v35
	s_cbranch_execz .LBB95_658
	s_branch .LBB95_659
.LBB95_657:
                                        ; implicit-def: $vgpr37
.LBB95_658:
	ds_load_b32 v37, v133
.LBB95_659:
	s_mov_b32 s1, exec_lo
	v_cmpx_ne_u32_e32 17, v0
	s_cbranch_execz .LBB95_663
; %bb.660:
	v_mov_b64_e32 v[34:35], v[0:1]
	v_lshl_add_u32 v38, v0, 2, 0x84
	s_mov_b32 s2, 0
.LBB95_661:                             ; =>This Inner Loop Header: Depth=1
	s_delay_alu instid0(VALU_DEP_2)
	v_add_nc_u64_e32 v[34:35], 1, v[34:35]
	ds_load_b32 v40, v38
	v_add_nc_u32_e32 v38, 4, v38
	v_cmp_eq_u32_e32 vcc_lo, 1, v34
	v_cndmask_b32_e32 v39, v2, v3, vcc_lo
	v_cmp_eq_u32_e32 vcc_lo, 2, v34
	s_delay_alu instid0(VALU_DEP_2) | instskip(SKIP_1) | instid1(VALU_DEP_2)
	v_cndmask_b32_e32 v39, v39, v4, vcc_lo
	v_cmp_eq_u32_e32 vcc_lo, 3, v34
	v_cndmask_b32_e32 v39, v39, v5, vcc_lo
	v_cmp_eq_u32_e32 vcc_lo, 4, v34
	s_delay_alu instid0(VALU_DEP_2) | instskip(SKIP_1) | instid1(VALU_DEP_2)
	v_cndmask_b32_e32 v39, v39, v6, vcc_lo
	;; [unrolled: 5-line block ×15, first 2 shown]
	v_cmp_eq_u32_e32 vcc_lo, 31, v34
	v_cndmask_b32_e32 v39, v39, v33, vcc_lo
	v_cmp_lt_u32_e32 vcc_lo, 16, v34
	s_wait_dscnt 0x0
	s_delay_alu instid0(VALU_DEP_2) | instskip(SKIP_1) | instid1(SALU_CYCLE_1)
	v_fmac_f32_e32 v37, v39, v40
	s_or_b32 s2, vcc_lo, s2
	s_and_not1_b32 exec_lo, exec_lo, s2
	s_cbranch_execnz .LBB95_661
; %bb.662:
	s_or_b32 exec_lo, exec_lo, s2
.LBB95_663:
	s_delay_alu instid0(SALU_CYCLE_1)
	s_or_b32 exec_lo, exec_lo, s1
	v_mov_b32_e32 v20, 0
	ds_load_b32 v20, v20 offset:72
	s_wait_dscnt 0x0
	v_mul_f32_e32 v20, v37, v20
.LBB95_664:
	s_or_b32 exec_lo, exec_lo, s0
	s_delay_alu instid0(SALU_CYCLE_1)
	s_mov_b32 s0, exec_lo
	ds_store_b32 v133, v21
	s_wait_dscnt 0x0
	s_barrier_signal -1
	s_barrier_wait -1
	v_cmpx_gt_u32_e32 19, v0
	s_cbranch_execz .LBB95_674
; %bb.665:
	v_cmp_ne_u32_e32 vcc_lo, 1, v36
	s_cbranch_vccnz .LBB95_667
; %bb.666:
	v_cmp_eq_u32_e32 vcc_lo, 1, v0
	ds_load_b32 v35, v133
	v_cndmask_b32_e32 v34, v2, v3, vcc_lo
	v_cmp_eq_u32_e32 vcc_lo, 2, v0
	s_delay_alu instid0(VALU_DEP_2) | instskip(SKIP_1) | instid1(VALU_DEP_2)
	v_cndmask_b32_e32 v34, v34, v4, vcc_lo
	v_cmp_eq_u32_e32 vcc_lo, 3, v0
	v_cndmask_b32_e32 v34, v34, v5, vcc_lo
	v_cmp_eq_u32_e32 vcc_lo, 4, v0
	s_delay_alu instid0(VALU_DEP_2) | instskip(SKIP_1) | instid1(VALU_DEP_2)
	v_cndmask_b32_e32 v34, v34, v6, vcc_lo
	v_cmp_eq_u32_e32 vcc_lo, 5, v0
	;; [unrolled: 5-line block ×15, first 2 shown]
	v_cndmask_b32_e32 v34, v34, v33, vcc_lo
	s_wait_dscnt 0x0
	s_delay_alu instid0(VALU_DEP_1)
	v_mul_f32_e32 v37, v34, v35
	s_cbranch_execz .LBB95_668
	s_branch .LBB95_669
.LBB95_667:
                                        ; implicit-def: $vgpr37
.LBB95_668:
	ds_load_b32 v37, v133
.LBB95_669:
	s_mov_b32 s1, exec_lo
	v_cmpx_ne_u32_e32 18, v0
	s_cbranch_execz .LBB95_673
; %bb.670:
	v_mov_b64_e32 v[34:35], v[0:1]
	v_lshl_add_u32 v38, v0, 2, 0x84
	s_mov_b32 s2, 0
.LBB95_671:                             ; =>This Inner Loop Header: Depth=1
	s_delay_alu instid0(VALU_DEP_2)
	v_add_nc_u64_e32 v[34:35], 1, v[34:35]
	ds_load_b32 v40, v38
	v_add_nc_u32_e32 v38, 4, v38
	v_cmp_eq_u32_e32 vcc_lo, 1, v34
	v_cndmask_b32_e32 v39, v2, v3, vcc_lo
	v_cmp_eq_u32_e32 vcc_lo, 2, v34
	s_delay_alu instid0(VALU_DEP_2) | instskip(SKIP_1) | instid1(VALU_DEP_2)
	v_cndmask_b32_e32 v39, v39, v4, vcc_lo
	v_cmp_eq_u32_e32 vcc_lo, 3, v34
	v_cndmask_b32_e32 v39, v39, v5, vcc_lo
	v_cmp_eq_u32_e32 vcc_lo, 4, v34
	s_delay_alu instid0(VALU_DEP_2) | instskip(SKIP_1) | instid1(VALU_DEP_2)
	v_cndmask_b32_e32 v39, v39, v6, vcc_lo
	;; [unrolled: 5-line block ×15, first 2 shown]
	v_cmp_eq_u32_e32 vcc_lo, 31, v34
	v_cndmask_b32_e32 v39, v39, v33, vcc_lo
	v_cmp_lt_u32_e32 vcc_lo, 17, v34
	s_wait_dscnt 0x0
	s_delay_alu instid0(VALU_DEP_2) | instskip(SKIP_1) | instid1(SALU_CYCLE_1)
	v_fmac_f32_e32 v37, v39, v40
	s_or_b32 s2, vcc_lo, s2
	s_and_not1_b32 exec_lo, exec_lo, s2
	s_cbranch_execnz .LBB95_671
; %bb.672:
	s_or_b32 exec_lo, exec_lo, s2
.LBB95_673:
	s_delay_alu instid0(SALU_CYCLE_1)
	s_or_b32 exec_lo, exec_lo, s1
	v_mov_b32_e32 v21, 0
	ds_load_b32 v21, v21 offset:76
	s_wait_dscnt 0x0
	v_mul_f32_e32 v21, v37, v21
.LBB95_674:
	s_or_b32 exec_lo, exec_lo, s0
	s_delay_alu instid0(SALU_CYCLE_1)
	s_mov_b32 s0, exec_lo
	ds_store_b32 v133, v22
	s_wait_dscnt 0x0
	s_barrier_signal -1
	s_barrier_wait -1
	v_cmpx_gt_u32_e32 20, v0
	s_cbranch_execz .LBB95_684
; %bb.675:
	v_cmp_ne_u32_e32 vcc_lo, 1, v36
	s_cbranch_vccnz .LBB95_677
; %bb.676:
	v_cmp_eq_u32_e32 vcc_lo, 1, v0
	ds_load_b32 v35, v133
	v_cndmask_b32_e32 v34, v2, v3, vcc_lo
	v_cmp_eq_u32_e32 vcc_lo, 2, v0
	s_delay_alu instid0(VALU_DEP_2) | instskip(SKIP_1) | instid1(VALU_DEP_2)
	v_cndmask_b32_e32 v34, v34, v4, vcc_lo
	v_cmp_eq_u32_e32 vcc_lo, 3, v0
	v_cndmask_b32_e32 v34, v34, v5, vcc_lo
	v_cmp_eq_u32_e32 vcc_lo, 4, v0
	s_delay_alu instid0(VALU_DEP_2) | instskip(SKIP_1) | instid1(VALU_DEP_2)
	v_cndmask_b32_e32 v34, v34, v6, vcc_lo
	v_cmp_eq_u32_e32 vcc_lo, 5, v0
	v_cndmask_b32_e32 v34, v34, v7, vcc_lo
	v_cmp_eq_u32_e32 vcc_lo, 6, v0
	s_delay_alu instid0(VALU_DEP_2) | instskip(SKIP_1) | instid1(VALU_DEP_2)
	v_cndmask_b32_e32 v34, v34, v8, vcc_lo
	v_cmp_eq_u32_e32 vcc_lo, 7, v0
	v_cndmask_b32_e32 v34, v34, v9, vcc_lo
	v_cmp_eq_u32_e32 vcc_lo, 8, v0
	s_delay_alu instid0(VALU_DEP_2) | instskip(SKIP_1) | instid1(VALU_DEP_2)
	v_cndmask_b32_e32 v34, v34, v10, vcc_lo
	v_cmp_eq_u32_e32 vcc_lo, 9, v0
	v_cndmask_b32_e32 v34, v34, v11, vcc_lo
	v_cmp_eq_u32_e32 vcc_lo, 10, v0
	s_delay_alu instid0(VALU_DEP_2) | instskip(SKIP_1) | instid1(VALU_DEP_2)
	v_cndmask_b32_e32 v34, v34, v12, vcc_lo
	v_cmp_eq_u32_e32 vcc_lo, 11, v0
	v_cndmask_b32_e32 v34, v34, v13, vcc_lo
	v_cmp_eq_u32_e32 vcc_lo, 12, v0
	s_delay_alu instid0(VALU_DEP_2) | instskip(SKIP_1) | instid1(VALU_DEP_2)
	v_cndmask_b32_e32 v34, v34, v14, vcc_lo
	v_cmp_eq_u32_e32 vcc_lo, 13, v0
	v_cndmask_b32_e32 v34, v34, v15, vcc_lo
	v_cmp_eq_u32_e32 vcc_lo, 14, v0
	s_delay_alu instid0(VALU_DEP_2) | instskip(SKIP_1) | instid1(VALU_DEP_2)
	v_cndmask_b32_e32 v34, v34, v16, vcc_lo
	v_cmp_eq_u32_e32 vcc_lo, 15, v0
	v_cndmask_b32_e32 v34, v34, v17, vcc_lo
	v_cmp_eq_u32_e32 vcc_lo, 16, v0
	s_delay_alu instid0(VALU_DEP_2) | instskip(SKIP_1) | instid1(VALU_DEP_2)
	v_cndmask_b32_e32 v34, v34, v18, vcc_lo
	v_cmp_eq_u32_e32 vcc_lo, 17, v0
	v_cndmask_b32_e32 v34, v34, v19, vcc_lo
	v_cmp_eq_u32_e32 vcc_lo, 18, v0
	s_delay_alu instid0(VALU_DEP_2) | instskip(SKIP_1) | instid1(VALU_DEP_2)
	v_cndmask_b32_e32 v34, v34, v20, vcc_lo
	v_cmp_eq_u32_e32 vcc_lo, 19, v0
	v_cndmask_b32_e32 v34, v34, v21, vcc_lo
	v_cmp_eq_u32_e32 vcc_lo, 20, v0
	s_delay_alu instid0(VALU_DEP_2) | instskip(SKIP_1) | instid1(VALU_DEP_2)
	v_cndmask_b32_e32 v34, v34, v22, vcc_lo
	v_cmp_eq_u32_e32 vcc_lo, 21, v0
	v_cndmask_b32_e32 v34, v34, v23, vcc_lo
	v_cmp_eq_u32_e32 vcc_lo, 22, v0
	s_delay_alu instid0(VALU_DEP_2) | instskip(SKIP_1) | instid1(VALU_DEP_2)
	v_cndmask_b32_e32 v34, v34, v24, vcc_lo
	v_cmp_eq_u32_e32 vcc_lo, 23, v0
	v_cndmask_b32_e32 v34, v34, v25, vcc_lo
	v_cmp_eq_u32_e32 vcc_lo, 24, v0
	s_delay_alu instid0(VALU_DEP_2) | instskip(SKIP_1) | instid1(VALU_DEP_2)
	v_cndmask_b32_e32 v34, v34, v26, vcc_lo
	v_cmp_eq_u32_e32 vcc_lo, 25, v0
	v_cndmask_b32_e32 v34, v34, v27, vcc_lo
	v_cmp_eq_u32_e32 vcc_lo, 26, v0
	s_delay_alu instid0(VALU_DEP_2) | instskip(SKIP_1) | instid1(VALU_DEP_2)
	v_cndmask_b32_e32 v34, v34, v28, vcc_lo
	v_cmp_eq_u32_e32 vcc_lo, 27, v0
	v_cndmask_b32_e32 v34, v34, v29, vcc_lo
	v_cmp_eq_u32_e32 vcc_lo, 28, v0
	s_delay_alu instid0(VALU_DEP_2) | instskip(SKIP_1) | instid1(VALU_DEP_2)
	v_cndmask_b32_e32 v34, v34, v30, vcc_lo
	v_cmp_eq_u32_e32 vcc_lo, 29, v0
	v_cndmask_b32_e32 v34, v34, v31, vcc_lo
	v_cmp_eq_u32_e32 vcc_lo, 30, v0
	s_delay_alu instid0(VALU_DEP_2) | instskip(SKIP_1) | instid1(VALU_DEP_2)
	v_cndmask_b32_e32 v34, v34, v32, vcc_lo
	v_cmp_eq_u32_e32 vcc_lo, 31, v0
	v_cndmask_b32_e32 v34, v34, v33, vcc_lo
	s_wait_dscnt 0x0
	s_delay_alu instid0(VALU_DEP_1)
	v_mul_f32_e32 v37, v34, v35
	s_cbranch_execz .LBB95_678
	s_branch .LBB95_679
.LBB95_677:
                                        ; implicit-def: $vgpr37
.LBB95_678:
	ds_load_b32 v37, v133
.LBB95_679:
	s_mov_b32 s1, exec_lo
	v_cmpx_ne_u32_e32 19, v0
	s_cbranch_execz .LBB95_683
; %bb.680:
	v_mov_b64_e32 v[34:35], v[0:1]
	v_lshl_add_u32 v38, v0, 2, 0x84
	s_mov_b32 s2, 0
.LBB95_681:                             ; =>This Inner Loop Header: Depth=1
	s_delay_alu instid0(VALU_DEP_2)
	v_add_nc_u64_e32 v[34:35], 1, v[34:35]
	ds_load_b32 v40, v38
	v_add_nc_u32_e32 v38, 4, v38
	v_cmp_eq_u32_e32 vcc_lo, 1, v34
	v_cndmask_b32_e32 v39, v2, v3, vcc_lo
	v_cmp_eq_u32_e32 vcc_lo, 2, v34
	s_delay_alu instid0(VALU_DEP_2) | instskip(SKIP_1) | instid1(VALU_DEP_2)
	v_cndmask_b32_e32 v39, v39, v4, vcc_lo
	v_cmp_eq_u32_e32 vcc_lo, 3, v34
	v_cndmask_b32_e32 v39, v39, v5, vcc_lo
	v_cmp_eq_u32_e32 vcc_lo, 4, v34
	s_delay_alu instid0(VALU_DEP_2) | instskip(SKIP_1) | instid1(VALU_DEP_2)
	v_cndmask_b32_e32 v39, v39, v6, vcc_lo
	;; [unrolled: 5-line block ×15, first 2 shown]
	v_cmp_eq_u32_e32 vcc_lo, 31, v34
	v_cndmask_b32_e32 v39, v39, v33, vcc_lo
	v_cmp_lt_u32_e32 vcc_lo, 18, v34
	s_wait_dscnt 0x0
	s_delay_alu instid0(VALU_DEP_2) | instskip(SKIP_1) | instid1(SALU_CYCLE_1)
	v_fmac_f32_e32 v37, v39, v40
	s_or_b32 s2, vcc_lo, s2
	s_and_not1_b32 exec_lo, exec_lo, s2
	s_cbranch_execnz .LBB95_681
; %bb.682:
	s_or_b32 exec_lo, exec_lo, s2
.LBB95_683:
	s_delay_alu instid0(SALU_CYCLE_1)
	s_or_b32 exec_lo, exec_lo, s1
	v_mov_b32_e32 v22, 0
	ds_load_b32 v22, v22 offset:80
	s_wait_dscnt 0x0
	v_mul_f32_e32 v22, v37, v22
.LBB95_684:
	s_or_b32 exec_lo, exec_lo, s0
	s_delay_alu instid0(SALU_CYCLE_1)
	s_mov_b32 s0, exec_lo
	ds_store_b32 v133, v23
	s_wait_dscnt 0x0
	s_barrier_signal -1
	s_barrier_wait -1
	v_cmpx_gt_u32_e32 21, v0
	s_cbranch_execz .LBB95_694
; %bb.685:
	v_cmp_ne_u32_e32 vcc_lo, 1, v36
	s_cbranch_vccnz .LBB95_687
; %bb.686:
	v_cmp_eq_u32_e32 vcc_lo, 1, v0
	ds_load_b32 v35, v133
	v_cndmask_b32_e32 v34, v2, v3, vcc_lo
	v_cmp_eq_u32_e32 vcc_lo, 2, v0
	s_delay_alu instid0(VALU_DEP_2) | instskip(SKIP_1) | instid1(VALU_DEP_2)
	v_cndmask_b32_e32 v34, v34, v4, vcc_lo
	v_cmp_eq_u32_e32 vcc_lo, 3, v0
	v_cndmask_b32_e32 v34, v34, v5, vcc_lo
	v_cmp_eq_u32_e32 vcc_lo, 4, v0
	s_delay_alu instid0(VALU_DEP_2) | instskip(SKIP_1) | instid1(VALU_DEP_2)
	v_cndmask_b32_e32 v34, v34, v6, vcc_lo
	v_cmp_eq_u32_e32 vcc_lo, 5, v0
	;; [unrolled: 5-line block ×15, first 2 shown]
	v_cndmask_b32_e32 v34, v34, v33, vcc_lo
	s_wait_dscnt 0x0
	s_delay_alu instid0(VALU_DEP_1)
	v_mul_f32_e32 v37, v34, v35
	s_cbranch_execz .LBB95_688
	s_branch .LBB95_689
.LBB95_687:
                                        ; implicit-def: $vgpr37
.LBB95_688:
	ds_load_b32 v37, v133
.LBB95_689:
	s_mov_b32 s1, exec_lo
	v_cmpx_ne_u32_e32 20, v0
	s_cbranch_execz .LBB95_693
; %bb.690:
	v_mov_b64_e32 v[34:35], v[0:1]
	v_lshl_add_u32 v38, v0, 2, 0x84
	s_mov_b32 s2, 0
.LBB95_691:                             ; =>This Inner Loop Header: Depth=1
	s_delay_alu instid0(VALU_DEP_2)
	v_add_nc_u64_e32 v[34:35], 1, v[34:35]
	ds_load_b32 v40, v38
	v_add_nc_u32_e32 v38, 4, v38
	v_cmp_eq_u32_e32 vcc_lo, 1, v34
	v_cndmask_b32_e32 v39, v2, v3, vcc_lo
	v_cmp_eq_u32_e32 vcc_lo, 2, v34
	s_delay_alu instid0(VALU_DEP_2) | instskip(SKIP_1) | instid1(VALU_DEP_2)
	v_cndmask_b32_e32 v39, v39, v4, vcc_lo
	v_cmp_eq_u32_e32 vcc_lo, 3, v34
	v_cndmask_b32_e32 v39, v39, v5, vcc_lo
	v_cmp_eq_u32_e32 vcc_lo, 4, v34
	s_delay_alu instid0(VALU_DEP_2) | instskip(SKIP_1) | instid1(VALU_DEP_2)
	v_cndmask_b32_e32 v39, v39, v6, vcc_lo
	;; [unrolled: 5-line block ×15, first 2 shown]
	v_cmp_eq_u32_e32 vcc_lo, 31, v34
	v_cndmask_b32_e32 v39, v39, v33, vcc_lo
	v_cmp_lt_u32_e32 vcc_lo, 19, v34
	s_wait_dscnt 0x0
	s_delay_alu instid0(VALU_DEP_2) | instskip(SKIP_1) | instid1(SALU_CYCLE_1)
	v_fmac_f32_e32 v37, v39, v40
	s_or_b32 s2, vcc_lo, s2
	s_and_not1_b32 exec_lo, exec_lo, s2
	s_cbranch_execnz .LBB95_691
; %bb.692:
	s_or_b32 exec_lo, exec_lo, s2
.LBB95_693:
	s_delay_alu instid0(SALU_CYCLE_1)
	s_or_b32 exec_lo, exec_lo, s1
	v_mov_b32_e32 v23, 0
	ds_load_b32 v23, v23 offset:84
	s_wait_dscnt 0x0
	v_mul_f32_e32 v23, v37, v23
.LBB95_694:
	s_or_b32 exec_lo, exec_lo, s0
	s_delay_alu instid0(SALU_CYCLE_1)
	s_mov_b32 s0, exec_lo
	ds_store_b32 v133, v24
	s_wait_dscnt 0x0
	s_barrier_signal -1
	s_barrier_wait -1
	v_cmpx_gt_u32_e32 22, v0
	s_cbranch_execz .LBB95_704
; %bb.695:
	v_cmp_ne_u32_e32 vcc_lo, 1, v36
	s_cbranch_vccnz .LBB95_697
; %bb.696:
	v_cmp_eq_u32_e32 vcc_lo, 1, v0
	ds_load_b32 v35, v133
	v_cndmask_b32_e32 v34, v2, v3, vcc_lo
	v_cmp_eq_u32_e32 vcc_lo, 2, v0
	s_delay_alu instid0(VALU_DEP_2) | instskip(SKIP_1) | instid1(VALU_DEP_2)
	v_cndmask_b32_e32 v34, v34, v4, vcc_lo
	v_cmp_eq_u32_e32 vcc_lo, 3, v0
	v_cndmask_b32_e32 v34, v34, v5, vcc_lo
	v_cmp_eq_u32_e32 vcc_lo, 4, v0
	s_delay_alu instid0(VALU_DEP_2) | instskip(SKIP_1) | instid1(VALU_DEP_2)
	v_cndmask_b32_e32 v34, v34, v6, vcc_lo
	v_cmp_eq_u32_e32 vcc_lo, 5, v0
	;; [unrolled: 5-line block ×15, first 2 shown]
	v_cndmask_b32_e32 v34, v34, v33, vcc_lo
	s_wait_dscnt 0x0
	s_delay_alu instid0(VALU_DEP_1)
	v_mul_f32_e32 v37, v34, v35
	s_cbranch_execz .LBB95_698
	s_branch .LBB95_699
.LBB95_697:
                                        ; implicit-def: $vgpr37
.LBB95_698:
	ds_load_b32 v37, v133
.LBB95_699:
	s_mov_b32 s1, exec_lo
	v_cmpx_ne_u32_e32 21, v0
	s_cbranch_execz .LBB95_703
; %bb.700:
	v_mov_b64_e32 v[34:35], v[0:1]
	v_lshl_add_u32 v38, v0, 2, 0x84
	s_mov_b32 s2, 0
.LBB95_701:                             ; =>This Inner Loop Header: Depth=1
	s_delay_alu instid0(VALU_DEP_2)
	v_add_nc_u64_e32 v[34:35], 1, v[34:35]
	ds_load_b32 v40, v38
	v_add_nc_u32_e32 v38, 4, v38
	v_cmp_eq_u32_e32 vcc_lo, 1, v34
	v_cndmask_b32_e32 v39, v2, v3, vcc_lo
	v_cmp_eq_u32_e32 vcc_lo, 2, v34
	s_delay_alu instid0(VALU_DEP_2) | instskip(SKIP_1) | instid1(VALU_DEP_2)
	v_cndmask_b32_e32 v39, v39, v4, vcc_lo
	v_cmp_eq_u32_e32 vcc_lo, 3, v34
	v_cndmask_b32_e32 v39, v39, v5, vcc_lo
	v_cmp_eq_u32_e32 vcc_lo, 4, v34
	s_delay_alu instid0(VALU_DEP_2) | instskip(SKIP_1) | instid1(VALU_DEP_2)
	v_cndmask_b32_e32 v39, v39, v6, vcc_lo
	;; [unrolled: 5-line block ×15, first 2 shown]
	v_cmp_eq_u32_e32 vcc_lo, 31, v34
	v_cndmask_b32_e32 v39, v39, v33, vcc_lo
	v_cmp_lt_u32_e32 vcc_lo, 20, v34
	s_wait_dscnt 0x0
	s_delay_alu instid0(VALU_DEP_2) | instskip(SKIP_1) | instid1(SALU_CYCLE_1)
	v_fmac_f32_e32 v37, v39, v40
	s_or_b32 s2, vcc_lo, s2
	s_and_not1_b32 exec_lo, exec_lo, s2
	s_cbranch_execnz .LBB95_701
; %bb.702:
	s_or_b32 exec_lo, exec_lo, s2
.LBB95_703:
	s_delay_alu instid0(SALU_CYCLE_1)
	s_or_b32 exec_lo, exec_lo, s1
	v_mov_b32_e32 v24, 0
	ds_load_b32 v24, v24 offset:88
	s_wait_dscnt 0x0
	v_mul_f32_e32 v24, v37, v24
.LBB95_704:
	s_or_b32 exec_lo, exec_lo, s0
	s_delay_alu instid0(SALU_CYCLE_1)
	s_mov_b32 s0, exec_lo
	ds_store_b32 v133, v25
	s_wait_dscnt 0x0
	s_barrier_signal -1
	s_barrier_wait -1
	v_cmpx_gt_u32_e32 23, v0
	s_cbranch_execz .LBB95_714
; %bb.705:
	v_cmp_ne_u32_e32 vcc_lo, 1, v36
	s_cbranch_vccnz .LBB95_707
; %bb.706:
	v_cmp_eq_u32_e32 vcc_lo, 1, v0
	ds_load_b32 v35, v133
	v_cndmask_b32_e32 v34, v2, v3, vcc_lo
	v_cmp_eq_u32_e32 vcc_lo, 2, v0
	s_delay_alu instid0(VALU_DEP_2) | instskip(SKIP_1) | instid1(VALU_DEP_2)
	v_cndmask_b32_e32 v34, v34, v4, vcc_lo
	v_cmp_eq_u32_e32 vcc_lo, 3, v0
	v_cndmask_b32_e32 v34, v34, v5, vcc_lo
	v_cmp_eq_u32_e32 vcc_lo, 4, v0
	s_delay_alu instid0(VALU_DEP_2) | instskip(SKIP_1) | instid1(VALU_DEP_2)
	v_cndmask_b32_e32 v34, v34, v6, vcc_lo
	v_cmp_eq_u32_e32 vcc_lo, 5, v0
	;; [unrolled: 5-line block ×15, first 2 shown]
	v_cndmask_b32_e32 v34, v34, v33, vcc_lo
	s_wait_dscnt 0x0
	s_delay_alu instid0(VALU_DEP_1)
	v_mul_f32_e32 v37, v34, v35
	s_cbranch_execz .LBB95_708
	s_branch .LBB95_709
.LBB95_707:
                                        ; implicit-def: $vgpr37
.LBB95_708:
	ds_load_b32 v37, v133
.LBB95_709:
	s_mov_b32 s1, exec_lo
	v_cmpx_ne_u32_e32 22, v0
	s_cbranch_execz .LBB95_713
; %bb.710:
	v_mov_b64_e32 v[34:35], v[0:1]
	v_lshl_add_u32 v38, v0, 2, 0x84
	s_mov_b32 s2, 0
.LBB95_711:                             ; =>This Inner Loop Header: Depth=1
	s_delay_alu instid0(VALU_DEP_2)
	v_add_nc_u64_e32 v[34:35], 1, v[34:35]
	ds_load_b32 v40, v38
	v_add_nc_u32_e32 v38, 4, v38
	v_cmp_eq_u32_e32 vcc_lo, 1, v34
	v_cndmask_b32_e32 v39, v2, v3, vcc_lo
	v_cmp_eq_u32_e32 vcc_lo, 2, v34
	s_delay_alu instid0(VALU_DEP_2) | instskip(SKIP_1) | instid1(VALU_DEP_2)
	v_cndmask_b32_e32 v39, v39, v4, vcc_lo
	v_cmp_eq_u32_e32 vcc_lo, 3, v34
	v_cndmask_b32_e32 v39, v39, v5, vcc_lo
	v_cmp_eq_u32_e32 vcc_lo, 4, v34
	s_delay_alu instid0(VALU_DEP_2) | instskip(SKIP_1) | instid1(VALU_DEP_2)
	v_cndmask_b32_e32 v39, v39, v6, vcc_lo
	;; [unrolled: 5-line block ×15, first 2 shown]
	v_cmp_eq_u32_e32 vcc_lo, 31, v34
	v_cndmask_b32_e32 v39, v39, v33, vcc_lo
	v_cmp_lt_u32_e32 vcc_lo, 21, v34
	s_wait_dscnt 0x0
	s_delay_alu instid0(VALU_DEP_2) | instskip(SKIP_1) | instid1(SALU_CYCLE_1)
	v_fmac_f32_e32 v37, v39, v40
	s_or_b32 s2, vcc_lo, s2
	s_and_not1_b32 exec_lo, exec_lo, s2
	s_cbranch_execnz .LBB95_711
; %bb.712:
	s_or_b32 exec_lo, exec_lo, s2
.LBB95_713:
	s_delay_alu instid0(SALU_CYCLE_1)
	s_or_b32 exec_lo, exec_lo, s1
	v_mov_b32_e32 v25, 0
	ds_load_b32 v25, v25 offset:92
	s_wait_dscnt 0x0
	v_mul_f32_e32 v25, v37, v25
.LBB95_714:
	s_or_b32 exec_lo, exec_lo, s0
	s_delay_alu instid0(SALU_CYCLE_1)
	s_mov_b32 s0, exec_lo
	ds_store_b32 v133, v26
	s_wait_dscnt 0x0
	s_barrier_signal -1
	s_barrier_wait -1
	v_cmpx_gt_u32_e32 24, v0
	s_cbranch_execz .LBB95_724
; %bb.715:
	v_cmp_ne_u32_e32 vcc_lo, 1, v36
	s_cbranch_vccnz .LBB95_717
; %bb.716:
	v_cmp_eq_u32_e32 vcc_lo, 1, v0
	ds_load_b32 v35, v133
	v_cndmask_b32_e32 v34, v2, v3, vcc_lo
	v_cmp_eq_u32_e32 vcc_lo, 2, v0
	s_delay_alu instid0(VALU_DEP_2) | instskip(SKIP_1) | instid1(VALU_DEP_2)
	v_cndmask_b32_e32 v34, v34, v4, vcc_lo
	v_cmp_eq_u32_e32 vcc_lo, 3, v0
	v_cndmask_b32_e32 v34, v34, v5, vcc_lo
	v_cmp_eq_u32_e32 vcc_lo, 4, v0
	s_delay_alu instid0(VALU_DEP_2) | instskip(SKIP_1) | instid1(VALU_DEP_2)
	v_cndmask_b32_e32 v34, v34, v6, vcc_lo
	v_cmp_eq_u32_e32 vcc_lo, 5, v0
	;; [unrolled: 5-line block ×15, first 2 shown]
	v_cndmask_b32_e32 v34, v34, v33, vcc_lo
	s_wait_dscnt 0x0
	s_delay_alu instid0(VALU_DEP_1)
	v_mul_f32_e32 v37, v34, v35
	s_cbranch_execz .LBB95_718
	s_branch .LBB95_719
.LBB95_717:
                                        ; implicit-def: $vgpr37
.LBB95_718:
	ds_load_b32 v37, v133
.LBB95_719:
	s_mov_b32 s1, exec_lo
	v_cmpx_ne_u32_e32 23, v0
	s_cbranch_execz .LBB95_723
; %bb.720:
	v_mov_b64_e32 v[34:35], v[0:1]
	v_lshl_add_u32 v38, v0, 2, 0x84
	s_mov_b32 s2, 0
.LBB95_721:                             ; =>This Inner Loop Header: Depth=1
	s_delay_alu instid0(VALU_DEP_2)
	v_add_nc_u64_e32 v[34:35], 1, v[34:35]
	ds_load_b32 v40, v38
	v_add_nc_u32_e32 v38, 4, v38
	v_cmp_eq_u32_e32 vcc_lo, 1, v34
	v_cndmask_b32_e32 v39, v2, v3, vcc_lo
	v_cmp_eq_u32_e32 vcc_lo, 2, v34
	s_delay_alu instid0(VALU_DEP_2) | instskip(SKIP_1) | instid1(VALU_DEP_2)
	v_cndmask_b32_e32 v39, v39, v4, vcc_lo
	v_cmp_eq_u32_e32 vcc_lo, 3, v34
	v_cndmask_b32_e32 v39, v39, v5, vcc_lo
	v_cmp_eq_u32_e32 vcc_lo, 4, v34
	s_delay_alu instid0(VALU_DEP_2) | instskip(SKIP_1) | instid1(VALU_DEP_2)
	v_cndmask_b32_e32 v39, v39, v6, vcc_lo
	;; [unrolled: 5-line block ×15, first 2 shown]
	v_cmp_eq_u32_e32 vcc_lo, 31, v34
	v_cndmask_b32_e32 v39, v39, v33, vcc_lo
	v_cmp_lt_u32_e32 vcc_lo, 22, v34
	s_wait_dscnt 0x0
	s_delay_alu instid0(VALU_DEP_2) | instskip(SKIP_1) | instid1(SALU_CYCLE_1)
	v_fmac_f32_e32 v37, v39, v40
	s_or_b32 s2, vcc_lo, s2
	s_and_not1_b32 exec_lo, exec_lo, s2
	s_cbranch_execnz .LBB95_721
; %bb.722:
	s_or_b32 exec_lo, exec_lo, s2
.LBB95_723:
	s_delay_alu instid0(SALU_CYCLE_1)
	s_or_b32 exec_lo, exec_lo, s1
	v_mov_b32_e32 v26, 0
	ds_load_b32 v26, v26 offset:96
	s_wait_dscnt 0x0
	v_mul_f32_e32 v26, v37, v26
.LBB95_724:
	s_or_b32 exec_lo, exec_lo, s0
	s_delay_alu instid0(SALU_CYCLE_1)
	s_mov_b32 s0, exec_lo
	ds_store_b32 v133, v27
	s_wait_dscnt 0x0
	s_barrier_signal -1
	s_barrier_wait -1
	v_cmpx_gt_u32_e32 25, v0
	s_cbranch_execz .LBB95_734
; %bb.725:
	v_cmp_ne_u32_e32 vcc_lo, 1, v36
	s_cbranch_vccnz .LBB95_727
; %bb.726:
	v_cmp_eq_u32_e32 vcc_lo, 1, v0
	ds_load_b32 v35, v133
	v_cndmask_b32_e32 v34, v2, v3, vcc_lo
	v_cmp_eq_u32_e32 vcc_lo, 2, v0
	s_delay_alu instid0(VALU_DEP_2) | instskip(SKIP_1) | instid1(VALU_DEP_2)
	v_cndmask_b32_e32 v34, v34, v4, vcc_lo
	v_cmp_eq_u32_e32 vcc_lo, 3, v0
	v_cndmask_b32_e32 v34, v34, v5, vcc_lo
	v_cmp_eq_u32_e32 vcc_lo, 4, v0
	s_delay_alu instid0(VALU_DEP_2) | instskip(SKIP_1) | instid1(VALU_DEP_2)
	v_cndmask_b32_e32 v34, v34, v6, vcc_lo
	v_cmp_eq_u32_e32 vcc_lo, 5, v0
	;; [unrolled: 5-line block ×15, first 2 shown]
	v_cndmask_b32_e32 v34, v34, v33, vcc_lo
	s_wait_dscnt 0x0
	s_delay_alu instid0(VALU_DEP_1)
	v_mul_f32_e32 v37, v34, v35
	s_cbranch_execz .LBB95_728
	s_branch .LBB95_729
.LBB95_727:
                                        ; implicit-def: $vgpr37
.LBB95_728:
	ds_load_b32 v37, v133
.LBB95_729:
	s_mov_b32 s1, exec_lo
	v_cmpx_ne_u32_e32 24, v0
	s_cbranch_execz .LBB95_733
; %bb.730:
	v_mov_b64_e32 v[34:35], v[0:1]
	v_lshl_add_u32 v38, v0, 2, 0x84
	s_mov_b32 s2, 0
.LBB95_731:                             ; =>This Inner Loop Header: Depth=1
	s_delay_alu instid0(VALU_DEP_2)
	v_add_nc_u64_e32 v[34:35], 1, v[34:35]
	ds_load_b32 v40, v38
	v_add_nc_u32_e32 v38, 4, v38
	v_cmp_eq_u32_e32 vcc_lo, 1, v34
	v_cndmask_b32_e32 v39, v2, v3, vcc_lo
	v_cmp_eq_u32_e32 vcc_lo, 2, v34
	s_delay_alu instid0(VALU_DEP_2) | instskip(SKIP_1) | instid1(VALU_DEP_2)
	v_cndmask_b32_e32 v39, v39, v4, vcc_lo
	v_cmp_eq_u32_e32 vcc_lo, 3, v34
	v_cndmask_b32_e32 v39, v39, v5, vcc_lo
	v_cmp_eq_u32_e32 vcc_lo, 4, v34
	s_delay_alu instid0(VALU_DEP_2) | instskip(SKIP_1) | instid1(VALU_DEP_2)
	v_cndmask_b32_e32 v39, v39, v6, vcc_lo
	;; [unrolled: 5-line block ×15, first 2 shown]
	v_cmp_eq_u32_e32 vcc_lo, 31, v34
	v_cndmask_b32_e32 v39, v39, v33, vcc_lo
	v_cmp_lt_u32_e32 vcc_lo, 23, v34
	s_wait_dscnt 0x0
	s_delay_alu instid0(VALU_DEP_2) | instskip(SKIP_1) | instid1(SALU_CYCLE_1)
	v_fmac_f32_e32 v37, v39, v40
	s_or_b32 s2, vcc_lo, s2
	s_and_not1_b32 exec_lo, exec_lo, s2
	s_cbranch_execnz .LBB95_731
; %bb.732:
	s_or_b32 exec_lo, exec_lo, s2
.LBB95_733:
	s_delay_alu instid0(SALU_CYCLE_1)
	s_or_b32 exec_lo, exec_lo, s1
	v_mov_b32_e32 v27, 0
	ds_load_b32 v27, v27 offset:100
	s_wait_dscnt 0x0
	v_mul_f32_e32 v27, v37, v27
.LBB95_734:
	s_or_b32 exec_lo, exec_lo, s0
	s_delay_alu instid0(SALU_CYCLE_1)
	s_mov_b32 s0, exec_lo
	ds_store_b32 v133, v28
	s_wait_dscnt 0x0
	s_barrier_signal -1
	s_barrier_wait -1
	v_cmpx_gt_u32_e32 26, v0
	s_cbranch_execz .LBB95_744
; %bb.735:
	v_cmp_ne_u32_e32 vcc_lo, 1, v36
	s_cbranch_vccnz .LBB95_737
; %bb.736:
	v_cmp_eq_u32_e32 vcc_lo, 1, v0
	ds_load_b32 v35, v133
	v_cndmask_b32_e32 v34, v2, v3, vcc_lo
	v_cmp_eq_u32_e32 vcc_lo, 2, v0
	s_delay_alu instid0(VALU_DEP_2) | instskip(SKIP_1) | instid1(VALU_DEP_2)
	v_cndmask_b32_e32 v34, v34, v4, vcc_lo
	v_cmp_eq_u32_e32 vcc_lo, 3, v0
	v_cndmask_b32_e32 v34, v34, v5, vcc_lo
	v_cmp_eq_u32_e32 vcc_lo, 4, v0
	s_delay_alu instid0(VALU_DEP_2) | instskip(SKIP_1) | instid1(VALU_DEP_2)
	v_cndmask_b32_e32 v34, v34, v6, vcc_lo
	v_cmp_eq_u32_e32 vcc_lo, 5, v0
	;; [unrolled: 5-line block ×15, first 2 shown]
	v_cndmask_b32_e32 v34, v34, v33, vcc_lo
	s_wait_dscnt 0x0
	s_delay_alu instid0(VALU_DEP_1)
	v_mul_f32_e32 v37, v34, v35
	s_cbranch_execz .LBB95_738
	s_branch .LBB95_739
.LBB95_737:
                                        ; implicit-def: $vgpr37
.LBB95_738:
	ds_load_b32 v37, v133
.LBB95_739:
	s_mov_b32 s1, exec_lo
	v_cmpx_ne_u32_e32 25, v0
	s_cbranch_execz .LBB95_743
; %bb.740:
	v_mov_b64_e32 v[34:35], v[0:1]
	v_lshl_add_u32 v38, v0, 2, 0x84
	s_mov_b32 s2, 0
.LBB95_741:                             ; =>This Inner Loop Header: Depth=1
	s_delay_alu instid0(VALU_DEP_2)
	v_add_nc_u64_e32 v[34:35], 1, v[34:35]
	ds_load_b32 v40, v38
	v_add_nc_u32_e32 v38, 4, v38
	v_cmp_eq_u32_e32 vcc_lo, 1, v34
	v_cndmask_b32_e32 v39, v2, v3, vcc_lo
	v_cmp_eq_u32_e32 vcc_lo, 2, v34
	s_delay_alu instid0(VALU_DEP_2) | instskip(SKIP_1) | instid1(VALU_DEP_2)
	v_cndmask_b32_e32 v39, v39, v4, vcc_lo
	v_cmp_eq_u32_e32 vcc_lo, 3, v34
	v_cndmask_b32_e32 v39, v39, v5, vcc_lo
	v_cmp_eq_u32_e32 vcc_lo, 4, v34
	s_delay_alu instid0(VALU_DEP_2) | instskip(SKIP_1) | instid1(VALU_DEP_2)
	v_cndmask_b32_e32 v39, v39, v6, vcc_lo
	;; [unrolled: 5-line block ×15, first 2 shown]
	v_cmp_eq_u32_e32 vcc_lo, 31, v34
	v_cndmask_b32_e32 v39, v39, v33, vcc_lo
	v_cmp_lt_u32_e32 vcc_lo, 24, v34
	s_wait_dscnt 0x0
	s_delay_alu instid0(VALU_DEP_2) | instskip(SKIP_1) | instid1(SALU_CYCLE_1)
	v_fmac_f32_e32 v37, v39, v40
	s_or_b32 s2, vcc_lo, s2
	s_and_not1_b32 exec_lo, exec_lo, s2
	s_cbranch_execnz .LBB95_741
; %bb.742:
	s_or_b32 exec_lo, exec_lo, s2
.LBB95_743:
	s_delay_alu instid0(SALU_CYCLE_1)
	s_or_b32 exec_lo, exec_lo, s1
	v_mov_b32_e32 v28, 0
	ds_load_b32 v28, v28 offset:104
	s_wait_dscnt 0x0
	v_mul_f32_e32 v28, v37, v28
.LBB95_744:
	s_or_b32 exec_lo, exec_lo, s0
	s_delay_alu instid0(SALU_CYCLE_1)
	s_mov_b32 s0, exec_lo
	ds_store_b32 v133, v29
	s_wait_dscnt 0x0
	s_barrier_signal -1
	s_barrier_wait -1
	v_cmpx_gt_u32_e32 27, v0
	s_cbranch_execz .LBB95_754
; %bb.745:
	v_cmp_ne_u32_e32 vcc_lo, 1, v36
	s_cbranch_vccnz .LBB95_747
; %bb.746:
	v_cmp_eq_u32_e32 vcc_lo, 1, v0
	ds_load_b32 v35, v133
	v_cndmask_b32_e32 v34, v2, v3, vcc_lo
	v_cmp_eq_u32_e32 vcc_lo, 2, v0
	s_delay_alu instid0(VALU_DEP_2) | instskip(SKIP_1) | instid1(VALU_DEP_2)
	v_cndmask_b32_e32 v34, v34, v4, vcc_lo
	v_cmp_eq_u32_e32 vcc_lo, 3, v0
	v_cndmask_b32_e32 v34, v34, v5, vcc_lo
	v_cmp_eq_u32_e32 vcc_lo, 4, v0
	s_delay_alu instid0(VALU_DEP_2) | instskip(SKIP_1) | instid1(VALU_DEP_2)
	v_cndmask_b32_e32 v34, v34, v6, vcc_lo
	v_cmp_eq_u32_e32 vcc_lo, 5, v0
	;; [unrolled: 5-line block ×15, first 2 shown]
	v_cndmask_b32_e32 v34, v34, v33, vcc_lo
	s_wait_dscnt 0x0
	s_delay_alu instid0(VALU_DEP_1)
	v_mul_f32_e32 v37, v34, v35
	s_cbranch_execz .LBB95_748
	s_branch .LBB95_749
.LBB95_747:
                                        ; implicit-def: $vgpr37
.LBB95_748:
	ds_load_b32 v37, v133
.LBB95_749:
	s_mov_b32 s1, exec_lo
	v_cmpx_ne_u32_e32 26, v0
	s_cbranch_execz .LBB95_753
; %bb.750:
	v_mov_b64_e32 v[34:35], v[0:1]
	v_lshl_add_u32 v38, v0, 2, 0x84
	s_mov_b32 s2, 0
.LBB95_751:                             ; =>This Inner Loop Header: Depth=1
	s_delay_alu instid0(VALU_DEP_2)
	v_add_nc_u64_e32 v[34:35], 1, v[34:35]
	ds_load_b32 v40, v38
	v_add_nc_u32_e32 v38, 4, v38
	v_cmp_eq_u32_e32 vcc_lo, 1, v34
	v_cndmask_b32_e32 v39, v2, v3, vcc_lo
	v_cmp_eq_u32_e32 vcc_lo, 2, v34
	s_delay_alu instid0(VALU_DEP_2) | instskip(SKIP_1) | instid1(VALU_DEP_2)
	v_cndmask_b32_e32 v39, v39, v4, vcc_lo
	v_cmp_eq_u32_e32 vcc_lo, 3, v34
	v_cndmask_b32_e32 v39, v39, v5, vcc_lo
	v_cmp_eq_u32_e32 vcc_lo, 4, v34
	s_delay_alu instid0(VALU_DEP_2) | instskip(SKIP_1) | instid1(VALU_DEP_2)
	v_cndmask_b32_e32 v39, v39, v6, vcc_lo
	;; [unrolled: 5-line block ×15, first 2 shown]
	v_cmp_eq_u32_e32 vcc_lo, 31, v34
	v_cndmask_b32_e32 v39, v39, v33, vcc_lo
	v_cmp_lt_u32_e32 vcc_lo, 25, v34
	s_wait_dscnt 0x0
	s_delay_alu instid0(VALU_DEP_2) | instskip(SKIP_1) | instid1(SALU_CYCLE_1)
	v_fmac_f32_e32 v37, v39, v40
	s_or_b32 s2, vcc_lo, s2
	s_and_not1_b32 exec_lo, exec_lo, s2
	s_cbranch_execnz .LBB95_751
; %bb.752:
	s_or_b32 exec_lo, exec_lo, s2
.LBB95_753:
	s_delay_alu instid0(SALU_CYCLE_1)
	s_or_b32 exec_lo, exec_lo, s1
	v_mov_b32_e32 v29, 0
	ds_load_b32 v29, v29 offset:108
	s_wait_dscnt 0x0
	v_mul_f32_e32 v29, v37, v29
.LBB95_754:
	s_or_b32 exec_lo, exec_lo, s0
	s_delay_alu instid0(SALU_CYCLE_1)
	s_mov_b32 s0, exec_lo
	ds_store_b32 v133, v30
	s_wait_dscnt 0x0
	s_barrier_signal -1
	s_barrier_wait -1
	v_cmpx_gt_u32_e32 28, v0
	s_cbranch_execz .LBB95_764
; %bb.755:
	v_cmp_ne_u32_e32 vcc_lo, 1, v36
	s_cbranch_vccnz .LBB95_757
; %bb.756:
	v_cmp_eq_u32_e32 vcc_lo, 1, v0
	ds_load_b32 v35, v133
	v_cndmask_b32_e32 v34, v2, v3, vcc_lo
	v_cmp_eq_u32_e32 vcc_lo, 2, v0
	s_delay_alu instid0(VALU_DEP_2) | instskip(SKIP_1) | instid1(VALU_DEP_2)
	v_cndmask_b32_e32 v34, v34, v4, vcc_lo
	v_cmp_eq_u32_e32 vcc_lo, 3, v0
	v_cndmask_b32_e32 v34, v34, v5, vcc_lo
	v_cmp_eq_u32_e32 vcc_lo, 4, v0
	s_delay_alu instid0(VALU_DEP_2) | instskip(SKIP_1) | instid1(VALU_DEP_2)
	v_cndmask_b32_e32 v34, v34, v6, vcc_lo
	v_cmp_eq_u32_e32 vcc_lo, 5, v0
	;; [unrolled: 5-line block ×15, first 2 shown]
	v_cndmask_b32_e32 v34, v34, v33, vcc_lo
	s_wait_dscnt 0x0
	s_delay_alu instid0(VALU_DEP_1)
	v_mul_f32_e32 v37, v34, v35
	s_cbranch_execz .LBB95_758
	s_branch .LBB95_759
.LBB95_757:
                                        ; implicit-def: $vgpr37
.LBB95_758:
	ds_load_b32 v37, v133
.LBB95_759:
	s_mov_b32 s1, exec_lo
	v_cmpx_ne_u32_e32 27, v0
	s_cbranch_execz .LBB95_763
; %bb.760:
	v_mov_b64_e32 v[34:35], v[0:1]
	v_lshl_add_u32 v38, v0, 2, 0x84
	s_mov_b32 s2, 0
.LBB95_761:                             ; =>This Inner Loop Header: Depth=1
	s_delay_alu instid0(VALU_DEP_2)
	v_add_nc_u64_e32 v[34:35], 1, v[34:35]
	ds_load_b32 v40, v38
	v_add_nc_u32_e32 v38, 4, v38
	v_cmp_eq_u32_e32 vcc_lo, 1, v34
	v_cndmask_b32_e32 v39, v2, v3, vcc_lo
	v_cmp_eq_u32_e32 vcc_lo, 2, v34
	s_delay_alu instid0(VALU_DEP_2) | instskip(SKIP_1) | instid1(VALU_DEP_2)
	v_cndmask_b32_e32 v39, v39, v4, vcc_lo
	v_cmp_eq_u32_e32 vcc_lo, 3, v34
	v_cndmask_b32_e32 v39, v39, v5, vcc_lo
	v_cmp_eq_u32_e32 vcc_lo, 4, v34
	s_delay_alu instid0(VALU_DEP_2) | instskip(SKIP_1) | instid1(VALU_DEP_2)
	v_cndmask_b32_e32 v39, v39, v6, vcc_lo
	;; [unrolled: 5-line block ×15, first 2 shown]
	v_cmp_eq_u32_e32 vcc_lo, 31, v34
	v_cndmask_b32_e32 v39, v39, v33, vcc_lo
	v_cmp_lt_u32_e32 vcc_lo, 26, v34
	s_wait_dscnt 0x0
	s_delay_alu instid0(VALU_DEP_2) | instskip(SKIP_1) | instid1(SALU_CYCLE_1)
	v_fmac_f32_e32 v37, v39, v40
	s_or_b32 s2, vcc_lo, s2
	s_and_not1_b32 exec_lo, exec_lo, s2
	s_cbranch_execnz .LBB95_761
; %bb.762:
	s_or_b32 exec_lo, exec_lo, s2
.LBB95_763:
	s_delay_alu instid0(SALU_CYCLE_1)
	s_or_b32 exec_lo, exec_lo, s1
	v_mov_b32_e32 v30, 0
	ds_load_b32 v30, v30 offset:112
	s_wait_dscnt 0x0
	v_mul_f32_e32 v30, v37, v30
.LBB95_764:
	s_or_b32 exec_lo, exec_lo, s0
	s_delay_alu instid0(SALU_CYCLE_1)
	s_mov_b32 s0, exec_lo
	ds_store_b32 v133, v31
	s_wait_dscnt 0x0
	s_barrier_signal -1
	s_barrier_wait -1
	v_cmpx_gt_u32_e32 29, v0
	s_cbranch_execz .LBB95_774
; %bb.765:
	v_cmp_ne_u32_e32 vcc_lo, 1, v36
	s_cbranch_vccnz .LBB95_767
; %bb.766:
	v_cmp_eq_u32_e32 vcc_lo, 1, v0
	ds_load_b32 v35, v133
	v_cndmask_b32_e32 v34, v2, v3, vcc_lo
	v_cmp_eq_u32_e32 vcc_lo, 2, v0
	s_delay_alu instid0(VALU_DEP_2) | instskip(SKIP_1) | instid1(VALU_DEP_2)
	v_cndmask_b32_e32 v34, v34, v4, vcc_lo
	v_cmp_eq_u32_e32 vcc_lo, 3, v0
	v_cndmask_b32_e32 v34, v34, v5, vcc_lo
	v_cmp_eq_u32_e32 vcc_lo, 4, v0
	s_delay_alu instid0(VALU_DEP_2) | instskip(SKIP_1) | instid1(VALU_DEP_2)
	v_cndmask_b32_e32 v34, v34, v6, vcc_lo
	v_cmp_eq_u32_e32 vcc_lo, 5, v0
	v_cndmask_b32_e32 v34, v34, v7, vcc_lo
	v_cmp_eq_u32_e32 vcc_lo, 6, v0
	s_delay_alu instid0(VALU_DEP_2) | instskip(SKIP_1) | instid1(VALU_DEP_2)
	v_cndmask_b32_e32 v34, v34, v8, vcc_lo
	v_cmp_eq_u32_e32 vcc_lo, 7, v0
	v_cndmask_b32_e32 v34, v34, v9, vcc_lo
	v_cmp_eq_u32_e32 vcc_lo, 8, v0
	s_delay_alu instid0(VALU_DEP_2) | instskip(SKIP_1) | instid1(VALU_DEP_2)
	v_cndmask_b32_e32 v34, v34, v10, vcc_lo
	v_cmp_eq_u32_e32 vcc_lo, 9, v0
	v_cndmask_b32_e32 v34, v34, v11, vcc_lo
	v_cmp_eq_u32_e32 vcc_lo, 10, v0
	s_delay_alu instid0(VALU_DEP_2) | instskip(SKIP_1) | instid1(VALU_DEP_2)
	v_cndmask_b32_e32 v34, v34, v12, vcc_lo
	v_cmp_eq_u32_e32 vcc_lo, 11, v0
	v_cndmask_b32_e32 v34, v34, v13, vcc_lo
	v_cmp_eq_u32_e32 vcc_lo, 12, v0
	s_delay_alu instid0(VALU_DEP_2) | instskip(SKIP_1) | instid1(VALU_DEP_2)
	v_cndmask_b32_e32 v34, v34, v14, vcc_lo
	v_cmp_eq_u32_e32 vcc_lo, 13, v0
	v_cndmask_b32_e32 v34, v34, v15, vcc_lo
	v_cmp_eq_u32_e32 vcc_lo, 14, v0
	s_delay_alu instid0(VALU_DEP_2) | instskip(SKIP_1) | instid1(VALU_DEP_2)
	v_cndmask_b32_e32 v34, v34, v16, vcc_lo
	v_cmp_eq_u32_e32 vcc_lo, 15, v0
	v_cndmask_b32_e32 v34, v34, v17, vcc_lo
	v_cmp_eq_u32_e32 vcc_lo, 16, v0
	s_delay_alu instid0(VALU_DEP_2) | instskip(SKIP_1) | instid1(VALU_DEP_2)
	v_cndmask_b32_e32 v34, v34, v18, vcc_lo
	v_cmp_eq_u32_e32 vcc_lo, 17, v0
	v_cndmask_b32_e32 v34, v34, v19, vcc_lo
	v_cmp_eq_u32_e32 vcc_lo, 18, v0
	s_delay_alu instid0(VALU_DEP_2) | instskip(SKIP_1) | instid1(VALU_DEP_2)
	v_cndmask_b32_e32 v34, v34, v20, vcc_lo
	v_cmp_eq_u32_e32 vcc_lo, 19, v0
	v_cndmask_b32_e32 v34, v34, v21, vcc_lo
	v_cmp_eq_u32_e32 vcc_lo, 20, v0
	s_delay_alu instid0(VALU_DEP_2) | instskip(SKIP_1) | instid1(VALU_DEP_2)
	v_cndmask_b32_e32 v34, v34, v22, vcc_lo
	v_cmp_eq_u32_e32 vcc_lo, 21, v0
	v_cndmask_b32_e32 v34, v34, v23, vcc_lo
	v_cmp_eq_u32_e32 vcc_lo, 22, v0
	s_delay_alu instid0(VALU_DEP_2) | instskip(SKIP_1) | instid1(VALU_DEP_2)
	v_cndmask_b32_e32 v34, v34, v24, vcc_lo
	v_cmp_eq_u32_e32 vcc_lo, 23, v0
	v_cndmask_b32_e32 v34, v34, v25, vcc_lo
	v_cmp_eq_u32_e32 vcc_lo, 24, v0
	s_delay_alu instid0(VALU_DEP_2) | instskip(SKIP_1) | instid1(VALU_DEP_2)
	v_cndmask_b32_e32 v34, v34, v26, vcc_lo
	v_cmp_eq_u32_e32 vcc_lo, 25, v0
	v_cndmask_b32_e32 v34, v34, v27, vcc_lo
	v_cmp_eq_u32_e32 vcc_lo, 26, v0
	s_delay_alu instid0(VALU_DEP_2) | instskip(SKIP_1) | instid1(VALU_DEP_2)
	v_cndmask_b32_e32 v34, v34, v28, vcc_lo
	v_cmp_eq_u32_e32 vcc_lo, 27, v0
	v_cndmask_b32_e32 v34, v34, v29, vcc_lo
	v_cmp_eq_u32_e32 vcc_lo, 28, v0
	s_delay_alu instid0(VALU_DEP_2) | instskip(SKIP_1) | instid1(VALU_DEP_2)
	v_cndmask_b32_e32 v34, v34, v30, vcc_lo
	v_cmp_eq_u32_e32 vcc_lo, 29, v0
	v_cndmask_b32_e32 v34, v34, v31, vcc_lo
	v_cmp_eq_u32_e32 vcc_lo, 30, v0
	s_delay_alu instid0(VALU_DEP_2) | instskip(SKIP_1) | instid1(VALU_DEP_2)
	v_cndmask_b32_e32 v34, v34, v32, vcc_lo
	v_cmp_eq_u32_e32 vcc_lo, 31, v0
	v_cndmask_b32_e32 v34, v34, v33, vcc_lo
	s_wait_dscnt 0x0
	s_delay_alu instid0(VALU_DEP_1)
	v_mul_f32_e32 v37, v34, v35
	s_cbranch_execz .LBB95_768
	s_branch .LBB95_769
.LBB95_767:
                                        ; implicit-def: $vgpr37
.LBB95_768:
	ds_load_b32 v37, v133
.LBB95_769:
	s_mov_b32 s1, exec_lo
	v_cmpx_ne_u32_e32 28, v0
	s_cbranch_execz .LBB95_773
; %bb.770:
	v_mov_b64_e32 v[34:35], v[0:1]
	v_lshl_add_u32 v38, v0, 2, 0x84
	s_mov_b32 s2, 0
.LBB95_771:                             ; =>This Inner Loop Header: Depth=1
	s_delay_alu instid0(VALU_DEP_2)
	v_add_nc_u64_e32 v[34:35], 1, v[34:35]
	ds_load_b32 v40, v38
	v_add_nc_u32_e32 v38, 4, v38
	v_cmp_eq_u32_e32 vcc_lo, 1, v34
	v_cndmask_b32_e32 v39, v2, v3, vcc_lo
	v_cmp_eq_u32_e32 vcc_lo, 2, v34
	s_delay_alu instid0(VALU_DEP_2) | instskip(SKIP_1) | instid1(VALU_DEP_2)
	v_cndmask_b32_e32 v39, v39, v4, vcc_lo
	v_cmp_eq_u32_e32 vcc_lo, 3, v34
	v_cndmask_b32_e32 v39, v39, v5, vcc_lo
	v_cmp_eq_u32_e32 vcc_lo, 4, v34
	s_delay_alu instid0(VALU_DEP_2) | instskip(SKIP_1) | instid1(VALU_DEP_2)
	v_cndmask_b32_e32 v39, v39, v6, vcc_lo
	;; [unrolled: 5-line block ×15, first 2 shown]
	v_cmp_eq_u32_e32 vcc_lo, 31, v34
	v_cndmask_b32_e32 v39, v39, v33, vcc_lo
	v_cmp_lt_u32_e32 vcc_lo, 27, v34
	s_wait_dscnt 0x0
	s_delay_alu instid0(VALU_DEP_2) | instskip(SKIP_1) | instid1(SALU_CYCLE_1)
	v_fmac_f32_e32 v37, v39, v40
	s_or_b32 s2, vcc_lo, s2
	s_and_not1_b32 exec_lo, exec_lo, s2
	s_cbranch_execnz .LBB95_771
; %bb.772:
	s_or_b32 exec_lo, exec_lo, s2
.LBB95_773:
	s_delay_alu instid0(SALU_CYCLE_1)
	s_or_b32 exec_lo, exec_lo, s1
	v_mov_b32_e32 v31, 0
	ds_load_b32 v31, v31 offset:116
	s_wait_dscnt 0x0
	v_mul_f32_e32 v31, v37, v31
.LBB95_774:
	s_or_b32 exec_lo, exec_lo, s0
	v_cmp_gt_u32_e64 s0, 30, v0
	ds_store_b32 v133, v32
	s_wait_dscnt 0x0
	s_barrier_signal -1
	s_barrier_wait -1
	s_and_saveexec_b32 s1, s0
	s_cbranch_execz .LBB95_784
; %bb.775:
	v_cmp_ne_u32_e32 vcc_lo, 1, v36
	s_cbranch_vccnz .LBB95_777
; %bb.776:
	v_cmp_eq_u32_e32 vcc_lo, 1, v0
	ds_load_b32 v35, v133
	v_cndmask_b32_e32 v34, v2, v3, vcc_lo
	v_cmp_eq_u32_e32 vcc_lo, 2, v0
	s_delay_alu instid0(VALU_DEP_2) | instskip(SKIP_1) | instid1(VALU_DEP_2)
	v_cndmask_b32_e32 v34, v34, v4, vcc_lo
	v_cmp_eq_u32_e32 vcc_lo, 3, v0
	v_cndmask_b32_e32 v34, v34, v5, vcc_lo
	v_cmp_eq_u32_e32 vcc_lo, 4, v0
	s_delay_alu instid0(VALU_DEP_2) | instskip(SKIP_1) | instid1(VALU_DEP_2)
	v_cndmask_b32_e32 v34, v34, v6, vcc_lo
	v_cmp_eq_u32_e32 vcc_lo, 5, v0
	;; [unrolled: 5-line block ×15, first 2 shown]
	v_cndmask_b32_e32 v34, v34, v33, vcc_lo
	s_wait_dscnt 0x0
	s_delay_alu instid0(VALU_DEP_1)
	v_mul_f32_e32 v37, v34, v35
	s_cbranch_execz .LBB95_778
	s_branch .LBB95_779
.LBB95_777:
                                        ; implicit-def: $vgpr37
.LBB95_778:
	ds_load_b32 v37, v133
.LBB95_779:
	s_mov_b32 s2, exec_lo
	v_cmpx_ne_u32_e32 29, v0
	s_cbranch_execz .LBB95_783
; %bb.780:
	v_mov_b64_e32 v[34:35], v[0:1]
	v_lshl_add_u32 v38, v0, 2, 0x84
	s_mov_b32 s3, 0
.LBB95_781:                             ; =>This Inner Loop Header: Depth=1
	s_delay_alu instid0(VALU_DEP_2)
	v_add_nc_u64_e32 v[34:35], 1, v[34:35]
	ds_load_b32 v40, v38
	v_add_nc_u32_e32 v38, 4, v38
	v_cmp_eq_u32_e32 vcc_lo, 1, v34
	v_cndmask_b32_e32 v39, v2, v3, vcc_lo
	v_cmp_eq_u32_e32 vcc_lo, 2, v34
	s_delay_alu instid0(VALU_DEP_2) | instskip(SKIP_1) | instid1(VALU_DEP_2)
	v_cndmask_b32_e32 v39, v39, v4, vcc_lo
	v_cmp_eq_u32_e32 vcc_lo, 3, v34
	v_cndmask_b32_e32 v39, v39, v5, vcc_lo
	v_cmp_eq_u32_e32 vcc_lo, 4, v34
	s_delay_alu instid0(VALU_DEP_2) | instskip(SKIP_1) | instid1(VALU_DEP_2)
	v_cndmask_b32_e32 v39, v39, v6, vcc_lo
	;; [unrolled: 5-line block ×15, first 2 shown]
	v_cmp_eq_u32_e32 vcc_lo, 31, v34
	v_cndmask_b32_e32 v39, v39, v33, vcc_lo
	v_cmp_lt_u32_e32 vcc_lo, 28, v34
	s_wait_dscnt 0x0
	s_delay_alu instid0(VALU_DEP_2) | instskip(SKIP_1) | instid1(SALU_CYCLE_1)
	v_fmac_f32_e32 v37, v39, v40
	s_or_b32 s3, vcc_lo, s3
	s_and_not1_b32 exec_lo, exec_lo, s3
	s_cbranch_execnz .LBB95_781
; %bb.782:
	s_or_b32 exec_lo, exec_lo, s3
.LBB95_783:
	s_delay_alu instid0(SALU_CYCLE_1)
	s_or_b32 exec_lo, exec_lo, s2
	v_mov_b32_e32 v32, 0
	ds_load_b32 v32, v32 offset:120
	s_wait_dscnt 0x0
	v_mul_f32_e32 v32, v37, v32
.LBB95_784:
	s_or_b32 exec_lo, exec_lo, s1
	s_delay_alu instid0(SALU_CYCLE_1)
	s_mov_b32 s1, exec_lo
	ds_store_b32 v133, v33
	s_wait_dscnt 0x0
	s_barrier_signal -1
	s_barrier_wait -1
	v_cmpx_ne_u32_e32 31, v0
	s_cbranch_execz .LBB95_794
; %bb.785:
	v_cmp_ne_u32_e32 vcc_lo, 1, v36
	s_cbranch_vccnz .LBB95_787
; %bb.786:
	v_cmp_eq_u32_e32 vcc_lo, 1, v0
	ds_load_b32 v35, v133
	v_cndmask_b32_e32 v34, v2, v3, vcc_lo
	v_cmp_eq_u32_e32 vcc_lo, 2, v0
	s_delay_alu instid0(VALU_DEP_2) | instskip(SKIP_1) | instid1(VALU_DEP_2)
	v_cndmask_b32_e32 v34, v34, v4, vcc_lo
	v_cmp_eq_u32_e32 vcc_lo, 3, v0
	v_cndmask_b32_e32 v34, v34, v5, vcc_lo
	v_cmp_eq_u32_e32 vcc_lo, 4, v0
	s_delay_alu instid0(VALU_DEP_2) | instskip(SKIP_1) | instid1(VALU_DEP_2)
	v_cndmask_b32_e32 v34, v34, v6, vcc_lo
	v_cmp_eq_u32_e32 vcc_lo, 5, v0
	;; [unrolled: 5-line block ×15, first 2 shown]
	v_cndmask_b32_e32 v34, v34, v33, vcc_lo
	s_wait_dscnt 0x0
	s_delay_alu instid0(VALU_DEP_1)
	v_mul_f32_e32 v34, v34, v35
	s_cbranch_execz .LBB95_788
	s_branch .LBB95_789
.LBB95_787:
                                        ; implicit-def: $vgpr34
.LBB95_788:
	ds_load_b32 v34, v133
.LBB95_789:
	s_and_saveexec_b32 s2, s0
	s_cbranch_execz .LBB95_793
; %bb.790:
	v_lshl_add_u32 v35, v0, 2, 0x84
	s_mov_b32 s0, 0
.LBB95_791:                             ; =>This Inner Loop Header: Depth=1
	v_add_nc_u64_e32 v[0:1], 1, v[0:1]
	ds_load_b32 v37, v35
	v_add_nc_u32_e32 v35, 4, v35
	v_cmp_eq_u32_e32 vcc_lo, 1, v0
	v_cndmask_b32_e32 v36, v2, v3, vcc_lo
	v_cmp_eq_u32_e32 vcc_lo, 2, v0
	s_delay_alu instid0(VALU_DEP_2) | instskip(SKIP_1) | instid1(VALU_DEP_2)
	v_cndmask_b32_e32 v36, v36, v4, vcc_lo
	v_cmp_eq_u32_e32 vcc_lo, 3, v0
	v_cndmask_b32_e32 v36, v36, v5, vcc_lo
	v_cmp_eq_u32_e32 vcc_lo, 4, v0
	s_delay_alu instid0(VALU_DEP_2) | instskip(SKIP_1) | instid1(VALU_DEP_2)
	v_cndmask_b32_e32 v36, v36, v6, vcc_lo
	v_cmp_eq_u32_e32 vcc_lo, 5, v0
	v_cndmask_b32_e32 v36, v36, v7, vcc_lo
	v_cmp_eq_u32_e32 vcc_lo, 6, v0
	s_delay_alu instid0(VALU_DEP_2) | instskip(SKIP_1) | instid1(VALU_DEP_2)
	v_cndmask_b32_e32 v36, v36, v8, vcc_lo
	v_cmp_eq_u32_e32 vcc_lo, 7, v0
	v_cndmask_b32_e32 v36, v36, v9, vcc_lo
	v_cmp_eq_u32_e32 vcc_lo, 8, v0
	s_delay_alu instid0(VALU_DEP_2) | instskip(SKIP_1) | instid1(VALU_DEP_2)
	v_cndmask_b32_e32 v36, v36, v10, vcc_lo
	v_cmp_eq_u32_e32 vcc_lo, 9, v0
	v_cndmask_b32_e32 v36, v36, v11, vcc_lo
	v_cmp_eq_u32_e32 vcc_lo, 10, v0
	s_delay_alu instid0(VALU_DEP_2) | instskip(SKIP_1) | instid1(VALU_DEP_2)
	v_cndmask_b32_e32 v36, v36, v12, vcc_lo
	v_cmp_eq_u32_e32 vcc_lo, 11, v0
	v_cndmask_b32_e32 v36, v36, v13, vcc_lo
	v_cmp_eq_u32_e32 vcc_lo, 12, v0
	s_delay_alu instid0(VALU_DEP_2) | instskip(SKIP_1) | instid1(VALU_DEP_2)
	v_cndmask_b32_e32 v36, v36, v14, vcc_lo
	v_cmp_eq_u32_e32 vcc_lo, 13, v0
	v_cndmask_b32_e32 v36, v36, v15, vcc_lo
	v_cmp_eq_u32_e32 vcc_lo, 14, v0
	s_delay_alu instid0(VALU_DEP_2) | instskip(SKIP_1) | instid1(VALU_DEP_2)
	v_cndmask_b32_e32 v36, v36, v16, vcc_lo
	v_cmp_eq_u32_e32 vcc_lo, 15, v0
	v_cndmask_b32_e32 v36, v36, v17, vcc_lo
	v_cmp_eq_u32_e32 vcc_lo, 16, v0
	s_delay_alu instid0(VALU_DEP_2) | instskip(SKIP_1) | instid1(VALU_DEP_2)
	v_cndmask_b32_e32 v36, v36, v18, vcc_lo
	v_cmp_eq_u32_e32 vcc_lo, 17, v0
	v_cndmask_b32_e32 v36, v36, v19, vcc_lo
	v_cmp_eq_u32_e32 vcc_lo, 18, v0
	s_delay_alu instid0(VALU_DEP_2) | instskip(SKIP_1) | instid1(VALU_DEP_2)
	v_cndmask_b32_e32 v36, v36, v20, vcc_lo
	v_cmp_eq_u32_e32 vcc_lo, 19, v0
	v_cndmask_b32_e32 v36, v36, v21, vcc_lo
	v_cmp_eq_u32_e32 vcc_lo, 20, v0
	s_delay_alu instid0(VALU_DEP_2) | instskip(SKIP_1) | instid1(VALU_DEP_2)
	v_cndmask_b32_e32 v36, v36, v22, vcc_lo
	v_cmp_eq_u32_e32 vcc_lo, 21, v0
	v_cndmask_b32_e32 v36, v36, v23, vcc_lo
	v_cmp_eq_u32_e32 vcc_lo, 22, v0
	s_delay_alu instid0(VALU_DEP_2) | instskip(SKIP_1) | instid1(VALU_DEP_2)
	v_cndmask_b32_e32 v36, v36, v24, vcc_lo
	v_cmp_eq_u32_e32 vcc_lo, 23, v0
	v_cndmask_b32_e32 v36, v36, v25, vcc_lo
	v_cmp_eq_u32_e32 vcc_lo, 24, v0
	s_delay_alu instid0(VALU_DEP_2) | instskip(SKIP_1) | instid1(VALU_DEP_2)
	v_cndmask_b32_e32 v36, v36, v26, vcc_lo
	v_cmp_eq_u32_e32 vcc_lo, 25, v0
	v_cndmask_b32_e32 v36, v36, v27, vcc_lo
	v_cmp_eq_u32_e32 vcc_lo, 26, v0
	s_delay_alu instid0(VALU_DEP_2) | instskip(SKIP_1) | instid1(VALU_DEP_2)
	v_cndmask_b32_e32 v36, v36, v28, vcc_lo
	v_cmp_eq_u32_e32 vcc_lo, 27, v0
	v_cndmask_b32_e32 v36, v36, v29, vcc_lo
	v_cmp_eq_u32_e32 vcc_lo, 28, v0
	s_delay_alu instid0(VALU_DEP_2) | instskip(SKIP_1) | instid1(VALU_DEP_2)
	v_cndmask_b32_e32 v36, v36, v30, vcc_lo
	v_cmp_eq_u32_e32 vcc_lo, 29, v0
	v_cndmask_b32_e32 v36, v36, v31, vcc_lo
	v_cmp_eq_u32_e32 vcc_lo, 30, v0
	s_delay_alu instid0(VALU_DEP_2) | instskip(SKIP_1) | instid1(VALU_DEP_2)
	v_cndmask_b32_e32 v36, v36, v32, vcc_lo
	v_cmp_eq_u32_e32 vcc_lo, 31, v0
	v_cndmask_b32_e32 v36, v36, v33, vcc_lo
	v_cmp_lt_u32_e32 vcc_lo, 29, v0
	s_wait_dscnt 0x0
	s_delay_alu instid0(VALU_DEP_2) | instskip(SKIP_1) | instid1(SALU_CYCLE_1)
	v_fmac_f32_e32 v34, v36, v37
	s_or_b32 s0, vcc_lo, s0
	s_and_not1_b32 exec_lo, exec_lo, s0
	s_cbranch_execnz .LBB95_791
; %bb.792:
	s_or_b32 exec_lo, exec_lo, s0
.LBB95_793:
	s_delay_alu instid0(SALU_CYCLE_1)
	s_or_b32 exec_lo, exec_lo, s2
	v_mov_b32_e32 v0, 0
	ds_load_b32 v0, v0 offset:124
	s_wait_dscnt 0x0
	v_mul_f32_e32 v33, v34, v0
.LBB95_794:
	s_or_b32 exec_lo, exec_lo, s1
	s_delay_alu instid0(VALU_DEP_1)
	v_mov_b64_e32 v[64:65], v[32:33]
	v_mov_b64_e32 v[62:63], v[30:31]
	;; [unrolled: 1-line block ×16, first 2 shown]
.LBB95_795:
	s_wait_xcnt 0x7
	v_lshl_add_u64 v[0:1], v[66:67], 2, s[34:35]
	s_wait_loadcnt_dscnt 0x708
	v_lshl_add_u64 v[2:3], v[68:69], 2, s[34:35]
	v_lshl_add_u64 v[4:5], v[70:71], 2, s[34:35]
	;; [unrolled: 1-line block ×12, first 2 shown]
	s_wait_loadcnt_dscnt 0x607
	v_lshl_add_u64 v[26:27], v[92:93], 2, s[34:35]
	s_wait_loadcnt_dscnt 0x405
	v_lshl_add_u64 v[28:29], v[94:95], 2, s[34:35]
	;; [unrolled: 2-line block ×4, first 2 shown]
	v_lshl_add_u64 v[66:67], v[100:101], 2, s[34:35]
	v_lshl_add_u64 v[68:69], v[102:103], 2, s[34:35]
	;; [unrolled: 1-line block ×13, first 2 shown]
	s_clause 0x1f
	flat_store_b32 v[108:109], v34
	flat_store_b32 v[114:115], v35
	;; [unrolled: 1-line block ×32, first 2 shown]
.LBB95_796:
	s_sendmsg sendmsg(MSG_DEALLOC_VGPRS)
	s_endpgm
	.section	.rodata,"a",@progbits
	.p2align	6, 0x0
	.amdhsa_kernel _ZN9rocsolver6v33100L18trti2_kernel_smallILi32EfPKPfEEv13rocblas_fill_17rocblas_diagonal_T1_iil
		.amdhsa_group_segment_fixed_size 256
		.amdhsa_private_segment_fixed_size 0
		.amdhsa_kernarg_size 32
		.amdhsa_user_sgpr_count 2
		.amdhsa_user_sgpr_dispatch_ptr 0
		.amdhsa_user_sgpr_queue_ptr 0
		.amdhsa_user_sgpr_kernarg_segment_ptr 1
		.amdhsa_user_sgpr_dispatch_id 0
		.amdhsa_user_sgpr_kernarg_preload_length 0
		.amdhsa_user_sgpr_kernarg_preload_offset 0
		.amdhsa_user_sgpr_private_segment_size 0
		.amdhsa_wavefront_size32 1
		.amdhsa_uses_dynamic_stack 0
		.amdhsa_enable_private_segment 0
		.amdhsa_system_sgpr_workgroup_id_x 1
		.amdhsa_system_sgpr_workgroup_id_y 0
		.amdhsa_system_sgpr_workgroup_id_z 0
		.amdhsa_system_sgpr_workgroup_info 0
		.amdhsa_system_vgpr_workitem_id 0
		.amdhsa_next_free_vgpr 145
		.amdhsa_next_free_sgpr 40
		.amdhsa_named_barrier_count 0
		.amdhsa_reserve_vcc 1
		.amdhsa_float_round_mode_32 0
		.amdhsa_float_round_mode_16_64 0
		.amdhsa_float_denorm_mode_32 3
		.amdhsa_float_denorm_mode_16_64 3
		.amdhsa_fp16_overflow 0
		.amdhsa_memory_ordered 1
		.amdhsa_forward_progress 1
		.amdhsa_inst_pref_size 255
		.amdhsa_round_robin_scheduling 0
		.amdhsa_exception_fp_ieee_invalid_op 0
		.amdhsa_exception_fp_denorm_src 0
		.amdhsa_exception_fp_ieee_div_zero 0
		.amdhsa_exception_fp_ieee_overflow 0
		.amdhsa_exception_fp_ieee_underflow 0
		.amdhsa_exception_fp_ieee_inexact 0
		.amdhsa_exception_int_div_zero 0
	.end_amdhsa_kernel
	.section	.text._ZN9rocsolver6v33100L18trti2_kernel_smallILi32EfPKPfEEv13rocblas_fill_17rocblas_diagonal_T1_iil,"axG",@progbits,_ZN9rocsolver6v33100L18trti2_kernel_smallILi32EfPKPfEEv13rocblas_fill_17rocblas_diagonal_T1_iil,comdat
.Lfunc_end95:
	.size	_ZN9rocsolver6v33100L18trti2_kernel_smallILi32EfPKPfEEv13rocblas_fill_17rocblas_diagonal_T1_iil, .Lfunc_end95-_ZN9rocsolver6v33100L18trti2_kernel_smallILi32EfPKPfEEv13rocblas_fill_17rocblas_diagonal_T1_iil
                                        ; -- End function
	.set _ZN9rocsolver6v33100L18trti2_kernel_smallILi32EfPKPfEEv13rocblas_fill_17rocblas_diagonal_T1_iil.num_vgpr, 145
	.set _ZN9rocsolver6v33100L18trti2_kernel_smallILi32EfPKPfEEv13rocblas_fill_17rocblas_diagonal_T1_iil.num_agpr, 0
	.set _ZN9rocsolver6v33100L18trti2_kernel_smallILi32EfPKPfEEv13rocblas_fill_17rocblas_diagonal_T1_iil.numbered_sgpr, 40
	.set _ZN9rocsolver6v33100L18trti2_kernel_smallILi32EfPKPfEEv13rocblas_fill_17rocblas_diagonal_T1_iil.num_named_barrier, 0
	.set _ZN9rocsolver6v33100L18trti2_kernel_smallILi32EfPKPfEEv13rocblas_fill_17rocblas_diagonal_T1_iil.private_seg_size, 0
	.set _ZN9rocsolver6v33100L18trti2_kernel_smallILi32EfPKPfEEv13rocblas_fill_17rocblas_diagonal_T1_iil.uses_vcc, 1
	.set _ZN9rocsolver6v33100L18trti2_kernel_smallILi32EfPKPfEEv13rocblas_fill_17rocblas_diagonal_T1_iil.uses_flat_scratch, 1
	.set _ZN9rocsolver6v33100L18trti2_kernel_smallILi32EfPKPfEEv13rocblas_fill_17rocblas_diagonal_T1_iil.has_dyn_sized_stack, 0
	.set _ZN9rocsolver6v33100L18trti2_kernel_smallILi32EfPKPfEEv13rocblas_fill_17rocblas_diagonal_T1_iil.has_recursion, 0
	.set _ZN9rocsolver6v33100L18trti2_kernel_smallILi32EfPKPfEEv13rocblas_fill_17rocblas_diagonal_T1_iil.has_indirect_call, 0
	.section	.AMDGPU.csdata,"",@progbits
; Kernel info:
; codeLenInByte = 61736
; TotalNumSgprs: 42
; NumVgprs: 145
; ScratchSize: 0
; MemoryBound: 0
; FloatMode: 240
; IeeeMode: 1
; LDSByteSize: 256 bytes/workgroup (compile time only)
; SGPRBlocks: 0
; VGPRBlocks: 9
; NumSGPRsForWavesPerEU: 42
; NumVGPRsForWavesPerEU: 145
; NamedBarCnt: 0
; Occupancy: 6
; WaveLimiterHint : 1
; COMPUTE_PGM_RSRC2:SCRATCH_EN: 0
; COMPUTE_PGM_RSRC2:USER_SGPR: 2
; COMPUTE_PGM_RSRC2:TRAP_HANDLER: 0
; COMPUTE_PGM_RSRC2:TGID_X_EN: 1
; COMPUTE_PGM_RSRC2:TGID_Y_EN: 0
; COMPUTE_PGM_RSRC2:TGID_Z_EN: 0
; COMPUTE_PGM_RSRC2:TIDIG_COMP_CNT: 0
	.section	.text._ZN9rocsolver6v33100L18trti2_kernel_smallILi33EfPKPfEEv13rocblas_fill_17rocblas_diagonal_T1_iil,"axG",@progbits,_ZN9rocsolver6v33100L18trti2_kernel_smallILi33EfPKPfEEv13rocblas_fill_17rocblas_diagonal_T1_iil,comdat
	.globl	_ZN9rocsolver6v33100L18trti2_kernel_smallILi33EfPKPfEEv13rocblas_fill_17rocblas_diagonal_T1_iil ; -- Begin function _ZN9rocsolver6v33100L18trti2_kernel_smallILi33EfPKPfEEv13rocblas_fill_17rocblas_diagonal_T1_iil
	.p2align	8
	.type	_ZN9rocsolver6v33100L18trti2_kernel_smallILi33EfPKPfEEv13rocblas_fill_17rocblas_diagonal_T1_iil,@function
_ZN9rocsolver6v33100L18trti2_kernel_smallILi33EfPKPfEEv13rocblas_fill_17rocblas_diagonal_T1_iil: ; @_ZN9rocsolver6v33100L18trti2_kernel_smallILi33EfPKPfEEv13rocblas_fill_17rocblas_diagonal_T1_iil
; %bb.0:
	v_and_b32_e32 v98, 0x3ff, v0
	s_mov_b32 s4, exec_lo
	s_delay_alu instid0(VALU_DEP_1)
	v_cmpx_gt_u32_e32 33, v98
	s_cbranch_execz .LBB96_630
; %bb.1:
	s_load_b64 s[10:11], s[0:1], 0x4
	s_clause 0x1
	s_load_b64 s[8:9], s[2:3], 0x10
	s_load_b128 s[4:7], s[2:3], 0x0
	s_wait_xcnt 0x0
	s_bfe_u32 s0, ttmp6, 0x4000c
	s_and_b32 s2, ttmp6, 15
	s_add_co_i32 s0, s0, 1
	s_getreg_b32 s3, hwreg(HW_REG_IB_STS2, 6, 4)
	s_mul_i32 s0, ttmp9, s0
	v_bfe_u32 v1, v0, 10, 10
	s_add_co_i32 s2, s2, s0
	v_bfe_u32 v0, v0, 20, 10
	v_dual_mov_b32 v5, 0 :: v_dual_lshlrev_b32 v4, 2, v98
	v_mov_b32_e32 v69, -1.0
	s_wait_kmcnt 0x0
	s_lshr_b32 s10, s10, 16
	s_ashr_i32 s1, s8, 31
	s_cmp_eq_u32 s3, 0
	s_mov_b32 s0, s8
	s_cselect_b32 s2, ttmp9, s2
	s_lshl_b64 s[0:1], s[0:1], 2
	s_ashr_i32 s3, s2, 31
	s_mul_i32 s10, s10, s11
	s_lshl_b64 s[2:3], s[2:3], 3
	v_mul_u32_u24_e32 v2, s10, v98
	s_add_nc_u64 s[2:3], s[6:7], s[2:3]
	v_mul_u32_u24_e32 v1, s11, v1
	s_load_b64 s[2:3], s[2:3], 0x0
	s_delay_alu instid0(VALU_DEP_1) | instskip(NEXT) | instid1(VALU_DEP_1)
	v_add3_u32 v68, v2, v1, v0
	v_mul_lo_u32 v99, 0x84, v68
	s_wait_kmcnt 0x0
	s_add_nc_u64 s[2:3], s[2:3], s[0:1]
	s_ashr_i32 s1, s9, 31
	flat_load_b32 v6, v98, s[2:3] scale_offset
	v_add_nc_u64_e32 v[0:1], s[2:3], v[4:5]
	s_mov_b32 s0, s9
	s_cmp_lg_u32 s5, 0x84
	s_cselect_b32 s6, -1, 0
	s_cmp_eq_u32 s5, 0x84
	s_delay_alu instid0(VALU_DEP_1) | instskip(SKIP_4) | instid1(VALU_DEP_1)
	v_lshl_add_u64 v[2:3], s[0:1], 2, v[0:1]
	s_wait_loadcnt_dscnt 0x0
	ds_store_b32 v99, v6 offset:288
	flat_load_b32 v5, v[2:3]
	v_add3_u32 v6, s9, s9, v98
	v_add_nc_u32_e32 v8, s9, v6
	s_delay_alu instid0(VALU_DEP_1) | instskip(NEXT) | instid1(VALU_DEP_1)
	v_add_nc_u32_e32 v10, s9, v8
	v_add_nc_u32_e32 v12, s9, v10
	s_delay_alu instid0(VALU_DEP_1) | instskip(NEXT) | instid1(VALU_DEP_1)
	v_dual_add_nc_u32 v14, s9, v12 :: v_dual_ashrrev_i32 v7, 31, v6
	v_dual_ashrrev_i32 v9, 31, v8 :: v_dual_add_nc_u32 v16, s9, v14
	s_delay_alu instid0(VALU_DEP_1) | instskip(SKIP_1) | instid1(VALU_DEP_1)
	v_dual_ashrrev_i32 v15, 31, v14 :: v_dual_ashrrev_i32 v17, 31, v16
	v_dual_add_nc_u32 v18, s9, v16 :: v_dual_ashrrev_i32 v11, 31, v10
	v_dual_ashrrev_i32 v13, 31, v12 :: v_dual_add_nc_u32 v20, s9, v18
	s_delay_alu instid0(VALU_DEP_1) | instskip(NEXT) | instid1(VALU_DEP_1)
	v_add_nc_u32_e32 v22, s9, v20
	v_add_nc_u32_e32 v24, s9, v22
	s_delay_alu instid0(VALU_DEP_1) | instskip(NEXT) | instid1(VALU_DEP_1)
	v_dual_add_nc_u32 v26, s9, v24 :: v_dual_ashrrev_i32 v19, 31, v18
	v_dual_ashrrev_i32 v21, 31, v20 :: v_dual_add_nc_u32 v28, s9, v26
	s_delay_alu instid0(VALU_DEP_1) | instskip(SKIP_1) | instid1(VALU_DEP_1)
	v_dual_ashrrev_i32 v27, 31, v26 :: v_dual_ashrrev_i32 v29, 31, v28
	v_dual_add_nc_u32 v30, s9, v28 :: v_dual_ashrrev_i32 v23, 31, v22
	v_dual_ashrrev_i32 v25, 31, v24 :: v_dual_add_nc_u32 v32, s9, v30
	;; [unrolled: 10-line block ×4, first 2 shown]
	s_delay_alu instid0(VALU_DEP_1) | instskip(NEXT) | instid1(VALU_DEP_1)
	v_add_nc_u32_e32 v58, s9, v56
	v_add_nc_u32_e32 v60, s9, v58
	s_delay_alu instid0(VALU_DEP_1) | instskip(NEXT) | instid1(VALU_DEP_1)
	v_dual_add_nc_u32 v62, s9, v60 :: v_dual_ashrrev_i32 v55, 31, v54
	v_dual_ashrrev_i32 v57, 31, v56 :: v_dual_add_nc_u32 v64, s9, v62
	s_delay_alu instid0(VALU_DEP_1) | instskip(SKIP_1) | instid1(VALU_DEP_1)
	v_dual_ashrrev_i32 v63, 31, v62 :: v_dual_ashrrev_i32 v65, 31, v64
	v_dual_add_nc_u32 v66, s9, v64 :: v_dual_ashrrev_i32 v59, 31, v58
	v_dual_ashrrev_i32 v61, 31, v60 :: v_dual_ashrrev_i32 v67, 31, v66
	s_wait_loadcnt_dscnt 0x0
	ds_store_b32 v99, v5 offset:292
	flat_load_b32 v5, v6, s[2:3] scale_offset
	s_wait_loadcnt_dscnt 0x0
	ds_store_b32 v99, v5 offset:296
	flat_load_b32 v5, v8, s[2:3] scale_offset
	;; [unrolled: 3-line block ×31, first 2 shown]
	v_add_nc_u32_e32 v5, 0x120, v99
	s_wait_loadcnt_dscnt 0x0
	ds_store_b32 v99, v70 offset:416
	s_cbranch_scc1 .LBB96_3
; %bb.2:
	v_lshl_add_u32 v70, v98, 2, v5
	ds_load_b32 v69, v70
	s_wait_dscnt 0x0
	v_div_scale_f32 v71, null, v69, v69, 1.0
	s_delay_alu instid0(VALU_DEP_1) | instskip(SKIP_1) | instid1(TRANS32_DEP_1)
	v_rcp_f32_e32 v72, v71
	v_nop
	v_fma_f32 v73, -v71, v72, 1.0
	s_delay_alu instid0(VALU_DEP_1) | instskip(SKIP_1) | instid1(VALU_DEP_1)
	v_fmac_f32_e32 v72, v73, v72
	v_div_scale_f32 v73, vcc_lo, 1.0, v69, 1.0
	v_mul_f32_e32 v74, v73, v72
	s_delay_alu instid0(VALU_DEP_1) | instskip(NEXT) | instid1(VALU_DEP_1)
	v_fma_f32 v75, -v71, v74, v73
	v_fmac_f32_e32 v74, v75, v72
	s_delay_alu instid0(VALU_DEP_1) | instskip(NEXT) | instid1(VALU_DEP_1)
	v_fma_f32 v71, -v71, v74, v73
	v_div_fmas_f32 v71, v71, v72, v74
	s_delay_alu instid0(VALU_DEP_1) | instskip(NEXT) | instid1(VALU_DEP_1)
	v_div_fixup_f32 v71, v71, v69, 1.0
	v_xor_b32_e32 v69, 0x80000000, v71
	ds_store_b32 v70, v71
.LBB96_3:
	v_add_nc_u32_e32 v100, 0x90, v4
	v_add_nc_u32_e32 v101, v5, v4
	s_cmp_eq_u32 s4, 0x79
	s_mov_b32 s1, -1
	ds_store_b32 v4, v69
	s_cbranch_scc1 .LBB96_317
; %bb.4:
	ds_load_b32 v69, v5 offset:124
	v_cmp_eq_u32_e64 s0, 32, v98
	s_wait_dscnt 0x0
	ds_store_b32 v100, v69
	s_wait_dscnt 0x0
	s_barrier_signal -1
	s_barrier_wait -1
	s_and_saveexec_b32 s1, s0
	s_cbranch_execz .LBB96_10
; %bb.5:
	s_and_b32 vcc_lo, exec_lo, s6
	s_cbranch_vccz .LBB96_7
; %bb.6:
	ds_load_b32 v69, v101
	ds_load_b32 v70, v100
	s_wait_dscnt 0x0
	v_mul_f32_e32 v69, v69, v70
	s_cbranch_execz .LBB96_8
	s_branch .LBB96_9
.LBB96_7:
                                        ; implicit-def: $vgpr69
.LBB96_8:
	ds_load_b32 v69, v100
.LBB96_9:
	v_mov_b32_e32 v70, 0
	ds_load_b32 v70, v70 offset:124
	s_wait_dscnt 0x0
	v_mul_f32_e32 v69, v69, v70
	ds_store_b32 v5, v69 offset:124
.LBB96_10:
	s_or_b32 exec_lo, exec_lo, s1
	ds_load_b32 v69, v5 offset:120
	v_cmp_lt_u32_e64 s1, 30, v98
	s_wait_dscnt 0x0
	ds_store_b32 v100, v69
	s_wait_dscnt 0x0
	s_barrier_signal -1
	s_barrier_wait -1
	s_and_saveexec_b32 s4, s1
	s_cbranch_execz .LBB96_16
; %bb.11:
	s_and_not1_b32 vcc_lo, exec_lo, s6
	s_cbranch_vccnz .LBB96_13
; %bb.12:
	ds_load_b32 v69, v101
	ds_load_b32 v70, v100
	s_wait_dscnt 0x0
	v_mul_f32_e32 v69, v69, v70
	s_cbranch_execz .LBB96_14
	s_branch .LBB96_15
.LBB96_13:
                                        ; implicit-def: $vgpr69
.LBB96_14:
	ds_load_b32 v69, v100
.LBB96_15:
	v_mov_b32_e32 v70, 0
	ds_load_b32 v72, v5 offset:124
	ds_load_2addr_b32 v[70:71], v70 offset0:30 offset1:67
	s_wait_dscnt 0x0
	v_fma_f32 v71, v72, v71, v69
	s_delay_alu instid0(VALU_DEP_1) | instskip(NEXT) | instid1(VALU_DEP_1)
	v_cndmask_b32_e64 v69, v69, v71, s0
	v_mul_f32_e32 v69, v69, v70
	ds_store_b32 v5, v69 offset:120
.LBB96_16:
	s_or_b32 exec_lo, exec_lo, s4
	ds_load_b32 v69, v5 offset:116
	v_cmp_lt_u32_e64 s0, 29, v98
	s_wait_dscnt 0x0
	ds_store_b32 v100, v69
	s_wait_dscnt 0x0
	s_barrier_signal -1
	s_barrier_wait -1
	s_and_saveexec_b32 s4, s0
	s_cbranch_execz .LBB96_26
; %bb.17:
	s_and_not1_b32 vcc_lo, exec_lo, s6
	s_cbranch_vccnz .LBB96_19
; %bb.18:
	ds_load_b32 v69, v101
	ds_load_b32 v70, v100
	s_wait_dscnt 0x0
	v_mul_f32_e32 v69, v69, v70
	s_cbranch_execz .LBB96_20
	s_branch .LBB96_21
.LBB96_19:
                                        ; implicit-def: $vgpr69
.LBB96_20:
	ds_load_b32 v69, v100
.LBB96_21:
	s_and_saveexec_b32 s5, s1
	s_cbranch_execz .LBB96_25
; %bb.22:
	s_movk_i32 s1, 0x84
	v_subrev_nc_u32_e32 v71, 30, v98
	v_mad_u32 v70, v68, s1, 0x198
	s_movk_i32 s7, 0x108
	s_mov_b32 s1, 0
.LBB96_23:                              ; =>This Inner Loop Header: Depth=1
	s_delay_alu instid0(VALU_DEP_2)
	v_dual_mov_b32 v72, s7 :: v_dual_add_nc_u32 v71, -1, v71
	s_add_co_i32 s7, s7, 4
	ds_load_b32 v73, v70
	ds_load_b32 v72, v72
	v_add_nc_u32_e32 v70, 4, v70
	v_cmp_eq_u32_e32 vcc_lo, 0, v71
	s_or_b32 s1, vcc_lo, s1
	s_wait_dscnt 0x0
	v_fmac_f32_e32 v69, v73, v72
	s_and_not1_b32 exec_lo, exec_lo, s1
	s_cbranch_execnz .LBB96_23
; %bb.24:
	s_or_b32 exec_lo, exec_lo, s1
.LBB96_25:
	s_delay_alu instid0(SALU_CYCLE_1)
	s_or_b32 exec_lo, exec_lo, s5
	v_mov_b32_e32 v70, 0
	ds_load_b32 v70, v70 offset:116
	s_wait_dscnt 0x0
	v_mul_f32_e32 v69, v69, v70
	ds_store_b32 v5, v69 offset:116
.LBB96_26:
	s_or_b32 exec_lo, exec_lo, s4
	ds_load_b32 v69, v5 offset:112
	v_cmp_lt_u32_e64 s1, 28, v98
	s_wait_dscnt 0x0
	ds_store_b32 v100, v69
	s_wait_dscnt 0x0
	s_barrier_signal -1
	s_barrier_wait -1
	s_and_saveexec_b32 s4, s1
	s_cbranch_execz .LBB96_36
; %bb.27:
	s_and_not1_b32 vcc_lo, exec_lo, s6
	s_cbranch_vccnz .LBB96_29
; %bb.28:
	ds_load_b32 v69, v101
	ds_load_b32 v70, v100
	s_wait_dscnt 0x0
	v_mul_f32_e32 v69, v69, v70
	s_cbranch_execz .LBB96_30
	s_branch .LBB96_31
.LBB96_29:
                                        ; implicit-def: $vgpr69
.LBB96_30:
	ds_load_b32 v69, v100
.LBB96_31:
	s_and_saveexec_b32 s5, s0
	s_cbranch_execz .LBB96_35
; %bb.32:
	s_movk_i32 s0, 0x84
	v_subrev_nc_u32_e32 v71, 29, v98
	v_mad_u32 v70, v68, s0, 0x194
	s_movk_i32 s7, 0x104
	s_mov_b32 s0, 0
.LBB96_33:                              ; =>This Inner Loop Header: Depth=1
	s_delay_alu instid0(VALU_DEP_2)
	v_dual_mov_b32 v72, s7 :: v_dual_add_nc_u32 v71, -1, v71
	s_add_co_i32 s7, s7, 4
	ds_load_b32 v73, v70
	ds_load_b32 v72, v72
	v_add_nc_u32_e32 v70, 4, v70
	v_cmp_eq_u32_e32 vcc_lo, 0, v71
	s_or_b32 s0, vcc_lo, s0
	s_wait_dscnt 0x0
	v_fmac_f32_e32 v69, v73, v72
	s_and_not1_b32 exec_lo, exec_lo, s0
	s_cbranch_execnz .LBB96_33
; %bb.34:
	s_or_b32 exec_lo, exec_lo, s0
.LBB96_35:
	s_delay_alu instid0(SALU_CYCLE_1)
	s_or_b32 exec_lo, exec_lo, s5
	v_mov_b32_e32 v70, 0
	ds_load_b32 v70, v70 offset:112
	s_wait_dscnt 0x0
	v_mul_f32_e32 v69, v69, v70
	ds_store_b32 v5, v69 offset:112
.LBB96_36:
	;; [unrolled: 57-line block ×8, first 2 shown]
	s_or_b32 exec_lo, exec_lo, s4
	ds_load_b32 v69, v5 offset:84
	v_cmp_lt_u32_e64 s0, 21, v98
	s_wait_dscnt 0x0
	ds_store_b32 v100, v69
	s_wait_dscnt 0x0
	s_barrier_signal -1
	s_barrier_wait -1
	s_and_saveexec_b32 s4, s0
	s_cbranch_execz .LBB96_106
; %bb.97:
	s_and_not1_b32 vcc_lo, exec_lo, s6
	s_cbranch_vccnz .LBB96_99
; %bb.98:
	ds_load_b32 v69, v101
	ds_load_b32 v70, v100
	s_wait_dscnt 0x0
	v_mul_f32_e32 v69, v69, v70
	s_cbranch_execz .LBB96_100
	s_branch .LBB96_101
.LBB96_99:
                                        ; implicit-def: $vgpr69
.LBB96_100:
	ds_load_b32 v69, v100
.LBB96_101:
	s_and_saveexec_b32 s5, s1
	s_cbranch_execz .LBB96_105
; %bb.102:
	s_movk_i32 s1, 0x84
	v_subrev_nc_u32_e32 v71, 22, v98
	v_mad_u32 v70, v68, s1, 0x178
	s_movk_i32 s7, 0xe8
	s_mov_b32 s1, 0
.LBB96_103:                             ; =>This Inner Loop Header: Depth=1
	s_delay_alu instid0(VALU_DEP_2)
	v_dual_mov_b32 v72, s7 :: v_dual_add_nc_u32 v71, -1, v71
	s_add_co_i32 s7, s7, 4
	ds_load_b32 v73, v70
	ds_load_b32 v72, v72
	v_add_nc_u32_e32 v70, 4, v70
	v_cmp_eq_u32_e32 vcc_lo, 0, v71
	s_or_b32 s1, vcc_lo, s1
	s_wait_dscnt 0x0
	v_fmac_f32_e32 v69, v73, v72
	s_and_not1_b32 exec_lo, exec_lo, s1
	s_cbranch_execnz .LBB96_103
; %bb.104:
	s_or_b32 exec_lo, exec_lo, s1
.LBB96_105:
	s_delay_alu instid0(SALU_CYCLE_1)
	s_or_b32 exec_lo, exec_lo, s5
	v_mov_b32_e32 v70, 0
	ds_load_b32 v70, v70 offset:84
	s_wait_dscnt 0x0
	v_mul_f32_e32 v69, v69, v70
	ds_store_b32 v5, v69 offset:84
.LBB96_106:
	s_or_b32 exec_lo, exec_lo, s4
	ds_load_b32 v69, v5 offset:80
	v_cmp_lt_u32_e64 s1, 20, v98
	s_wait_dscnt 0x0
	ds_store_b32 v100, v69
	s_wait_dscnt 0x0
	s_barrier_signal -1
	s_barrier_wait -1
	s_and_saveexec_b32 s4, s1
	s_cbranch_execz .LBB96_116
; %bb.107:
	s_and_not1_b32 vcc_lo, exec_lo, s6
	s_cbranch_vccnz .LBB96_109
; %bb.108:
	ds_load_b32 v69, v101
	ds_load_b32 v70, v100
	s_wait_dscnt 0x0
	v_mul_f32_e32 v69, v69, v70
	s_cbranch_execz .LBB96_110
	s_branch .LBB96_111
.LBB96_109:
                                        ; implicit-def: $vgpr69
.LBB96_110:
	ds_load_b32 v69, v100
.LBB96_111:
	s_and_saveexec_b32 s5, s0
	s_cbranch_execz .LBB96_115
; %bb.112:
	s_movk_i32 s0, 0x84
	v_subrev_nc_u32_e32 v71, 21, v98
	v_mad_u32 v70, v68, s0, 0x174
	s_movk_i32 s7, 0xe4
	s_mov_b32 s0, 0
.LBB96_113:                             ; =>This Inner Loop Header: Depth=1
	s_delay_alu instid0(VALU_DEP_2)
	v_dual_mov_b32 v72, s7 :: v_dual_add_nc_u32 v71, -1, v71
	s_add_co_i32 s7, s7, 4
	ds_load_b32 v73, v70
	ds_load_b32 v72, v72
	v_add_nc_u32_e32 v70, 4, v70
	v_cmp_eq_u32_e32 vcc_lo, 0, v71
	s_or_b32 s0, vcc_lo, s0
	s_wait_dscnt 0x0
	v_fmac_f32_e32 v69, v73, v72
	s_and_not1_b32 exec_lo, exec_lo, s0
	s_cbranch_execnz .LBB96_113
; %bb.114:
	s_or_b32 exec_lo, exec_lo, s0
.LBB96_115:
	s_delay_alu instid0(SALU_CYCLE_1)
	s_or_b32 exec_lo, exec_lo, s5
	v_mov_b32_e32 v70, 0
	ds_load_b32 v70, v70 offset:80
	s_wait_dscnt 0x0
	v_mul_f32_e32 v69, v69, v70
	ds_store_b32 v5, v69 offset:80
.LBB96_116:
	;; [unrolled: 57-line block ×6, first 2 shown]
	s_or_b32 exec_lo, exec_lo, s4
	ds_load_b32 v69, v5 offset:60
	v_cmp_lt_u32_e64 s0, 15, v98
	s_wait_dscnt 0x0
	ds_store_b32 v100, v69
	s_wait_dscnt 0x0
	s_barrier_signal -1
	s_barrier_wait -1
	s_and_saveexec_b32 s4, s0
	s_cbranch_execz .LBB96_166
; %bb.157:
	s_and_not1_b32 vcc_lo, exec_lo, s6
	s_cbranch_vccnz .LBB96_159
; %bb.158:
	ds_load_b32 v69, v101
	ds_load_b32 v70, v100
	s_wait_dscnt 0x0
	v_mul_f32_e32 v69, v69, v70
	s_cbranch_execz .LBB96_160
	s_branch .LBB96_161
.LBB96_159:
                                        ; implicit-def: $vgpr69
.LBB96_160:
	ds_load_b32 v69, v100
.LBB96_161:
	s_and_saveexec_b32 s5, s1
	s_cbranch_execz .LBB96_165
; %bb.162:
	s_movk_i32 s1, 0x84
	v_add_nc_u32_e32 v71, -16, v98
	v_mad_u32 v70, v68, s1, 0x160
	s_movk_i32 s7, 0xd0
	s_mov_b32 s1, 0
.LBB96_163:                             ; =>This Inner Loop Header: Depth=1
	s_delay_alu instid0(VALU_DEP_2)
	v_dual_mov_b32 v72, s7 :: v_dual_add_nc_u32 v71, -1, v71
	s_add_co_i32 s7, s7, 4
	ds_load_b32 v73, v70
	ds_load_b32 v72, v72
	v_add_nc_u32_e32 v70, 4, v70
	v_cmp_eq_u32_e32 vcc_lo, 0, v71
	s_or_b32 s1, vcc_lo, s1
	s_wait_dscnt 0x0
	v_fmac_f32_e32 v69, v73, v72
	s_and_not1_b32 exec_lo, exec_lo, s1
	s_cbranch_execnz .LBB96_163
; %bb.164:
	s_or_b32 exec_lo, exec_lo, s1
.LBB96_165:
	s_delay_alu instid0(SALU_CYCLE_1)
	s_or_b32 exec_lo, exec_lo, s5
	v_mov_b32_e32 v70, 0
	ds_load_b32 v70, v70 offset:60
	s_wait_dscnt 0x0
	v_mul_f32_e32 v69, v69, v70
	ds_store_b32 v5, v69 offset:60
.LBB96_166:
	s_or_b32 exec_lo, exec_lo, s4
	ds_load_b32 v69, v5 offset:56
	v_cmp_lt_u32_e64 s1, 14, v98
	s_wait_dscnt 0x0
	ds_store_b32 v100, v69
	s_wait_dscnt 0x0
	s_barrier_signal -1
	s_barrier_wait -1
	s_and_saveexec_b32 s4, s1
	s_cbranch_execz .LBB96_176
; %bb.167:
	s_and_not1_b32 vcc_lo, exec_lo, s6
	s_cbranch_vccnz .LBB96_169
; %bb.168:
	ds_load_b32 v69, v101
	ds_load_b32 v70, v100
	s_wait_dscnt 0x0
	v_mul_f32_e32 v69, v69, v70
	s_cbranch_execz .LBB96_170
	s_branch .LBB96_171
.LBB96_169:
                                        ; implicit-def: $vgpr69
.LBB96_170:
	ds_load_b32 v69, v100
.LBB96_171:
	s_and_saveexec_b32 s5, s0
	s_cbranch_execz .LBB96_175
; %bb.172:
	s_movk_i32 s0, 0x84
	v_add_nc_u32_e32 v71, -15, v98
	v_mad_u32 v70, v68, s0, 0x15c
	s_movk_i32 s7, 0xcc
	s_mov_b32 s0, 0
.LBB96_173:                             ; =>This Inner Loop Header: Depth=1
	s_delay_alu instid0(VALU_DEP_2)
	v_dual_mov_b32 v72, s7 :: v_dual_add_nc_u32 v71, -1, v71
	s_add_co_i32 s7, s7, 4
	ds_load_b32 v73, v70
	ds_load_b32 v72, v72
	v_add_nc_u32_e32 v70, 4, v70
	v_cmp_eq_u32_e32 vcc_lo, 0, v71
	s_or_b32 s0, vcc_lo, s0
	s_wait_dscnt 0x0
	v_fmac_f32_e32 v69, v73, v72
	s_and_not1_b32 exec_lo, exec_lo, s0
	s_cbranch_execnz .LBB96_173
; %bb.174:
	s_or_b32 exec_lo, exec_lo, s0
.LBB96_175:
	s_delay_alu instid0(SALU_CYCLE_1)
	s_or_b32 exec_lo, exec_lo, s5
	v_mov_b32_e32 v70, 0
	ds_load_b32 v70, v70 offset:56
	s_wait_dscnt 0x0
	v_mul_f32_e32 v69, v69, v70
	ds_store_b32 v5, v69 offset:56
.LBB96_176:
	;; [unrolled: 57-line block ×15, first 2 shown]
	s_or_b32 exec_lo, exec_lo, s4
	ds_load_b32 v69, v5
	s_mov_b32 s1, 0
	s_mov_b32 s4, exec_lo
	s_wait_dscnt 0x0
	ds_store_b32 v100, v69
	s_wait_dscnt 0x0
	s_barrier_signal -1
	s_barrier_wait -1
	v_cmpx_ne_u32_e32 0, v98
	s_cbranch_execz .LBB96_316
; %bb.307:
	s_and_not1_b32 vcc_lo, exec_lo, s6
	s_cbranch_vccnz .LBB96_309
; %bb.308:
	ds_load_b32 v69, v101
	ds_load_b32 v70, v100
	s_wait_dscnt 0x0
	v_mul_f32_e32 v69, v69, v70
	s_cbranch_execz .LBB96_310
	s_branch .LBB96_311
.LBB96_309:
                                        ; implicit-def: $vgpr69
.LBB96_310:
	ds_load_b32 v69, v100
.LBB96_311:
	s_and_saveexec_b32 s5, s0
	s_cbranch_execz .LBB96_315
; %bb.312:
	s_movk_i32 s0, 0x84
	v_add_nc_u32_e32 v70, -1, v98
	v_mad_u32 v68, v68, s0, 0x124
	s_movk_i32 s7, 0x94
	s_mov_b32 s0, 0
.LBB96_313:                             ; =>This Inner Loop Header: Depth=1
	s_delay_alu instid0(VALU_DEP_2)
	v_dual_mov_b32 v71, s7 :: v_dual_add_nc_u32 v70, -1, v70
	s_add_co_i32 s7, s7, 4
	ds_load_b32 v72, v68
	ds_load_b32 v71, v71
	v_add_nc_u32_e32 v68, 4, v68
	v_cmp_eq_u32_e32 vcc_lo, 0, v70
	s_or_b32 s0, vcc_lo, s0
	s_wait_dscnt 0x0
	v_fmac_f32_e32 v69, v72, v71
	s_and_not1_b32 exec_lo, exec_lo, s0
	s_cbranch_execnz .LBB96_313
; %bb.314:
	s_or_b32 exec_lo, exec_lo, s0
.LBB96_315:
	s_delay_alu instid0(SALU_CYCLE_1)
	s_or_b32 exec_lo, exec_lo, s5
	v_mov_b32_e32 v68, 0
	ds_load_b32 v68, v68
	s_wait_dscnt 0x0
	v_mul_f32_e32 v68, v69, v68
	ds_store_b32 v5, v68
.LBB96_316:
	s_or_b32 exec_lo, exec_lo, s4
.LBB96_317:
	v_lshl_add_u64 v[96:97], v[6:7], 2, s[2:3]
	v_lshl_add_u64 v[94:95], v[8:9], 2, s[2:3]
	;; [unrolled: 1-line block ×31, first 2 shown]
	s_and_b32 vcc_lo, exec_lo, s1
	s_cbranch_vccz .LBB96_629
; %bb.318:
	ds_load_b32 v38, v5 offset:4
	v_cmp_eq_u32_e64 s0, 0, v98
	s_wait_dscnt 0x0
	ds_store_b32 v100, v38
	s_wait_dscnt 0x0
	s_barrier_signal -1
	s_barrier_wait -1
	s_and_saveexec_b32 s1, s0
	s_cbranch_execz .LBB96_324
; %bb.319:
	s_and_b32 vcc_lo, exec_lo, s6
	s_cbranch_vccz .LBB96_321
; %bb.320:
	ds_load_b32 v38, v101
	ds_load_b32 v39, v100
	s_wait_dscnt 0x0
	v_mul_f32_e32 v38, v38, v39
	s_cbranch_execz .LBB96_322
	s_branch .LBB96_323
.LBB96_321:
                                        ; implicit-def: $vgpr38
.LBB96_322:
	ds_load_b32 v38, v100
.LBB96_323:
	v_mov_b32_e32 v39, 0
	ds_load_b32 v39, v39 offset:4
	s_wait_dscnt 0x0
	v_mul_f32_e32 v38, v38, v39
	ds_store_b32 v5, v38 offset:4
.LBB96_324:
	s_or_b32 exec_lo, exec_lo, s1
	ds_load_b32 v39, v5 offset:8
	v_cndmask_b32_e64 v38, 0, 1, s6
	s_mov_b32 s1, exec_lo
	s_wait_dscnt 0x0
	ds_store_b32 v100, v39
	s_wait_dscnt 0x0
	s_barrier_signal -1
	s_barrier_wait -1
	v_cmpx_gt_u32_e32 2, v98
	s_cbranch_execz .LBB96_330
; %bb.325:
	s_and_not1_b32 vcc_lo, exec_lo, s6
	s_cbranch_vccnz .LBB96_327
; %bb.326:
	ds_load_b32 v39, v101
	ds_load_b32 v40, v100
	s_wait_dscnt 0x0
	v_mul_f32_e32 v39, v39, v40
	s_cbranch_execz .LBB96_328
	s_branch .LBB96_329
.LBB96_327:
                                        ; implicit-def: $vgpr39
.LBB96_328:
	ds_load_b32 v39, v100
.LBB96_329:
	v_mov_b32_e32 v40, 0
	ds_load_b32 v42, v5 offset:4
	ds_load_2addr_b32 v[40:41], v40 offset0:2 offset1:37
	s_wait_dscnt 0x0
	v_fma_f32 v41, v42, v41, v39
	s_delay_alu instid0(VALU_DEP_1) | instskip(NEXT) | instid1(VALU_DEP_1)
	v_cndmask_b32_e64 v39, v39, v41, s0
	v_mul_f32_e32 v39, v39, v40
	ds_store_b32 v5, v39 offset:8
.LBB96_330:
	s_or_b32 exec_lo, exec_lo, s1
	ds_load_b32 v39, v5 offset:12
	s_mov_b32 s1, exec_lo
	s_wait_dscnt 0x0
	ds_store_b32 v100, v39
	s_wait_dscnt 0x0
	s_barrier_signal -1
	s_barrier_wait -1
	v_cmpx_gt_u32_e32 3, v98
	s_cbranch_execz .LBB96_338
; %bb.331:
	v_cmp_ne_u32_e32 vcc_lo, 1, v38
	s_cbranch_vccnz .LBB96_333
; %bb.332:
	ds_load_b32 v39, v101
	ds_load_b32 v40, v100
	s_wait_dscnt 0x0
	v_mul_f32_e32 v39, v39, v40
	s_cbranch_execz .LBB96_334
	s_branch .LBB96_335
.LBB96_333:
                                        ; implicit-def: $vgpr39
.LBB96_334:
	ds_load_b32 v39, v100
.LBB96_335:
	s_mov_b32 s2, exec_lo
	v_cmpx_ne_u32_e32 2, v98
	s_cbranch_execz .LBB96_337
; %bb.336:
	ds_load_b32 v40, v101 offset:4
	ds_load_b32 v41, v100 offset:4
	s_wait_dscnt 0x0
	v_dual_mov_b32 v42, 0 :: v_dual_fmac_f32 v39, v40, v41
	ds_load_b32 v43, v5 offset:8
	ds_load_b32 v42, v42 offset:152
	s_wait_dscnt 0x0
	v_fma_f32 v40, v43, v42, v39
	s_delay_alu instid0(VALU_DEP_1)
	v_cndmask_b32_e64 v39, v39, v40, s0
.LBB96_337:
	s_or_b32 exec_lo, exec_lo, s2
	v_mov_b32_e32 v40, 0
	ds_load_b32 v40, v40 offset:12
	s_wait_dscnt 0x0
	v_mul_f32_e32 v39, v39, v40
	ds_store_b32 v5, v39 offset:12
.LBB96_338:
	s_or_b32 exec_lo, exec_lo, s1
	ds_load_b32 v39, v5 offset:16
	s_mov_b32 s0, exec_lo
	s_wait_dscnt 0x0
	ds_store_b32 v100, v39
	s_wait_dscnt 0x0
	s_barrier_signal -1
	s_barrier_wait -1
	v_cmpx_gt_u32_e32 4, v98
	s_cbranch_execz .LBB96_348
; %bb.339:
	v_cmp_ne_u32_e32 vcc_lo, 1, v38
	s_cbranch_vccnz .LBB96_341
; %bb.340:
	ds_load_b32 v39, v101
	ds_load_b32 v40, v100
	s_wait_dscnt 0x0
	v_mul_f32_e32 v39, v39, v40
	s_cbranch_execz .LBB96_342
	s_branch .LBB96_343
.LBB96_341:
                                        ; implicit-def: $vgpr39
.LBB96_342:
	ds_load_b32 v39, v100
.LBB96_343:
	s_mov_b32 s1, exec_lo
	v_cmpx_ne_u32_e32 3, v98
	s_cbranch_execz .LBB96_347
; %bb.344:
	v_add_nc_u32_e32 v40, 0x94, v4
	v_add3_u32 v41, v99, v4, 0x124
	v_mov_b32_e32 v42, v98
	s_mov_b32 s2, 0
.LBB96_345:                             ; =>This Inner Loop Header: Depth=1
	ds_load_b32 v43, v41
	ds_load_b32 v44, v40
	v_dual_add_nc_u32 v42, 1, v42 :: v_dual_add_nc_u32 v40, 4, v40
	v_add_nc_u32_e32 v41, 4, v41
	s_delay_alu instid0(VALU_DEP_2)
	v_cmp_lt_u32_e32 vcc_lo, 2, v42
	s_or_b32 s2, vcc_lo, s2
	s_wait_dscnt 0x0
	v_fmac_f32_e32 v39, v43, v44
	s_and_not1_b32 exec_lo, exec_lo, s2
	s_cbranch_execnz .LBB96_345
; %bb.346:
	s_or_b32 exec_lo, exec_lo, s2
.LBB96_347:
	s_delay_alu instid0(SALU_CYCLE_1)
	s_or_b32 exec_lo, exec_lo, s1
	v_mov_b32_e32 v40, 0
	ds_load_b32 v40, v40 offset:16
	s_wait_dscnt 0x0
	v_mul_f32_e32 v39, v39, v40
	ds_store_b32 v5, v39 offset:16
.LBB96_348:
	s_or_b32 exec_lo, exec_lo, s0
	ds_load_b32 v39, v5 offset:20
	s_mov_b32 s0, exec_lo
	s_wait_dscnt 0x0
	ds_store_b32 v100, v39
	s_wait_dscnt 0x0
	s_barrier_signal -1
	s_barrier_wait -1
	v_cmpx_gt_u32_e32 5, v98
	s_cbranch_execz .LBB96_358
; %bb.349:
	v_cmp_ne_u32_e32 vcc_lo, 1, v38
	s_cbranch_vccnz .LBB96_351
; %bb.350:
	ds_load_b32 v39, v101
	ds_load_b32 v40, v100
	s_wait_dscnt 0x0
	v_mul_f32_e32 v39, v39, v40
	s_cbranch_execz .LBB96_352
	s_branch .LBB96_353
.LBB96_351:
                                        ; implicit-def: $vgpr39
.LBB96_352:
	ds_load_b32 v39, v100
.LBB96_353:
	s_mov_b32 s1, exec_lo
	v_cmpx_ne_u32_e32 4, v98
	s_cbranch_execz .LBB96_357
; %bb.354:
	v_add_nc_u32_e32 v40, 0x94, v4
	v_add3_u32 v41, v99, v4, 0x124
	v_mov_b32_e32 v42, v98
	s_mov_b32 s2, 0
.LBB96_355:                             ; =>This Inner Loop Header: Depth=1
	ds_load_b32 v43, v41
	ds_load_b32 v44, v40
	v_dual_add_nc_u32 v42, 1, v42 :: v_dual_add_nc_u32 v40, 4, v40
	v_add_nc_u32_e32 v41, 4, v41
	s_delay_alu instid0(VALU_DEP_2)
	v_cmp_lt_u32_e32 vcc_lo, 3, v42
	s_or_b32 s2, vcc_lo, s2
	s_wait_dscnt 0x0
	v_fmac_f32_e32 v39, v43, v44
	s_and_not1_b32 exec_lo, exec_lo, s2
	s_cbranch_execnz .LBB96_355
; %bb.356:
	s_or_b32 exec_lo, exec_lo, s2
.LBB96_357:
	s_delay_alu instid0(SALU_CYCLE_1)
	s_or_b32 exec_lo, exec_lo, s1
	v_mov_b32_e32 v40, 0
	ds_load_b32 v40, v40 offset:20
	s_wait_dscnt 0x0
	v_mul_f32_e32 v39, v39, v40
	ds_store_b32 v5, v39 offset:20
.LBB96_358:
	;; [unrolled: 56-line block ×27, first 2 shown]
	s_or_b32 exec_lo, exec_lo, s0
	ds_load_b32 v39, v5 offset:124
	v_cmp_gt_u32_e64 s0, 31, v98
	s_wait_dscnt 0x0
	ds_store_b32 v100, v39
	s_wait_dscnt 0x0
	s_barrier_signal -1
	s_barrier_wait -1
	s_and_saveexec_b32 s1, s0
	s_cbranch_execz .LBB96_618
; %bb.609:
	v_cmp_ne_u32_e32 vcc_lo, 1, v38
	s_cbranch_vccnz .LBB96_611
; %bb.610:
	ds_load_b32 v39, v101
	ds_load_b32 v40, v100
	s_wait_dscnt 0x0
	v_mul_f32_e32 v39, v39, v40
	s_cbranch_execz .LBB96_612
	s_branch .LBB96_613
.LBB96_611:
                                        ; implicit-def: $vgpr39
.LBB96_612:
	ds_load_b32 v39, v100
.LBB96_613:
	s_mov_b32 s2, exec_lo
	v_cmpx_ne_u32_e32 30, v98
	s_cbranch_execz .LBB96_617
; %bb.614:
	v_add_nc_u32_e32 v40, 0x94, v4
	v_add3_u32 v41, v99, v4, 0x124
	v_mov_b32_e32 v42, v98
	s_mov_b32 s3, 0
.LBB96_615:                             ; =>This Inner Loop Header: Depth=1
	ds_load_b32 v43, v41
	ds_load_b32 v44, v40
	v_dual_add_nc_u32 v42, 1, v42 :: v_dual_add_nc_u32 v40, 4, v40
	v_add_nc_u32_e32 v41, 4, v41
	s_delay_alu instid0(VALU_DEP_2)
	v_cmp_lt_u32_e32 vcc_lo, 29, v42
	s_or_b32 s3, vcc_lo, s3
	s_wait_dscnt 0x0
	v_fmac_f32_e32 v39, v43, v44
	s_and_not1_b32 exec_lo, exec_lo, s3
	s_cbranch_execnz .LBB96_615
; %bb.616:
	s_or_b32 exec_lo, exec_lo, s3
.LBB96_617:
	s_delay_alu instid0(SALU_CYCLE_1)
	s_or_b32 exec_lo, exec_lo, s2
	v_mov_b32_e32 v40, 0
	ds_load_b32 v40, v40 offset:124
	s_wait_dscnt 0x0
	v_mul_f32_e32 v39, v39, v40
	ds_store_b32 v5, v39 offset:124
.LBB96_618:
	s_or_b32 exec_lo, exec_lo, s1
	ds_load_b32 v39, v5 offset:128
	s_mov_b32 s1, exec_lo
	s_wait_dscnt 0x0
	ds_store_b32 v100, v39
	s_wait_dscnt 0x0
	s_barrier_signal -1
	s_barrier_wait -1
	v_cmpx_ne_u32_e32 32, v98
	s_cbranch_execz .LBB96_628
; %bb.619:
	v_cmp_ne_u32_e32 vcc_lo, 1, v38
	s_cbranch_vccnz .LBB96_621
; %bb.620:
	ds_load_b32 v38, v101
	ds_load_b32 v39, v100
	s_wait_dscnt 0x0
	v_mul_f32_e32 v38, v38, v39
	s_cbranch_execz .LBB96_622
	s_branch .LBB96_623
.LBB96_621:
                                        ; implicit-def: $vgpr38
.LBB96_622:
	ds_load_b32 v38, v100
.LBB96_623:
	s_and_saveexec_b32 s2, s0
	s_cbranch_execz .LBB96_627
; %bb.624:
	v_add_nc_u32_e32 v39, 0x94, v4
	v_add3_u32 v4, v99, v4, 0x124
	s_mov_b32 s0, 0
.LBB96_625:                             ; =>This Inner Loop Header: Depth=1
	ds_load_b32 v40, v4
	ds_load_b32 v41, v39
	v_dual_add_nc_u32 v98, 1, v98 :: v_dual_add_nc_u32 v39, 4, v39
	v_add_nc_u32_e32 v4, 4, v4
	s_delay_alu instid0(VALU_DEP_2)
	v_cmp_lt_u32_e32 vcc_lo, 30, v98
	s_or_b32 s0, vcc_lo, s0
	s_wait_dscnt 0x0
	v_fmac_f32_e32 v38, v40, v41
	s_and_not1_b32 exec_lo, exec_lo, s0
	s_cbranch_execnz .LBB96_625
; %bb.626:
	s_or_b32 exec_lo, exec_lo, s0
.LBB96_627:
	s_delay_alu instid0(SALU_CYCLE_1)
	s_or_b32 exec_lo, exec_lo, s2
	v_mov_b32_e32 v4, 0
	ds_load_b32 v4, v4 offset:128
	s_wait_dscnt 0x0
	v_mul_f32_e32 v4, v38, v4
	ds_store_b32 v5, v4 offset:128
.LBB96_628:
	s_or_b32 exec_lo, exec_lo, s1
.LBB96_629:
	ds_load_b32 v4, v5
	s_wait_dscnt 0x0
	flat_store_b32 v[0:1], v4
	s_wait_xcnt 0x0
	ds_load_b32 v0, v5 offset:4
	s_wait_dscnt 0x0
	flat_store_b32 v[2:3], v0
	s_wait_xcnt 0x0
	ds_load_b32 v0, v5 offset:8
	;; [unrolled: 4-line block ×32, first 2 shown]
	s_wait_dscnt 0x0
	flat_store_b32 v[6:7], v0
.LBB96_630:
	s_sendmsg sendmsg(MSG_DEALLOC_VGPRS)
	s_endpgm
	.section	.rodata,"a",@progbits
	.p2align	6, 0x0
	.amdhsa_kernel _ZN9rocsolver6v33100L18trti2_kernel_smallILi33EfPKPfEEv13rocblas_fill_17rocblas_diagonal_T1_iil
		.amdhsa_group_segment_fixed_size 8736
		.amdhsa_private_segment_fixed_size 0
		.amdhsa_kernarg_size 32
		.amdhsa_user_sgpr_count 4
		.amdhsa_user_sgpr_dispatch_ptr 1
		.amdhsa_user_sgpr_queue_ptr 0
		.amdhsa_user_sgpr_kernarg_segment_ptr 1
		.amdhsa_user_sgpr_dispatch_id 0
		.amdhsa_user_sgpr_kernarg_preload_length 0
		.amdhsa_user_sgpr_kernarg_preload_offset 0
		.amdhsa_user_sgpr_private_segment_size 0
		.amdhsa_wavefront_size32 1
		.amdhsa_uses_dynamic_stack 0
		.amdhsa_enable_private_segment 0
		.amdhsa_system_sgpr_workgroup_id_x 1
		.amdhsa_system_sgpr_workgroup_id_y 0
		.amdhsa_system_sgpr_workgroup_id_z 0
		.amdhsa_system_sgpr_workgroup_info 0
		.amdhsa_system_vgpr_workitem_id 2
		.amdhsa_next_free_vgpr 102
		.amdhsa_next_free_sgpr 12
		.amdhsa_named_barrier_count 0
		.amdhsa_reserve_vcc 1
		.amdhsa_float_round_mode_32 0
		.amdhsa_float_round_mode_16_64 0
		.amdhsa_float_denorm_mode_32 3
		.amdhsa_float_denorm_mode_16_64 3
		.amdhsa_fp16_overflow 0
		.amdhsa_memory_ordered 1
		.amdhsa_forward_progress 1
		.amdhsa_inst_pref_size 137
		.amdhsa_round_robin_scheduling 0
		.amdhsa_exception_fp_ieee_invalid_op 0
		.amdhsa_exception_fp_denorm_src 0
		.amdhsa_exception_fp_ieee_div_zero 0
		.amdhsa_exception_fp_ieee_overflow 0
		.amdhsa_exception_fp_ieee_underflow 0
		.amdhsa_exception_fp_ieee_inexact 0
		.amdhsa_exception_int_div_zero 0
	.end_amdhsa_kernel
	.section	.text._ZN9rocsolver6v33100L18trti2_kernel_smallILi33EfPKPfEEv13rocblas_fill_17rocblas_diagonal_T1_iil,"axG",@progbits,_ZN9rocsolver6v33100L18trti2_kernel_smallILi33EfPKPfEEv13rocblas_fill_17rocblas_diagonal_T1_iil,comdat
.Lfunc_end96:
	.size	_ZN9rocsolver6v33100L18trti2_kernel_smallILi33EfPKPfEEv13rocblas_fill_17rocblas_diagonal_T1_iil, .Lfunc_end96-_ZN9rocsolver6v33100L18trti2_kernel_smallILi33EfPKPfEEv13rocblas_fill_17rocblas_diagonal_T1_iil
                                        ; -- End function
	.set _ZN9rocsolver6v33100L18trti2_kernel_smallILi33EfPKPfEEv13rocblas_fill_17rocblas_diagonal_T1_iil.num_vgpr, 102
	.set _ZN9rocsolver6v33100L18trti2_kernel_smallILi33EfPKPfEEv13rocblas_fill_17rocblas_diagonal_T1_iil.num_agpr, 0
	.set _ZN9rocsolver6v33100L18trti2_kernel_smallILi33EfPKPfEEv13rocblas_fill_17rocblas_diagonal_T1_iil.numbered_sgpr, 12
	.set _ZN9rocsolver6v33100L18trti2_kernel_smallILi33EfPKPfEEv13rocblas_fill_17rocblas_diagonal_T1_iil.num_named_barrier, 0
	.set _ZN9rocsolver6v33100L18trti2_kernel_smallILi33EfPKPfEEv13rocblas_fill_17rocblas_diagonal_T1_iil.private_seg_size, 0
	.set _ZN9rocsolver6v33100L18trti2_kernel_smallILi33EfPKPfEEv13rocblas_fill_17rocblas_diagonal_T1_iil.uses_vcc, 1
	.set _ZN9rocsolver6v33100L18trti2_kernel_smallILi33EfPKPfEEv13rocblas_fill_17rocblas_diagonal_T1_iil.uses_flat_scratch, 0
	.set _ZN9rocsolver6v33100L18trti2_kernel_smallILi33EfPKPfEEv13rocblas_fill_17rocblas_diagonal_T1_iil.has_dyn_sized_stack, 0
	.set _ZN9rocsolver6v33100L18trti2_kernel_smallILi33EfPKPfEEv13rocblas_fill_17rocblas_diagonal_T1_iil.has_recursion, 0
	.set _ZN9rocsolver6v33100L18trti2_kernel_smallILi33EfPKPfEEv13rocblas_fill_17rocblas_diagonal_T1_iil.has_indirect_call, 0
	.section	.AMDGPU.csdata,"",@progbits
; Kernel info:
; codeLenInByte = 17516
; TotalNumSgprs: 14
; NumVgprs: 102
; ScratchSize: 0
; MemoryBound: 0
; FloatMode: 240
; IeeeMode: 1
; LDSByteSize: 8736 bytes/workgroup (compile time only)
; SGPRBlocks: 0
; VGPRBlocks: 6
; NumSGPRsForWavesPerEU: 14
; NumVGPRsForWavesPerEU: 102
; NamedBarCnt: 0
; Occupancy: 9
; WaveLimiterHint : 1
; COMPUTE_PGM_RSRC2:SCRATCH_EN: 0
; COMPUTE_PGM_RSRC2:USER_SGPR: 4
; COMPUTE_PGM_RSRC2:TRAP_HANDLER: 0
; COMPUTE_PGM_RSRC2:TGID_X_EN: 1
; COMPUTE_PGM_RSRC2:TGID_Y_EN: 0
; COMPUTE_PGM_RSRC2:TGID_Z_EN: 0
; COMPUTE_PGM_RSRC2:TIDIG_COMP_CNT: 2
	.section	.text._ZN9rocsolver6v33100L18trti2_kernel_smallILi34EfPKPfEEv13rocblas_fill_17rocblas_diagonal_T1_iil,"axG",@progbits,_ZN9rocsolver6v33100L18trti2_kernel_smallILi34EfPKPfEEv13rocblas_fill_17rocblas_diagonal_T1_iil,comdat
	.globl	_ZN9rocsolver6v33100L18trti2_kernel_smallILi34EfPKPfEEv13rocblas_fill_17rocblas_diagonal_T1_iil ; -- Begin function _ZN9rocsolver6v33100L18trti2_kernel_smallILi34EfPKPfEEv13rocblas_fill_17rocblas_diagonal_T1_iil
	.p2align	8
	.type	_ZN9rocsolver6v33100L18trti2_kernel_smallILi34EfPKPfEEv13rocblas_fill_17rocblas_diagonal_T1_iil,@function
_ZN9rocsolver6v33100L18trti2_kernel_smallILi34EfPKPfEEv13rocblas_fill_17rocblas_diagonal_T1_iil: ; @_ZN9rocsolver6v33100L18trti2_kernel_smallILi34EfPKPfEEv13rocblas_fill_17rocblas_diagonal_T1_iil
; %bb.0:
	v_and_b32_e32 v102, 0x3ff, v0
	s_mov_b32 s4, exec_lo
	s_delay_alu instid0(VALU_DEP_1)
	v_cmpx_gt_u32_e32 34, v102
	s_cbranch_execz .LBB97_650
; %bb.1:
	s_load_b64 s[10:11], s[0:1], 0x4
	s_clause 0x1
	s_load_b64 s[8:9], s[2:3], 0x10
	s_load_b128 s[4:7], s[2:3], 0x0
	s_wait_xcnt 0x0
	s_bfe_u32 s0, ttmp6, 0x4000c
	s_and_b32 s2, ttmp6, 15
	s_add_co_i32 s0, s0, 1
	s_getreg_b32 s3, hwreg(HW_REG_IB_STS2, 6, 4)
	s_mul_i32 s0, ttmp9, s0
	v_bfe_u32 v1, v0, 10, 10
	s_add_co_i32 s2, s2, s0
	v_bfe_u32 v0, v0, 20, 10
	v_dual_mov_b32 v5, 0 :: v_dual_lshlrev_b32 v4, 2, v102
	v_mov_b32_e32 v71, -1.0
	s_wait_kmcnt 0x0
	s_lshr_b32 s10, s10, 16
	s_ashr_i32 s1, s8, 31
	s_cmp_eq_u32 s3, 0
	s_mov_b32 s0, s8
	s_cselect_b32 s2, ttmp9, s2
	s_lshl_b64 s[0:1], s[0:1], 2
	s_ashr_i32 s3, s2, 31
	s_mul_i32 s10, s10, s11
	s_lshl_b64 s[2:3], s[2:3], 3
	v_mul_u32_u24_e32 v2, s10, v102
	s_add_nc_u64 s[2:3], s[6:7], s[2:3]
	v_mul_u32_u24_e32 v1, s11, v1
	s_load_b64 s[2:3], s[2:3], 0x0
	s_delay_alu instid0(VALU_DEP_1) | instskip(NEXT) | instid1(VALU_DEP_1)
	v_add3_u32 v70, v2, v1, v0
	v_mul_lo_u32 v103, 0x88, v70
	s_wait_kmcnt 0x0
	s_add_nc_u64 s[6:7], s[2:3], s[0:1]
	s_ashr_i32 s1, s9, 31
	flat_load_b32 v6, v102, s[6:7] scale_offset
	v_add_nc_u64_e32 v[0:1], s[6:7], v[4:5]
	s_mov_b32 s0, s9
	s_cmp_lg_u32 s5, 0x84
	s_cselect_b32 s3, -1, 0
	s_cmp_eq_u32 s5, 0x84
	s_delay_alu instid0(VALU_DEP_1) | instskip(SKIP_4) | instid1(VALU_DEP_1)
	v_lshl_add_u64 v[2:3], s[0:1], 2, v[0:1]
	s_wait_loadcnt_dscnt 0x0
	ds_store_b32 v103, v6 offset:288
	flat_load_b32 v5, v[2:3]
	v_add3_u32 v6, s9, s9, v102
	v_add_nc_u32_e32 v8, s9, v6
	s_delay_alu instid0(VALU_DEP_1) | instskip(NEXT) | instid1(VALU_DEP_1)
	v_add_nc_u32_e32 v10, s9, v8
	v_add_nc_u32_e32 v12, s9, v10
	s_delay_alu instid0(VALU_DEP_1) | instskip(NEXT) | instid1(VALU_DEP_1)
	v_add_nc_u32_e32 v14, s9, v12
	v_dual_ashrrev_i32 v9, 31, v8 :: v_dual_add_nc_u32 v16, s9, v14
	s_delay_alu instid0(VALU_DEP_1) | instskip(SKIP_1) | instid1(VALU_DEP_1)
	v_dual_ashrrev_i32 v11, 31, v10 :: v_dual_ashrrev_i32 v17, 31, v16
	v_dual_add_nc_u32 v18, s9, v16 :: v_dual_ashrrev_i32 v7, 31, v6
	v_dual_ashrrev_i32 v13, 31, v12 :: v_dual_add_nc_u32 v20, s9, v18
	s_delay_alu instid0(VALU_DEP_1) | instskip(NEXT) | instid1(VALU_DEP_1)
	v_add_nc_u32_e32 v22, s9, v20
	v_add_nc_u32_e32 v24, s9, v22
	s_delay_alu instid0(VALU_DEP_1) | instskip(NEXT) | instid1(VALU_DEP_1)
	v_dual_add_nc_u32 v26, s9, v24 :: v_dual_ashrrev_i32 v15, 31, v14
	v_dual_ashrrev_i32 v21, 31, v20 :: v_dual_add_nc_u32 v28, s9, v26
	s_delay_alu instid0(VALU_DEP_1) | instskip(SKIP_1) | instid1(VALU_DEP_1)
	v_dual_ashrrev_i32 v23, 31, v22 :: v_dual_ashrrev_i32 v29, 31, v28
	v_dual_add_nc_u32 v30, s9, v28 :: v_dual_ashrrev_i32 v19, 31, v18
	v_dual_ashrrev_i32 v25, 31, v24 :: v_dual_add_nc_u32 v32, s9, v30
	s_delay_alu instid0(VALU_DEP_1) | instskip(NEXT) | instid1(VALU_DEP_1)
	v_add_nc_u32_e32 v34, s9, v32
	v_add_nc_u32_e32 v36, s9, v34
	s_delay_alu instid0(VALU_DEP_1) | instskip(NEXT) | instid1(VALU_DEP_1)
	v_dual_add_nc_u32 v38, s9, v36 :: v_dual_ashrrev_i32 v27, 31, v26
	;; [unrolled: 10-line block ×4, first 2 shown]
	v_dual_ashrrev_i32 v57, 31, v56 :: v_dual_add_nc_u32 v64, s9, v62
	s_delay_alu instid0(VALU_DEP_1) | instskip(SKIP_1) | instid1(VALU_DEP_1)
	v_dual_ashrrev_i32 v59, 31, v58 :: v_dual_ashrrev_i32 v65, 31, v64
	v_dual_add_nc_u32 v66, s9, v64 :: v_dual_ashrrev_i32 v55, 31, v54
	v_dual_ashrrev_i32 v61, 31, v60 :: v_dual_add_nc_u32 v68, s9, v66
	v_ashrrev_i32_e32 v63, 31, v62
	s_delay_alu instid0(VALU_DEP_2)
	v_dual_ashrrev_i32 v67, 31, v66 :: v_dual_ashrrev_i32 v69, 31, v68
	s_wait_loadcnt_dscnt 0x0
	ds_store_b32 v103, v5 offset:292
	flat_load_b32 v5, v6, s[6:7] scale_offset
	s_wait_loadcnt_dscnt 0x0
	ds_store_b32 v103, v5 offset:296
	flat_load_b32 v5, v8, s[6:7] scale_offset
	;; [unrolled: 3-line block ×32, first 2 shown]
	v_add_nc_u32_e32 v5, 0x120, v103
	s_wait_loadcnt_dscnt 0x0
	ds_store_b32 v103, v72 offset:420
	s_cbranch_scc1 .LBB97_3
; %bb.2:
	v_lshl_add_u32 v72, v102, 2, v5
	ds_load_b32 v71, v72
	s_wait_dscnt 0x0
	v_div_scale_f32 v73, null, v71, v71, 1.0
	s_delay_alu instid0(VALU_DEP_1) | instskip(SKIP_1) | instid1(TRANS32_DEP_1)
	v_rcp_f32_e32 v74, v73
	v_nop
	v_fma_f32 v75, -v73, v74, 1.0
	s_delay_alu instid0(VALU_DEP_1) | instskip(SKIP_1) | instid1(VALU_DEP_1)
	v_fmac_f32_e32 v74, v75, v74
	v_div_scale_f32 v75, vcc_lo, 1.0, v71, 1.0
	v_mul_f32_e32 v76, v75, v74
	s_delay_alu instid0(VALU_DEP_1) | instskip(NEXT) | instid1(VALU_DEP_1)
	v_fma_f32 v77, -v73, v76, v75
	v_fmac_f32_e32 v76, v77, v74
	s_delay_alu instid0(VALU_DEP_1) | instskip(NEXT) | instid1(VALU_DEP_1)
	v_fma_f32 v73, -v73, v76, v75
	v_div_fmas_f32 v73, v73, v74, v76
	s_delay_alu instid0(VALU_DEP_1) | instskip(NEXT) | instid1(VALU_DEP_1)
	v_div_fixup_f32 v73, v73, v71, 1.0
	v_xor_b32_e32 v71, 0x80000000, v73
	ds_store_b32 v72, v73
.LBB97_3:
	v_add_nc_u32_e32 v104, 0x90, v4
	v_add_nc_u32_e32 v105, v5, v4
	s_cmp_eq_u32 s4, 0x79
	s_mov_b32 s1, -1
	ds_store_b32 v4, v71
	s_cbranch_scc1 .LBB97_327
; %bb.4:
	ds_load_b32 v71, v5 offset:128
	v_cmp_eq_u32_e64 s0, 33, v102
	s_wait_dscnt 0x0
	ds_store_b32 v104, v71
	s_wait_dscnt 0x0
	s_barrier_signal -1
	s_barrier_wait -1
	s_and_saveexec_b32 s1, s0
	s_cbranch_execz .LBB97_10
; %bb.5:
	s_and_b32 vcc_lo, exec_lo, s3
	s_cbranch_vccz .LBB97_7
; %bb.6:
	ds_load_b32 v71, v105
	ds_load_b32 v72, v104
	s_wait_dscnt 0x0
	v_mul_f32_e32 v71, v71, v72
	s_cbranch_execz .LBB97_8
	s_branch .LBB97_9
.LBB97_7:
                                        ; implicit-def: $vgpr71
.LBB97_8:
	ds_load_b32 v71, v104
.LBB97_9:
	v_mov_b32_e32 v72, 0
	ds_load_b32 v72, v72 offset:128
	s_wait_dscnt 0x0
	v_mul_f32_e32 v71, v71, v72
	ds_store_b32 v5, v71 offset:128
.LBB97_10:
	s_or_b32 exec_lo, exec_lo, s1
	ds_load_b32 v71, v5 offset:124
	v_cmp_lt_u32_e64 s1, 31, v102
	s_wait_dscnt 0x0
	ds_store_b32 v104, v71
	s_wait_dscnt 0x0
	s_barrier_signal -1
	s_barrier_wait -1
	s_and_saveexec_b32 s2, s1
	s_cbranch_execz .LBB97_16
; %bb.11:
	s_and_not1_b32 vcc_lo, exec_lo, s3
	s_cbranch_vccnz .LBB97_13
; %bb.12:
	ds_load_b32 v71, v105
	ds_load_b32 v72, v104
	s_wait_dscnt 0x0
	v_mul_f32_e32 v71, v71, v72
	s_cbranch_execz .LBB97_14
	s_branch .LBB97_15
.LBB97_13:
                                        ; implicit-def: $vgpr71
.LBB97_14:
	ds_load_b32 v71, v104
.LBB97_15:
	v_mov_b32_e32 v72, 0
	ds_load_b32 v74, v5 offset:128
	ds_load_2addr_b32 v[72:73], v72 offset0:31 offset1:68
	s_wait_dscnt 0x0
	v_fma_f32 v73, v74, v73, v71
	s_delay_alu instid0(VALU_DEP_1) | instskip(NEXT) | instid1(VALU_DEP_1)
	v_cndmask_b32_e64 v71, v71, v73, s0
	v_mul_f32_e32 v71, v71, v72
	ds_store_b32 v5, v71 offset:124
.LBB97_16:
	s_or_b32 exec_lo, exec_lo, s2
	ds_load_b32 v71, v5 offset:120
	v_cmp_lt_u32_e64 s0, 30, v102
	s_wait_dscnt 0x0
	ds_store_b32 v104, v71
	s_wait_dscnt 0x0
	s_barrier_signal -1
	s_barrier_wait -1
	s_and_saveexec_b32 s2, s0
	s_cbranch_execz .LBB97_26
; %bb.17:
	s_and_not1_b32 vcc_lo, exec_lo, s3
	s_cbranch_vccnz .LBB97_19
; %bb.18:
	ds_load_b32 v71, v105
	ds_load_b32 v72, v104
	s_wait_dscnt 0x0
	v_mul_f32_e32 v71, v71, v72
	s_cbranch_execz .LBB97_20
	s_branch .LBB97_21
.LBB97_19:
                                        ; implicit-def: $vgpr71
.LBB97_20:
	ds_load_b32 v71, v104
.LBB97_21:
	s_and_saveexec_b32 s4, s1
	s_cbranch_execz .LBB97_25
; %bb.22:
	s_movk_i32 s1, 0x88
	v_subrev_nc_u32_e32 v73, 31, v102
	v_mad_u32 v72, v70, s1, 0x19c
	s_movk_i32 s5, 0x10c
	s_mov_b32 s1, 0
.LBB97_23:                              ; =>This Inner Loop Header: Depth=1
	s_delay_alu instid0(VALU_DEP_2)
	v_dual_mov_b32 v74, s5 :: v_dual_add_nc_u32 v73, -1, v73
	s_add_co_i32 s5, s5, 4
	ds_load_b32 v75, v72
	ds_load_b32 v74, v74
	v_add_nc_u32_e32 v72, 4, v72
	v_cmp_eq_u32_e32 vcc_lo, 0, v73
	s_or_b32 s1, vcc_lo, s1
	s_wait_dscnt 0x0
	v_fmac_f32_e32 v71, v75, v74
	s_and_not1_b32 exec_lo, exec_lo, s1
	s_cbranch_execnz .LBB97_23
; %bb.24:
	s_or_b32 exec_lo, exec_lo, s1
.LBB97_25:
	s_delay_alu instid0(SALU_CYCLE_1)
	s_or_b32 exec_lo, exec_lo, s4
	v_mov_b32_e32 v72, 0
	ds_load_b32 v72, v72 offset:120
	s_wait_dscnt 0x0
	v_mul_f32_e32 v71, v71, v72
	ds_store_b32 v5, v71 offset:120
.LBB97_26:
	s_or_b32 exec_lo, exec_lo, s2
	ds_load_b32 v71, v5 offset:116
	v_cmp_lt_u32_e64 s1, 29, v102
	s_wait_dscnt 0x0
	ds_store_b32 v104, v71
	s_wait_dscnt 0x0
	s_barrier_signal -1
	s_barrier_wait -1
	s_and_saveexec_b32 s2, s1
	s_cbranch_execz .LBB97_36
; %bb.27:
	s_and_not1_b32 vcc_lo, exec_lo, s3
	s_cbranch_vccnz .LBB97_29
; %bb.28:
	ds_load_b32 v71, v105
	ds_load_b32 v72, v104
	s_wait_dscnt 0x0
	v_mul_f32_e32 v71, v71, v72
	s_cbranch_execz .LBB97_30
	s_branch .LBB97_31
.LBB97_29:
                                        ; implicit-def: $vgpr71
.LBB97_30:
	ds_load_b32 v71, v104
.LBB97_31:
	s_and_saveexec_b32 s4, s0
	s_cbranch_execz .LBB97_35
; %bb.32:
	s_movk_i32 s0, 0x88
	v_subrev_nc_u32_e32 v73, 30, v102
	v_mad_u32 v72, v70, s0, 0x198
	s_movk_i32 s5, 0x108
	s_mov_b32 s0, 0
.LBB97_33:                              ; =>This Inner Loop Header: Depth=1
	s_delay_alu instid0(VALU_DEP_2)
	v_dual_mov_b32 v74, s5 :: v_dual_add_nc_u32 v73, -1, v73
	s_add_co_i32 s5, s5, 4
	ds_load_b32 v75, v72
	ds_load_b32 v74, v74
	v_add_nc_u32_e32 v72, 4, v72
	v_cmp_eq_u32_e32 vcc_lo, 0, v73
	s_or_b32 s0, vcc_lo, s0
	s_wait_dscnt 0x0
	v_fmac_f32_e32 v71, v75, v74
	s_and_not1_b32 exec_lo, exec_lo, s0
	s_cbranch_execnz .LBB97_33
; %bb.34:
	s_or_b32 exec_lo, exec_lo, s0
.LBB97_35:
	s_delay_alu instid0(SALU_CYCLE_1)
	s_or_b32 exec_lo, exec_lo, s4
	v_mov_b32_e32 v72, 0
	ds_load_b32 v72, v72 offset:116
	s_wait_dscnt 0x0
	v_mul_f32_e32 v71, v71, v72
	ds_store_b32 v5, v71 offset:116
.LBB97_36:
	;; [unrolled: 57-line block ×8, first 2 shown]
	s_or_b32 exec_lo, exec_lo, s2
	ds_load_b32 v71, v5 offset:88
	v_cmp_lt_u32_e64 s0, 22, v102
	s_wait_dscnt 0x0
	ds_store_b32 v104, v71
	s_wait_dscnt 0x0
	s_barrier_signal -1
	s_barrier_wait -1
	s_and_saveexec_b32 s2, s0
	s_cbranch_execz .LBB97_106
; %bb.97:
	s_and_not1_b32 vcc_lo, exec_lo, s3
	s_cbranch_vccnz .LBB97_99
; %bb.98:
	ds_load_b32 v71, v105
	ds_load_b32 v72, v104
	s_wait_dscnt 0x0
	v_mul_f32_e32 v71, v71, v72
	s_cbranch_execz .LBB97_100
	s_branch .LBB97_101
.LBB97_99:
                                        ; implicit-def: $vgpr71
.LBB97_100:
	ds_load_b32 v71, v104
.LBB97_101:
	s_and_saveexec_b32 s4, s1
	s_cbranch_execz .LBB97_105
; %bb.102:
	s_movk_i32 s1, 0x88
	v_subrev_nc_u32_e32 v73, 23, v102
	v_mad_u32 v72, v70, s1, 0x17c
	s_movk_i32 s5, 0xec
	s_mov_b32 s1, 0
.LBB97_103:                             ; =>This Inner Loop Header: Depth=1
	s_delay_alu instid0(VALU_DEP_2)
	v_dual_mov_b32 v74, s5 :: v_dual_add_nc_u32 v73, -1, v73
	s_add_co_i32 s5, s5, 4
	ds_load_b32 v75, v72
	ds_load_b32 v74, v74
	v_add_nc_u32_e32 v72, 4, v72
	v_cmp_eq_u32_e32 vcc_lo, 0, v73
	s_or_b32 s1, vcc_lo, s1
	s_wait_dscnt 0x0
	v_fmac_f32_e32 v71, v75, v74
	s_and_not1_b32 exec_lo, exec_lo, s1
	s_cbranch_execnz .LBB97_103
; %bb.104:
	s_or_b32 exec_lo, exec_lo, s1
.LBB97_105:
	s_delay_alu instid0(SALU_CYCLE_1)
	s_or_b32 exec_lo, exec_lo, s4
	v_mov_b32_e32 v72, 0
	ds_load_b32 v72, v72 offset:88
	s_wait_dscnt 0x0
	v_mul_f32_e32 v71, v71, v72
	ds_store_b32 v5, v71 offset:88
.LBB97_106:
	s_or_b32 exec_lo, exec_lo, s2
	ds_load_b32 v71, v5 offset:84
	v_cmp_lt_u32_e64 s1, 21, v102
	s_wait_dscnt 0x0
	ds_store_b32 v104, v71
	s_wait_dscnt 0x0
	s_barrier_signal -1
	s_barrier_wait -1
	s_and_saveexec_b32 s2, s1
	s_cbranch_execz .LBB97_116
; %bb.107:
	s_and_not1_b32 vcc_lo, exec_lo, s3
	s_cbranch_vccnz .LBB97_109
; %bb.108:
	ds_load_b32 v71, v105
	ds_load_b32 v72, v104
	s_wait_dscnt 0x0
	v_mul_f32_e32 v71, v71, v72
	s_cbranch_execz .LBB97_110
	s_branch .LBB97_111
.LBB97_109:
                                        ; implicit-def: $vgpr71
.LBB97_110:
	ds_load_b32 v71, v104
.LBB97_111:
	s_and_saveexec_b32 s4, s0
	s_cbranch_execz .LBB97_115
; %bb.112:
	s_movk_i32 s0, 0x88
	v_subrev_nc_u32_e32 v73, 22, v102
	v_mad_u32 v72, v70, s0, 0x178
	s_movk_i32 s5, 0xe8
	s_mov_b32 s0, 0
.LBB97_113:                             ; =>This Inner Loop Header: Depth=1
	s_delay_alu instid0(VALU_DEP_2)
	v_dual_mov_b32 v74, s5 :: v_dual_add_nc_u32 v73, -1, v73
	s_add_co_i32 s5, s5, 4
	ds_load_b32 v75, v72
	ds_load_b32 v74, v74
	v_add_nc_u32_e32 v72, 4, v72
	v_cmp_eq_u32_e32 vcc_lo, 0, v73
	s_or_b32 s0, vcc_lo, s0
	s_wait_dscnt 0x0
	v_fmac_f32_e32 v71, v75, v74
	s_and_not1_b32 exec_lo, exec_lo, s0
	s_cbranch_execnz .LBB97_113
; %bb.114:
	s_or_b32 exec_lo, exec_lo, s0
.LBB97_115:
	s_delay_alu instid0(SALU_CYCLE_1)
	s_or_b32 exec_lo, exec_lo, s4
	v_mov_b32_e32 v72, 0
	ds_load_b32 v72, v72 offset:84
	s_wait_dscnt 0x0
	v_mul_f32_e32 v71, v71, v72
	ds_store_b32 v5, v71 offset:84
.LBB97_116:
	;; [unrolled: 57-line block ×7, first 2 shown]
	s_or_b32 exec_lo, exec_lo, s2
	ds_load_b32 v71, v5 offset:60
	v_cmp_lt_u32_e64 s1, 15, v102
	s_wait_dscnt 0x0
	ds_store_b32 v104, v71
	s_wait_dscnt 0x0
	s_barrier_signal -1
	s_barrier_wait -1
	s_and_saveexec_b32 s2, s1
	s_cbranch_execz .LBB97_176
; %bb.167:
	s_and_not1_b32 vcc_lo, exec_lo, s3
	s_cbranch_vccnz .LBB97_169
; %bb.168:
	ds_load_b32 v71, v105
	ds_load_b32 v72, v104
	s_wait_dscnt 0x0
	v_mul_f32_e32 v71, v71, v72
	s_cbranch_execz .LBB97_170
	s_branch .LBB97_171
.LBB97_169:
                                        ; implicit-def: $vgpr71
.LBB97_170:
	ds_load_b32 v71, v104
.LBB97_171:
	s_and_saveexec_b32 s4, s0
	s_cbranch_execz .LBB97_175
; %bb.172:
	s_movk_i32 s0, 0x88
	v_add_nc_u32_e32 v73, -16, v102
	v_mad_u32 v72, v70, s0, 0x160
	s_movk_i32 s5, 0xd0
	s_mov_b32 s0, 0
.LBB97_173:                             ; =>This Inner Loop Header: Depth=1
	s_delay_alu instid0(VALU_DEP_2)
	v_dual_mov_b32 v74, s5 :: v_dual_add_nc_u32 v73, -1, v73
	s_add_co_i32 s5, s5, 4
	ds_load_b32 v75, v72
	ds_load_b32 v74, v74
	v_add_nc_u32_e32 v72, 4, v72
	v_cmp_eq_u32_e32 vcc_lo, 0, v73
	s_or_b32 s0, vcc_lo, s0
	s_wait_dscnt 0x0
	v_fmac_f32_e32 v71, v75, v74
	s_and_not1_b32 exec_lo, exec_lo, s0
	s_cbranch_execnz .LBB97_173
; %bb.174:
	s_or_b32 exec_lo, exec_lo, s0
.LBB97_175:
	s_delay_alu instid0(SALU_CYCLE_1)
	s_or_b32 exec_lo, exec_lo, s4
	v_mov_b32_e32 v72, 0
	ds_load_b32 v72, v72 offset:60
	s_wait_dscnt 0x0
	v_mul_f32_e32 v71, v71, v72
	ds_store_b32 v5, v71 offset:60
.LBB97_176:
	s_or_b32 exec_lo, exec_lo, s2
	ds_load_b32 v71, v5 offset:56
	v_cmp_lt_u32_e64 s0, 14, v102
	s_wait_dscnt 0x0
	ds_store_b32 v104, v71
	s_wait_dscnt 0x0
	s_barrier_signal -1
	s_barrier_wait -1
	s_and_saveexec_b32 s2, s0
	s_cbranch_execz .LBB97_186
; %bb.177:
	s_and_not1_b32 vcc_lo, exec_lo, s3
	s_cbranch_vccnz .LBB97_179
; %bb.178:
	ds_load_b32 v71, v105
	ds_load_b32 v72, v104
	s_wait_dscnt 0x0
	v_mul_f32_e32 v71, v71, v72
	s_cbranch_execz .LBB97_180
	s_branch .LBB97_181
.LBB97_179:
                                        ; implicit-def: $vgpr71
.LBB97_180:
	ds_load_b32 v71, v104
.LBB97_181:
	s_and_saveexec_b32 s4, s1
	s_cbranch_execz .LBB97_185
; %bb.182:
	s_movk_i32 s1, 0x88
	v_add_nc_u32_e32 v73, -15, v102
	v_mad_u32 v72, v70, s1, 0x15c
	s_movk_i32 s5, 0xcc
	s_mov_b32 s1, 0
.LBB97_183:                             ; =>This Inner Loop Header: Depth=1
	s_delay_alu instid0(VALU_DEP_2)
	v_dual_mov_b32 v74, s5 :: v_dual_add_nc_u32 v73, -1, v73
	s_add_co_i32 s5, s5, 4
	ds_load_b32 v75, v72
	ds_load_b32 v74, v74
	v_add_nc_u32_e32 v72, 4, v72
	v_cmp_eq_u32_e32 vcc_lo, 0, v73
	s_or_b32 s1, vcc_lo, s1
	s_wait_dscnt 0x0
	v_fmac_f32_e32 v71, v75, v74
	s_and_not1_b32 exec_lo, exec_lo, s1
	s_cbranch_execnz .LBB97_183
; %bb.184:
	s_or_b32 exec_lo, exec_lo, s1
.LBB97_185:
	s_delay_alu instid0(SALU_CYCLE_1)
	s_or_b32 exec_lo, exec_lo, s4
	v_mov_b32_e32 v72, 0
	ds_load_b32 v72, v72 offset:56
	s_wait_dscnt 0x0
	v_mul_f32_e32 v71, v71, v72
	ds_store_b32 v5, v71 offset:56
.LBB97_186:
	;; [unrolled: 57-line block ×15, first 2 shown]
	s_or_b32 exec_lo, exec_lo, s1
	ds_load_b32 v71, v5
	s_mov_b32 s1, 0
	s_mov_b32 s2, exec_lo
	s_wait_dscnt 0x0
	ds_store_b32 v104, v71
	s_wait_dscnt 0x0
	s_barrier_signal -1
	s_barrier_wait -1
	v_cmpx_ne_u32_e32 0, v102
	s_cbranch_execz .LBB97_326
; %bb.317:
	s_and_not1_b32 vcc_lo, exec_lo, s3
	s_cbranch_vccnz .LBB97_319
; %bb.318:
	ds_load_b32 v71, v105
	ds_load_b32 v72, v104
	s_wait_dscnt 0x0
	v_mul_f32_e32 v71, v71, v72
	s_cbranch_execz .LBB97_320
	s_branch .LBB97_321
.LBB97_319:
                                        ; implicit-def: $vgpr71
.LBB97_320:
	ds_load_b32 v71, v104
.LBB97_321:
	s_and_saveexec_b32 s4, s0
	s_cbranch_execz .LBB97_325
; %bb.322:
	s_movk_i32 s0, 0x88
	v_add_nc_u32_e32 v72, -1, v102
	v_mad_u32 v70, v70, s0, 0x124
	s_movk_i32 s5, 0x94
	s_mov_b32 s0, 0
.LBB97_323:                             ; =>This Inner Loop Header: Depth=1
	s_delay_alu instid0(VALU_DEP_2)
	v_dual_mov_b32 v73, s5 :: v_dual_add_nc_u32 v72, -1, v72
	s_add_co_i32 s5, s5, 4
	ds_load_b32 v74, v70
	ds_load_b32 v73, v73
	v_add_nc_u32_e32 v70, 4, v70
	v_cmp_eq_u32_e32 vcc_lo, 0, v72
	s_or_b32 s0, vcc_lo, s0
	s_wait_dscnt 0x0
	v_fmac_f32_e32 v71, v74, v73
	s_and_not1_b32 exec_lo, exec_lo, s0
	s_cbranch_execnz .LBB97_323
; %bb.324:
	s_or_b32 exec_lo, exec_lo, s0
.LBB97_325:
	s_delay_alu instid0(SALU_CYCLE_1)
	s_or_b32 exec_lo, exec_lo, s4
	v_mov_b32_e32 v70, 0
	ds_load_b32 v70, v70
	s_wait_dscnt 0x0
	v_mul_f32_e32 v70, v71, v70
	ds_store_b32 v5, v70
.LBB97_326:
	s_or_b32 exec_lo, exec_lo, s2
.LBB97_327:
	v_lshl_add_u64 v[100:101], v[6:7], 2, s[6:7]
	v_lshl_add_u64 v[98:99], v[8:9], 2, s[6:7]
	;; [unrolled: 1-line block ×32, first 2 shown]
	s_and_b32 vcc_lo, exec_lo, s1
	s_cbranch_vccz .LBB97_649
; %bb.328:
	ds_load_b32 v38, v5 offset:4
	v_cmp_eq_u32_e64 s0, 0, v102
	s_wait_dscnt 0x0
	ds_store_b32 v104, v38
	s_wait_dscnt 0x0
	s_barrier_signal -1
	s_barrier_wait -1
	s_and_saveexec_b32 s1, s0
	s_cbranch_execz .LBB97_334
; %bb.329:
	s_and_b32 vcc_lo, exec_lo, s3
	s_cbranch_vccz .LBB97_331
; %bb.330:
	ds_load_b32 v38, v105
	ds_load_b32 v39, v104
	s_wait_dscnt 0x0
	v_mul_f32_e32 v38, v38, v39
	s_cbranch_execz .LBB97_332
	s_branch .LBB97_333
.LBB97_331:
                                        ; implicit-def: $vgpr38
.LBB97_332:
	ds_load_b32 v38, v104
.LBB97_333:
	v_mov_b32_e32 v39, 0
	ds_load_b32 v39, v39 offset:4
	s_wait_dscnt 0x0
	v_mul_f32_e32 v38, v38, v39
	ds_store_b32 v5, v38 offset:4
.LBB97_334:
	s_or_b32 exec_lo, exec_lo, s1
	ds_load_b32 v39, v5 offset:8
	v_cndmask_b32_e64 v38, 0, 1, s3
	s_mov_b32 s1, exec_lo
	s_wait_dscnt 0x0
	ds_store_b32 v104, v39
	s_wait_dscnt 0x0
	s_barrier_signal -1
	s_barrier_wait -1
	v_cmpx_gt_u32_e32 2, v102
	s_cbranch_execz .LBB97_340
; %bb.335:
	s_and_not1_b32 vcc_lo, exec_lo, s3
	s_cbranch_vccnz .LBB97_337
; %bb.336:
	ds_load_b32 v39, v105
	ds_load_b32 v40, v104
	s_wait_dscnt 0x0
	v_mul_f32_e32 v39, v39, v40
	s_cbranch_execz .LBB97_338
	s_branch .LBB97_339
.LBB97_337:
                                        ; implicit-def: $vgpr39
.LBB97_338:
	ds_load_b32 v39, v104
.LBB97_339:
	v_mov_b32_e32 v40, 0
	ds_load_b32 v42, v5 offset:4
	ds_load_2addr_b32 v[40:41], v40 offset0:2 offset1:37
	s_wait_dscnt 0x0
	v_fma_f32 v41, v42, v41, v39
	s_delay_alu instid0(VALU_DEP_1) | instskip(NEXT) | instid1(VALU_DEP_1)
	v_cndmask_b32_e64 v39, v39, v41, s0
	v_mul_f32_e32 v39, v39, v40
	ds_store_b32 v5, v39 offset:8
.LBB97_340:
	s_or_b32 exec_lo, exec_lo, s1
	ds_load_b32 v39, v5 offset:12
	s_mov_b32 s1, exec_lo
	s_wait_dscnt 0x0
	ds_store_b32 v104, v39
	s_wait_dscnt 0x0
	s_barrier_signal -1
	s_barrier_wait -1
	v_cmpx_gt_u32_e32 3, v102
	s_cbranch_execz .LBB97_348
; %bb.341:
	v_cmp_ne_u32_e32 vcc_lo, 1, v38
	s_cbranch_vccnz .LBB97_343
; %bb.342:
	ds_load_b32 v39, v105
	ds_load_b32 v40, v104
	s_wait_dscnt 0x0
	v_mul_f32_e32 v39, v39, v40
	s_cbranch_execz .LBB97_344
	s_branch .LBB97_345
.LBB97_343:
                                        ; implicit-def: $vgpr39
.LBB97_344:
	ds_load_b32 v39, v104
.LBB97_345:
	s_mov_b32 s2, exec_lo
	v_cmpx_ne_u32_e32 2, v102
	s_cbranch_execz .LBB97_347
; %bb.346:
	ds_load_b32 v40, v105 offset:4
	ds_load_b32 v41, v104 offset:4
	s_wait_dscnt 0x0
	v_dual_mov_b32 v42, 0 :: v_dual_fmac_f32 v39, v40, v41
	ds_load_b32 v43, v5 offset:8
	ds_load_b32 v42, v42 offset:152
	s_wait_dscnt 0x0
	v_fma_f32 v40, v43, v42, v39
	s_delay_alu instid0(VALU_DEP_1)
	v_cndmask_b32_e64 v39, v39, v40, s0
.LBB97_347:
	s_or_b32 exec_lo, exec_lo, s2
	v_mov_b32_e32 v40, 0
	ds_load_b32 v40, v40 offset:12
	s_wait_dscnt 0x0
	v_mul_f32_e32 v39, v39, v40
	ds_store_b32 v5, v39 offset:12
.LBB97_348:
	s_or_b32 exec_lo, exec_lo, s1
	ds_load_b32 v39, v5 offset:16
	s_mov_b32 s0, exec_lo
	s_wait_dscnt 0x0
	ds_store_b32 v104, v39
	s_wait_dscnt 0x0
	s_barrier_signal -1
	s_barrier_wait -1
	v_cmpx_gt_u32_e32 4, v102
	s_cbranch_execz .LBB97_358
; %bb.349:
	v_cmp_ne_u32_e32 vcc_lo, 1, v38
	s_cbranch_vccnz .LBB97_351
; %bb.350:
	ds_load_b32 v39, v105
	ds_load_b32 v40, v104
	s_wait_dscnt 0x0
	v_mul_f32_e32 v39, v39, v40
	s_cbranch_execz .LBB97_352
	s_branch .LBB97_353
.LBB97_351:
                                        ; implicit-def: $vgpr39
.LBB97_352:
	ds_load_b32 v39, v104
.LBB97_353:
	s_mov_b32 s1, exec_lo
	v_cmpx_ne_u32_e32 3, v102
	s_cbranch_execz .LBB97_357
; %bb.354:
	v_add_nc_u32_e32 v40, 0x94, v4
	v_add3_u32 v41, v103, v4, 0x124
	v_mov_b32_e32 v42, v102
	s_mov_b32 s2, 0
.LBB97_355:                             ; =>This Inner Loop Header: Depth=1
	ds_load_b32 v43, v41
	ds_load_b32 v44, v40
	v_dual_add_nc_u32 v42, 1, v42 :: v_dual_add_nc_u32 v40, 4, v40
	v_add_nc_u32_e32 v41, 4, v41
	s_delay_alu instid0(VALU_DEP_2)
	v_cmp_lt_u32_e32 vcc_lo, 2, v42
	s_or_b32 s2, vcc_lo, s2
	s_wait_dscnt 0x0
	v_fmac_f32_e32 v39, v43, v44
	s_and_not1_b32 exec_lo, exec_lo, s2
	s_cbranch_execnz .LBB97_355
; %bb.356:
	s_or_b32 exec_lo, exec_lo, s2
.LBB97_357:
	s_delay_alu instid0(SALU_CYCLE_1)
	s_or_b32 exec_lo, exec_lo, s1
	v_mov_b32_e32 v40, 0
	ds_load_b32 v40, v40 offset:16
	s_wait_dscnt 0x0
	v_mul_f32_e32 v39, v39, v40
	ds_store_b32 v5, v39 offset:16
.LBB97_358:
	s_or_b32 exec_lo, exec_lo, s0
	ds_load_b32 v39, v5 offset:20
	s_mov_b32 s0, exec_lo
	s_wait_dscnt 0x0
	ds_store_b32 v104, v39
	s_wait_dscnt 0x0
	s_barrier_signal -1
	s_barrier_wait -1
	v_cmpx_gt_u32_e32 5, v102
	s_cbranch_execz .LBB97_368
; %bb.359:
	v_cmp_ne_u32_e32 vcc_lo, 1, v38
	s_cbranch_vccnz .LBB97_361
; %bb.360:
	ds_load_b32 v39, v105
	ds_load_b32 v40, v104
	s_wait_dscnt 0x0
	v_mul_f32_e32 v39, v39, v40
	s_cbranch_execz .LBB97_362
	s_branch .LBB97_363
.LBB97_361:
                                        ; implicit-def: $vgpr39
.LBB97_362:
	ds_load_b32 v39, v104
.LBB97_363:
	s_mov_b32 s1, exec_lo
	v_cmpx_ne_u32_e32 4, v102
	s_cbranch_execz .LBB97_367
; %bb.364:
	v_add_nc_u32_e32 v40, 0x94, v4
	v_add3_u32 v41, v103, v4, 0x124
	v_mov_b32_e32 v42, v102
	s_mov_b32 s2, 0
.LBB97_365:                             ; =>This Inner Loop Header: Depth=1
	ds_load_b32 v43, v41
	ds_load_b32 v44, v40
	v_dual_add_nc_u32 v42, 1, v42 :: v_dual_add_nc_u32 v40, 4, v40
	v_add_nc_u32_e32 v41, 4, v41
	s_delay_alu instid0(VALU_DEP_2)
	v_cmp_lt_u32_e32 vcc_lo, 3, v42
	s_or_b32 s2, vcc_lo, s2
	s_wait_dscnt 0x0
	v_fmac_f32_e32 v39, v43, v44
	s_and_not1_b32 exec_lo, exec_lo, s2
	s_cbranch_execnz .LBB97_365
; %bb.366:
	s_or_b32 exec_lo, exec_lo, s2
.LBB97_367:
	s_delay_alu instid0(SALU_CYCLE_1)
	s_or_b32 exec_lo, exec_lo, s1
	v_mov_b32_e32 v40, 0
	ds_load_b32 v40, v40 offset:20
	s_wait_dscnt 0x0
	v_mul_f32_e32 v39, v39, v40
	ds_store_b32 v5, v39 offset:20
.LBB97_368:
	;; [unrolled: 56-line block ×28, first 2 shown]
	s_or_b32 exec_lo, exec_lo, s0
	ds_load_b32 v39, v5 offset:128
	v_cmp_gt_u32_e64 s0, 32, v102
	s_wait_dscnt 0x0
	ds_store_b32 v104, v39
	s_wait_dscnt 0x0
	s_barrier_signal -1
	s_barrier_wait -1
	s_and_saveexec_b32 s1, s0
	s_cbranch_execz .LBB97_638
; %bb.629:
	v_cmp_ne_u32_e32 vcc_lo, 1, v38
	s_cbranch_vccnz .LBB97_631
; %bb.630:
	ds_load_b32 v39, v105
	ds_load_b32 v40, v104
	s_wait_dscnt 0x0
	v_mul_f32_e32 v39, v39, v40
	s_cbranch_execz .LBB97_632
	s_branch .LBB97_633
.LBB97_631:
                                        ; implicit-def: $vgpr39
.LBB97_632:
	ds_load_b32 v39, v104
.LBB97_633:
	s_mov_b32 s2, exec_lo
	v_cmpx_ne_u32_e32 31, v102
	s_cbranch_execz .LBB97_637
; %bb.634:
	v_add_nc_u32_e32 v40, 0x94, v4
	v_add3_u32 v41, v103, v4, 0x124
	v_mov_b32_e32 v42, v102
	s_mov_b32 s3, 0
.LBB97_635:                             ; =>This Inner Loop Header: Depth=1
	ds_load_b32 v43, v41
	ds_load_b32 v44, v40
	v_dual_add_nc_u32 v42, 1, v42 :: v_dual_add_nc_u32 v40, 4, v40
	v_add_nc_u32_e32 v41, 4, v41
	s_delay_alu instid0(VALU_DEP_2)
	v_cmp_lt_u32_e32 vcc_lo, 30, v42
	s_or_b32 s3, vcc_lo, s3
	s_wait_dscnt 0x0
	v_fmac_f32_e32 v39, v43, v44
	s_and_not1_b32 exec_lo, exec_lo, s3
	s_cbranch_execnz .LBB97_635
; %bb.636:
	s_or_b32 exec_lo, exec_lo, s3
.LBB97_637:
	s_delay_alu instid0(SALU_CYCLE_1)
	s_or_b32 exec_lo, exec_lo, s2
	v_mov_b32_e32 v40, 0
	ds_load_b32 v40, v40 offset:128
	s_wait_dscnt 0x0
	v_mul_f32_e32 v39, v39, v40
	ds_store_b32 v5, v39 offset:128
.LBB97_638:
	s_or_b32 exec_lo, exec_lo, s1
	ds_load_b32 v39, v5 offset:132
	s_mov_b32 s1, exec_lo
	s_wait_dscnt 0x0
	ds_store_b32 v104, v39
	s_wait_dscnt 0x0
	s_barrier_signal -1
	s_barrier_wait -1
	v_cmpx_ne_u32_e32 33, v102
	s_cbranch_execz .LBB97_648
; %bb.639:
	v_cmp_ne_u32_e32 vcc_lo, 1, v38
	s_cbranch_vccnz .LBB97_641
; %bb.640:
	ds_load_b32 v38, v105
	ds_load_b32 v39, v104
	s_wait_dscnt 0x0
	v_mul_f32_e32 v38, v38, v39
	s_cbranch_execz .LBB97_642
	s_branch .LBB97_643
.LBB97_641:
                                        ; implicit-def: $vgpr38
.LBB97_642:
	ds_load_b32 v38, v104
.LBB97_643:
	s_and_saveexec_b32 s2, s0
	s_cbranch_execz .LBB97_647
; %bb.644:
	v_add_nc_u32_e32 v39, 0x94, v4
	v_add3_u32 v4, v103, v4, 0x124
	s_mov_b32 s0, 0
.LBB97_645:                             ; =>This Inner Loop Header: Depth=1
	ds_load_b32 v40, v4
	ds_load_b32 v41, v39
	v_dual_add_nc_u32 v102, 1, v102 :: v_dual_add_nc_u32 v39, 4, v39
	v_add_nc_u32_e32 v4, 4, v4
	s_delay_alu instid0(VALU_DEP_2)
	v_cmp_lt_u32_e32 vcc_lo, 31, v102
	s_or_b32 s0, vcc_lo, s0
	s_wait_dscnt 0x0
	v_fmac_f32_e32 v38, v40, v41
	s_and_not1_b32 exec_lo, exec_lo, s0
	s_cbranch_execnz .LBB97_645
; %bb.646:
	s_or_b32 exec_lo, exec_lo, s0
.LBB97_647:
	s_delay_alu instid0(SALU_CYCLE_1)
	s_or_b32 exec_lo, exec_lo, s2
	v_mov_b32_e32 v4, 0
	ds_load_b32 v4, v4 offset:132
	s_wait_dscnt 0x0
	v_mul_f32_e32 v4, v38, v4
	ds_store_b32 v5, v4 offset:132
.LBB97_648:
	s_or_b32 exec_lo, exec_lo, s1
.LBB97_649:
	ds_load_b32 v4, v5
	s_wait_dscnt 0x0
	flat_store_b32 v[0:1], v4
	s_wait_xcnt 0x0
	ds_load_b32 v0, v5 offset:4
	s_wait_dscnt 0x0
	flat_store_b32 v[2:3], v0
	s_wait_xcnt 0x0
	ds_load_b32 v0, v5 offset:8
	;; [unrolled: 4-line block ×33, first 2 shown]
	s_wait_dscnt 0x0
	flat_store_b32 v[6:7], v0
.LBB97_650:
	s_sendmsg sendmsg(MSG_DEALLOC_VGPRS)
	s_endpgm
	.section	.rodata,"a",@progbits
	.p2align	6, 0x0
	.amdhsa_kernel _ZN9rocsolver6v33100L18trti2_kernel_smallILi34EfPKPfEEv13rocblas_fill_17rocblas_diagonal_T1_iil
		.amdhsa_group_segment_fixed_size 8992
		.amdhsa_private_segment_fixed_size 0
		.amdhsa_kernarg_size 32
		.amdhsa_user_sgpr_count 4
		.amdhsa_user_sgpr_dispatch_ptr 1
		.amdhsa_user_sgpr_queue_ptr 0
		.amdhsa_user_sgpr_kernarg_segment_ptr 1
		.amdhsa_user_sgpr_dispatch_id 0
		.amdhsa_user_sgpr_kernarg_preload_length 0
		.amdhsa_user_sgpr_kernarg_preload_offset 0
		.amdhsa_user_sgpr_private_segment_size 0
		.amdhsa_wavefront_size32 1
		.amdhsa_uses_dynamic_stack 0
		.amdhsa_enable_private_segment 0
		.amdhsa_system_sgpr_workgroup_id_x 1
		.amdhsa_system_sgpr_workgroup_id_y 0
		.amdhsa_system_sgpr_workgroup_id_z 0
		.amdhsa_system_sgpr_workgroup_info 0
		.amdhsa_system_vgpr_workitem_id 2
		.amdhsa_next_free_vgpr 106
		.amdhsa_next_free_sgpr 12
		.amdhsa_named_barrier_count 0
		.amdhsa_reserve_vcc 1
		.amdhsa_float_round_mode_32 0
		.amdhsa_float_round_mode_16_64 0
		.amdhsa_float_denorm_mode_32 3
		.amdhsa_float_denorm_mode_16_64 3
		.amdhsa_fp16_overflow 0
		.amdhsa_memory_ordered 1
		.amdhsa_forward_progress 1
		.amdhsa_inst_pref_size 142
		.amdhsa_round_robin_scheduling 0
		.amdhsa_exception_fp_ieee_invalid_op 0
		.amdhsa_exception_fp_denorm_src 0
		.amdhsa_exception_fp_ieee_div_zero 0
		.amdhsa_exception_fp_ieee_overflow 0
		.amdhsa_exception_fp_ieee_underflow 0
		.amdhsa_exception_fp_ieee_inexact 0
		.amdhsa_exception_int_div_zero 0
	.end_amdhsa_kernel
	.section	.text._ZN9rocsolver6v33100L18trti2_kernel_smallILi34EfPKPfEEv13rocblas_fill_17rocblas_diagonal_T1_iil,"axG",@progbits,_ZN9rocsolver6v33100L18trti2_kernel_smallILi34EfPKPfEEv13rocblas_fill_17rocblas_diagonal_T1_iil,comdat
.Lfunc_end97:
	.size	_ZN9rocsolver6v33100L18trti2_kernel_smallILi34EfPKPfEEv13rocblas_fill_17rocblas_diagonal_T1_iil, .Lfunc_end97-_ZN9rocsolver6v33100L18trti2_kernel_smallILi34EfPKPfEEv13rocblas_fill_17rocblas_diagonal_T1_iil
                                        ; -- End function
	.set _ZN9rocsolver6v33100L18trti2_kernel_smallILi34EfPKPfEEv13rocblas_fill_17rocblas_diagonal_T1_iil.num_vgpr, 106
	.set _ZN9rocsolver6v33100L18trti2_kernel_smallILi34EfPKPfEEv13rocblas_fill_17rocblas_diagonal_T1_iil.num_agpr, 0
	.set _ZN9rocsolver6v33100L18trti2_kernel_smallILi34EfPKPfEEv13rocblas_fill_17rocblas_diagonal_T1_iil.numbered_sgpr, 12
	.set _ZN9rocsolver6v33100L18trti2_kernel_smallILi34EfPKPfEEv13rocblas_fill_17rocblas_diagonal_T1_iil.num_named_barrier, 0
	.set _ZN9rocsolver6v33100L18trti2_kernel_smallILi34EfPKPfEEv13rocblas_fill_17rocblas_diagonal_T1_iil.private_seg_size, 0
	.set _ZN9rocsolver6v33100L18trti2_kernel_smallILi34EfPKPfEEv13rocblas_fill_17rocblas_diagonal_T1_iil.uses_vcc, 1
	.set _ZN9rocsolver6v33100L18trti2_kernel_smallILi34EfPKPfEEv13rocblas_fill_17rocblas_diagonal_T1_iil.uses_flat_scratch, 0
	.set _ZN9rocsolver6v33100L18trti2_kernel_smallILi34EfPKPfEEv13rocblas_fill_17rocblas_diagonal_T1_iil.has_dyn_sized_stack, 0
	.set _ZN9rocsolver6v33100L18trti2_kernel_smallILi34EfPKPfEEv13rocblas_fill_17rocblas_diagonal_T1_iil.has_recursion, 0
	.set _ZN9rocsolver6v33100L18trti2_kernel_smallILi34EfPKPfEEv13rocblas_fill_17rocblas_diagonal_T1_iil.has_indirect_call, 0
	.section	.AMDGPU.csdata,"",@progbits
; Kernel info:
; codeLenInByte = 18060
; TotalNumSgprs: 14
; NumVgprs: 106
; ScratchSize: 0
; MemoryBound: 0
; FloatMode: 240
; IeeeMode: 1
; LDSByteSize: 8992 bytes/workgroup (compile time only)
; SGPRBlocks: 0
; VGPRBlocks: 6
; NumSGPRsForWavesPerEU: 14
; NumVGPRsForWavesPerEU: 106
; NamedBarCnt: 0
; Occupancy: 9
; WaveLimiterHint : 1
; COMPUTE_PGM_RSRC2:SCRATCH_EN: 0
; COMPUTE_PGM_RSRC2:USER_SGPR: 4
; COMPUTE_PGM_RSRC2:TRAP_HANDLER: 0
; COMPUTE_PGM_RSRC2:TGID_X_EN: 1
; COMPUTE_PGM_RSRC2:TGID_Y_EN: 0
; COMPUTE_PGM_RSRC2:TGID_Z_EN: 0
; COMPUTE_PGM_RSRC2:TIDIG_COMP_CNT: 2
	.section	.text._ZN9rocsolver6v33100L18trti2_kernel_smallILi35EfPKPfEEv13rocblas_fill_17rocblas_diagonal_T1_iil,"axG",@progbits,_ZN9rocsolver6v33100L18trti2_kernel_smallILi35EfPKPfEEv13rocblas_fill_17rocblas_diagonal_T1_iil,comdat
	.globl	_ZN9rocsolver6v33100L18trti2_kernel_smallILi35EfPKPfEEv13rocblas_fill_17rocblas_diagonal_T1_iil ; -- Begin function _ZN9rocsolver6v33100L18trti2_kernel_smallILi35EfPKPfEEv13rocblas_fill_17rocblas_diagonal_T1_iil
	.p2align	8
	.type	_ZN9rocsolver6v33100L18trti2_kernel_smallILi35EfPKPfEEv13rocblas_fill_17rocblas_diagonal_T1_iil,@function
_ZN9rocsolver6v33100L18trti2_kernel_smallILi35EfPKPfEEv13rocblas_fill_17rocblas_diagonal_T1_iil: ; @_ZN9rocsolver6v33100L18trti2_kernel_smallILi35EfPKPfEEv13rocblas_fill_17rocblas_diagonal_T1_iil
; %bb.0:
	v_and_b32_e32 v104, 0x3ff, v0
	s_mov_b32 s4, exec_lo
	s_delay_alu instid0(VALU_DEP_1)
	v_cmpx_gt_u32_e32 35, v104
	s_cbranch_execz .LBB98_670
; %bb.1:
	s_load_b64 s[10:11], s[0:1], 0x4
	s_clause 0x1
	s_load_b64 s[8:9], s[2:3], 0x10
	s_load_b128 s[4:7], s[2:3], 0x0
	s_wait_xcnt 0x0
	s_bfe_u32 s0, ttmp6, 0x4000c
	s_and_b32 s2, ttmp6, 15
	s_add_co_i32 s0, s0, 1
	s_getreg_b32 s3, hwreg(HW_REG_IB_STS2, 6, 4)
	s_mul_i32 s0, ttmp9, s0
	v_bfe_u32 v1, v0, 10, 10
	s_add_co_i32 s2, s2, s0
	v_bfe_u32 v0, v0, 20, 10
	v_dual_mov_b32 v5, 0 :: v_dual_lshlrev_b32 v4, 2, v104
	v_mov_b32_e32 v73, -1.0
	s_wait_kmcnt 0x0
	s_lshr_b32 s10, s10, 16
	s_ashr_i32 s1, s8, 31
	s_cmp_eq_u32 s3, 0
	s_mov_b32 s0, s8
	s_cselect_b32 s2, ttmp9, s2
	s_lshl_b64 s[0:1], s[0:1], 2
	s_ashr_i32 s3, s2, 31
	s_mul_i32 s10, s10, s11
	s_lshl_b64 s[2:3], s[2:3], 3
	v_mul_u32_u24_e32 v2, s10, v104
	s_add_nc_u64 s[2:3], s[6:7], s[2:3]
	v_mul_u32_u24_e32 v1, s11, v1
	s_load_b64 s[2:3], s[2:3], 0x0
	s_delay_alu instid0(VALU_DEP_1) | instskip(NEXT) | instid1(VALU_DEP_1)
	v_add3_u32 v72, v2, v1, v0
	v_mul_lo_u32 v105, 0x8c, v72
	s_wait_kmcnt 0x0
	s_add_nc_u64 s[2:3], s[2:3], s[0:1]
	s_ashr_i32 s1, s9, 31
	flat_load_b32 v6, v104, s[2:3] scale_offset
	v_add_nc_u64_e32 v[0:1], s[2:3], v[4:5]
	s_mov_b32 s0, s9
	s_cmp_lg_u32 s5, 0x84
	s_cselect_b32 s6, -1, 0
	s_cmp_eq_u32 s5, 0x84
	s_delay_alu instid0(VALU_DEP_1) | instskip(SKIP_4) | instid1(VALU_DEP_1)
	v_lshl_add_u64 v[2:3], s[0:1], 2, v[0:1]
	s_wait_loadcnt_dscnt 0x0
	ds_store_b32 v105, v6 offset:288
	flat_load_b32 v5, v[2:3]
	v_add3_u32 v6, s9, s9, v104
	v_dual_add_nc_u32 v8, s9, v6 :: v_dual_ashrrev_i32 v7, 31, v6
	s_delay_alu instid0(VALU_DEP_1) | instskip(NEXT) | instid1(VALU_DEP_1)
	v_add_nc_u32_e32 v10, s9, v8
	v_add_nc_u32_e32 v12, s9, v10
	s_delay_alu instid0(VALU_DEP_1) | instskip(NEXT) | instid1(VALU_DEP_1)
	v_add_nc_u32_e32 v14, s9, v12
	v_dual_ashrrev_i32 v9, 31, v8 :: v_dual_add_nc_u32 v16, s9, v14
	s_delay_alu instid0(VALU_DEP_1) | instskip(SKIP_1) | instid1(VALU_DEP_1)
	v_dual_ashrrev_i32 v15, 31, v14 :: v_dual_ashrrev_i32 v17, 31, v16
	v_dual_add_nc_u32 v18, s9, v16 :: v_dual_ashrrev_i32 v11, 31, v10
	v_dual_ashrrev_i32 v13, 31, v12 :: v_dual_add_nc_u32 v20, s9, v18
	s_delay_alu instid0(VALU_DEP_1) | instskip(NEXT) | instid1(VALU_DEP_1)
	v_add_nc_u32_e32 v22, s9, v20
	v_add_nc_u32_e32 v24, s9, v22
	s_delay_alu instid0(VALU_DEP_1) | instskip(NEXT) | instid1(VALU_DEP_1)
	v_dual_add_nc_u32 v26, s9, v24 :: v_dual_ashrrev_i32 v19, 31, v18
	v_dual_ashrrev_i32 v21, 31, v20 :: v_dual_add_nc_u32 v28, s9, v26
	s_delay_alu instid0(VALU_DEP_1) | instskip(SKIP_1) | instid1(VALU_DEP_1)
	v_dual_ashrrev_i32 v27, 31, v26 :: v_dual_ashrrev_i32 v29, 31, v28
	v_dual_add_nc_u32 v30, s9, v28 :: v_dual_ashrrev_i32 v23, 31, v22
	v_dual_ashrrev_i32 v25, 31, v24 :: v_dual_add_nc_u32 v32, s9, v30
	s_delay_alu instid0(VALU_DEP_1) | instskip(NEXT) | instid1(VALU_DEP_1)
	v_add_nc_u32_e32 v34, s9, v32
	v_add_nc_u32_e32 v36, s9, v34
	s_delay_alu instid0(VALU_DEP_1) | instskip(NEXT) | instid1(VALU_DEP_1)
	v_dual_add_nc_u32 v38, s9, v36 :: v_dual_ashrrev_i32 v31, 31, v30
	;; [unrolled: 10-line block ×4, first 2 shown]
	v_dual_ashrrev_i32 v57, 31, v56 :: v_dual_add_nc_u32 v64, s9, v62
	s_delay_alu instid0(VALU_DEP_1) | instskip(SKIP_1) | instid1(VALU_DEP_1)
	v_dual_ashrrev_i32 v63, 31, v62 :: v_dual_ashrrev_i32 v65, 31, v64
	v_dual_add_nc_u32 v66, s9, v64 :: v_dual_ashrrev_i32 v59, 31, v58
	v_dual_ashrrev_i32 v61, 31, v60 :: v_dual_add_nc_u32 v68, s9, v66
	s_delay_alu instid0(VALU_DEP_1) | instskip(SKIP_1) | instid1(VALU_DEP_1)
	v_dual_ashrrev_i32 v67, 31, v66 :: v_dual_ashrrev_i32 v69, 31, v68
	v_add_nc_u32_e32 v70, s9, v68
	v_ashrrev_i32_e32 v71, 31, v70
	s_wait_loadcnt_dscnt 0x0
	ds_store_b32 v105, v5 offset:292
	flat_load_b32 v5, v6, s[2:3] scale_offset
	s_wait_loadcnt_dscnt 0x0
	ds_store_b32 v105, v5 offset:296
	flat_load_b32 v5, v8, s[2:3] scale_offset
	;; [unrolled: 3-line block ×33, first 2 shown]
	v_add_nc_u32_e32 v5, 0x120, v105
	s_wait_loadcnt_dscnt 0x0
	ds_store_b32 v105, v74 offset:424
	s_cbranch_scc1 .LBB98_3
; %bb.2:
	v_lshl_add_u32 v74, v104, 2, v5
	ds_load_b32 v73, v74
	s_wait_dscnt 0x0
	v_div_scale_f32 v75, null, v73, v73, 1.0
	s_delay_alu instid0(VALU_DEP_1) | instskip(SKIP_1) | instid1(TRANS32_DEP_1)
	v_rcp_f32_e32 v76, v75
	v_nop
	v_fma_f32 v77, -v75, v76, 1.0
	s_delay_alu instid0(VALU_DEP_1) | instskip(SKIP_1) | instid1(VALU_DEP_1)
	v_fmac_f32_e32 v76, v77, v76
	v_div_scale_f32 v77, vcc_lo, 1.0, v73, 1.0
	v_mul_f32_e32 v78, v77, v76
	s_delay_alu instid0(VALU_DEP_1) | instskip(NEXT) | instid1(VALU_DEP_1)
	v_fma_f32 v79, -v75, v78, v77
	v_fmac_f32_e32 v78, v79, v76
	s_delay_alu instid0(VALU_DEP_1) | instskip(NEXT) | instid1(VALU_DEP_1)
	v_fma_f32 v75, -v75, v78, v77
	v_div_fmas_f32 v75, v75, v76, v78
	s_delay_alu instid0(VALU_DEP_1) | instskip(NEXT) | instid1(VALU_DEP_1)
	v_div_fixup_f32 v75, v75, v73, 1.0
	v_xor_b32_e32 v73, 0x80000000, v75
	ds_store_b32 v74, v75
.LBB98_3:
	v_add_nc_u32_e32 v106, 0x90, v4
	v_add_nc_u32_e32 v107, v5, v4
	s_cmp_eq_u32 s4, 0x79
	s_mov_b32 s1, -1
	ds_store_b32 v4, v73
	s_cbranch_scc1 .LBB98_337
; %bb.4:
	ds_load_b32 v73, v5 offset:132
	v_cmp_eq_u32_e64 s0, 34, v104
	s_wait_dscnt 0x0
	ds_store_b32 v106, v73
	s_wait_dscnt 0x0
	s_barrier_signal -1
	s_barrier_wait -1
	s_and_saveexec_b32 s1, s0
	s_cbranch_execz .LBB98_10
; %bb.5:
	s_and_b32 vcc_lo, exec_lo, s6
	s_cbranch_vccz .LBB98_7
; %bb.6:
	ds_load_b32 v73, v107
	ds_load_b32 v74, v106
	s_wait_dscnt 0x0
	v_mul_f32_e32 v73, v73, v74
	s_cbranch_execz .LBB98_8
	s_branch .LBB98_9
.LBB98_7:
                                        ; implicit-def: $vgpr73
.LBB98_8:
	ds_load_b32 v73, v106
.LBB98_9:
	v_mov_b32_e32 v74, 0
	ds_load_b32 v74, v74 offset:132
	s_wait_dscnt 0x0
	v_mul_f32_e32 v73, v73, v74
	ds_store_b32 v5, v73 offset:132
.LBB98_10:
	s_or_b32 exec_lo, exec_lo, s1
	ds_load_b32 v73, v5 offset:128
	v_cmp_lt_u32_e64 s1, 32, v104
	s_wait_dscnt 0x0
	ds_store_b32 v106, v73
	s_wait_dscnt 0x0
	s_barrier_signal -1
	s_barrier_wait -1
	s_and_saveexec_b32 s4, s1
	s_cbranch_execz .LBB98_16
; %bb.11:
	s_and_not1_b32 vcc_lo, exec_lo, s6
	s_cbranch_vccnz .LBB98_13
; %bb.12:
	ds_load_b32 v73, v107
	ds_load_b32 v74, v106
	s_wait_dscnt 0x0
	v_mul_f32_e32 v73, v73, v74
	s_cbranch_execz .LBB98_14
	s_branch .LBB98_15
.LBB98_13:
                                        ; implicit-def: $vgpr73
.LBB98_14:
	ds_load_b32 v73, v106
.LBB98_15:
	v_mov_b32_e32 v74, 0
	ds_load_b32 v76, v5 offset:132
	ds_load_2addr_b32 v[74:75], v74 offset0:32 offset1:69
	s_wait_dscnt 0x0
	v_fma_f32 v75, v76, v75, v73
	s_delay_alu instid0(VALU_DEP_1) | instskip(NEXT) | instid1(VALU_DEP_1)
	v_cndmask_b32_e64 v73, v73, v75, s0
	v_mul_f32_e32 v73, v73, v74
	ds_store_b32 v5, v73 offset:128
.LBB98_16:
	s_or_b32 exec_lo, exec_lo, s4
	ds_load_b32 v73, v5 offset:124
	v_cmp_lt_u32_e64 s0, 31, v104
	s_wait_dscnt 0x0
	ds_store_b32 v106, v73
	s_wait_dscnt 0x0
	s_barrier_signal -1
	s_barrier_wait -1
	s_and_saveexec_b32 s4, s0
	s_cbranch_execz .LBB98_26
; %bb.17:
	s_and_not1_b32 vcc_lo, exec_lo, s6
	s_cbranch_vccnz .LBB98_19
; %bb.18:
	ds_load_b32 v73, v107
	ds_load_b32 v74, v106
	s_wait_dscnt 0x0
	v_mul_f32_e32 v73, v73, v74
	s_cbranch_execz .LBB98_20
	s_branch .LBB98_21
.LBB98_19:
                                        ; implicit-def: $vgpr73
.LBB98_20:
	ds_load_b32 v73, v106
.LBB98_21:
	s_and_saveexec_b32 s5, s1
	s_cbranch_execz .LBB98_25
; %bb.22:
	s_movk_i32 s1, 0x8c
	v_subrev_nc_u32_e32 v75, 32, v104
	v_mad_u32 v74, v72, s1, 0x1a0
	s_movk_i32 s7, 0x110
	s_mov_b32 s1, 0
.LBB98_23:                              ; =>This Inner Loop Header: Depth=1
	s_delay_alu instid0(VALU_DEP_2)
	v_dual_mov_b32 v76, s7 :: v_dual_add_nc_u32 v75, -1, v75
	s_add_co_i32 s7, s7, 4
	ds_load_b32 v77, v74
	ds_load_b32 v76, v76
	v_add_nc_u32_e32 v74, 4, v74
	v_cmp_eq_u32_e32 vcc_lo, 0, v75
	s_or_b32 s1, vcc_lo, s1
	s_wait_dscnt 0x0
	v_fmac_f32_e32 v73, v77, v76
	s_and_not1_b32 exec_lo, exec_lo, s1
	s_cbranch_execnz .LBB98_23
; %bb.24:
	s_or_b32 exec_lo, exec_lo, s1
.LBB98_25:
	s_delay_alu instid0(SALU_CYCLE_1)
	s_or_b32 exec_lo, exec_lo, s5
	v_mov_b32_e32 v74, 0
	ds_load_b32 v74, v74 offset:124
	s_wait_dscnt 0x0
	v_mul_f32_e32 v73, v73, v74
	ds_store_b32 v5, v73 offset:124
.LBB98_26:
	s_or_b32 exec_lo, exec_lo, s4
	ds_load_b32 v73, v5 offset:120
	v_cmp_lt_u32_e64 s1, 30, v104
	s_wait_dscnt 0x0
	ds_store_b32 v106, v73
	s_wait_dscnt 0x0
	s_barrier_signal -1
	s_barrier_wait -1
	s_and_saveexec_b32 s4, s1
	s_cbranch_execz .LBB98_36
; %bb.27:
	s_and_not1_b32 vcc_lo, exec_lo, s6
	s_cbranch_vccnz .LBB98_29
; %bb.28:
	ds_load_b32 v73, v107
	ds_load_b32 v74, v106
	s_wait_dscnt 0x0
	v_mul_f32_e32 v73, v73, v74
	s_cbranch_execz .LBB98_30
	s_branch .LBB98_31
.LBB98_29:
                                        ; implicit-def: $vgpr73
.LBB98_30:
	ds_load_b32 v73, v106
.LBB98_31:
	s_and_saveexec_b32 s5, s0
	s_cbranch_execz .LBB98_35
; %bb.32:
	s_movk_i32 s0, 0x8c
	v_subrev_nc_u32_e32 v75, 31, v104
	v_mad_u32 v74, v72, s0, 0x19c
	s_movk_i32 s7, 0x10c
	s_mov_b32 s0, 0
.LBB98_33:                              ; =>This Inner Loop Header: Depth=1
	s_delay_alu instid0(VALU_DEP_2)
	v_dual_mov_b32 v76, s7 :: v_dual_add_nc_u32 v75, -1, v75
	s_add_co_i32 s7, s7, 4
	ds_load_b32 v77, v74
	ds_load_b32 v76, v76
	v_add_nc_u32_e32 v74, 4, v74
	v_cmp_eq_u32_e32 vcc_lo, 0, v75
	s_or_b32 s0, vcc_lo, s0
	s_wait_dscnt 0x0
	v_fmac_f32_e32 v73, v77, v76
	s_and_not1_b32 exec_lo, exec_lo, s0
	s_cbranch_execnz .LBB98_33
; %bb.34:
	s_or_b32 exec_lo, exec_lo, s0
.LBB98_35:
	s_delay_alu instid0(SALU_CYCLE_1)
	s_or_b32 exec_lo, exec_lo, s5
	v_mov_b32_e32 v74, 0
	ds_load_b32 v74, v74 offset:120
	s_wait_dscnt 0x0
	v_mul_f32_e32 v73, v73, v74
	ds_store_b32 v5, v73 offset:120
.LBB98_36:
	;; [unrolled: 57-line block ×8, first 2 shown]
	s_or_b32 exec_lo, exec_lo, s4
	ds_load_b32 v73, v5 offset:92
	v_cmp_lt_u32_e64 s0, 23, v104
	s_wait_dscnt 0x0
	ds_store_b32 v106, v73
	s_wait_dscnt 0x0
	s_barrier_signal -1
	s_barrier_wait -1
	s_and_saveexec_b32 s4, s0
	s_cbranch_execz .LBB98_106
; %bb.97:
	s_and_not1_b32 vcc_lo, exec_lo, s6
	s_cbranch_vccnz .LBB98_99
; %bb.98:
	ds_load_b32 v73, v107
	ds_load_b32 v74, v106
	s_wait_dscnt 0x0
	v_mul_f32_e32 v73, v73, v74
	s_cbranch_execz .LBB98_100
	s_branch .LBB98_101
.LBB98_99:
                                        ; implicit-def: $vgpr73
.LBB98_100:
	ds_load_b32 v73, v106
.LBB98_101:
	s_and_saveexec_b32 s5, s1
	s_cbranch_execz .LBB98_105
; %bb.102:
	s_movk_i32 s1, 0x8c
	v_subrev_nc_u32_e32 v75, 24, v104
	v_mad_u32 v74, v72, s1, 0x180
	s_movk_i32 s7, 0xf0
	s_mov_b32 s1, 0
.LBB98_103:                             ; =>This Inner Loop Header: Depth=1
	s_delay_alu instid0(VALU_DEP_2)
	v_dual_mov_b32 v76, s7 :: v_dual_add_nc_u32 v75, -1, v75
	s_add_co_i32 s7, s7, 4
	ds_load_b32 v77, v74
	ds_load_b32 v76, v76
	v_add_nc_u32_e32 v74, 4, v74
	v_cmp_eq_u32_e32 vcc_lo, 0, v75
	s_or_b32 s1, vcc_lo, s1
	s_wait_dscnt 0x0
	v_fmac_f32_e32 v73, v77, v76
	s_and_not1_b32 exec_lo, exec_lo, s1
	s_cbranch_execnz .LBB98_103
; %bb.104:
	s_or_b32 exec_lo, exec_lo, s1
.LBB98_105:
	s_delay_alu instid0(SALU_CYCLE_1)
	s_or_b32 exec_lo, exec_lo, s5
	v_mov_b32_e32 v74, 0
	ds_load_b32 v74, v74 offset:92
	s_wait_dscnt 0x0
	v_mul_f32_e32 v73, v73, v74
	ds_store_b32 v5, v73 offset:92
.LBB98_106:
	s_or_b32 exec_lo, exec_lo, s4
	ds_load_b32 v73, v5 offset:88
	v_cmp_lt_u32_e64 s1, 22, v104
	s_wait_dscnt 0x0
	ds_store_b32 v106, v73
	s_wait_dscnt 0x0
	s_barrier_signal -1
	s_barrier_wait -1
	s_and_saveexec_b32 s4, s1
	s_cbranch_execz .LBB98_116
; %bb.107:
	s_and_not1_b32 vcc_lo, exec_lo, s6
	s_cbranch_vccnz .LBB98_109
; %bb.108:
	ds_load_b32 v73, v107
	ds_load_b32 v74, v106
	s_wait_dscnt 0x0
	v_mul_f32_e32 v73, v73, v74
	s_cbranch_execz .LBB98_110
	s_branch .LBB98_111
.LBB98_109:
                                        ; implicit-def: $vgpr73
.LBB98_110:
	ds_load_b32 v73, v106
.LBB98_111:
	s_and_saveexec_b32 s5, s0
	s_cbranch_execz .LBB98_115
; %bb.112:
	s_movk_i32 s0, 0x8c
	v_subrev_nc_u32_e32 v75, 23, v104
	v_mad_u32 v74, v72, s0, 0x17c
	s_movk_i32 s7, 0xec
	s_mov_b32 s0, 0
.LBB98_113:                             ; =>This Inner Loop Header: Depth=1
	s_delay_alu instid0(VALU_DEP_2)
	v_dual_mov_b32 v76, s7 :: v_dual_add_nc_u32 v75, -1, v75
	s_add_co_i32 s7, s7, 4
	ds_load_b32 v77, v74
	ds_load_b32 v76, v76
	v_add_nc_u32_e32 v74, 4, v74
	v_cmp_eq_u32_e32 vcc_lo, 0, v75
	s_or_b32 s0, vcc_lo, s0
	s_wait_dscnt 0x0
	v_fmac_f32_e32 v73, v77, v76
	s_and_not1_b32 exec_lo, exec_lo, s0
	s_cbranch_execnz .LBB98_113
; %bb.114:
	s_or_b32 exec_lo, exec_lo, s0
.LBB98_115:
	s_delay_alu instid0(SALU_CYCLE_1)
	s_or_b32 exec_lo, exec_lo, s5
	v_mov_b32_e32 v74, 0
	ds_load_b32 v74, v74 offset:88
	s_wait_dscnt 0x0
	v_mul_f32_e32 v73, v73, v74
	ds_store_b32 v5, v73 offset:88
.LBB98_116:
	;; [unrolled: 57-line block ×8, first 2 shown]
	s_or_b32 exec_lo, exec_lo, s4
	ds_load_b32 v73, v5 offset:60
	v_cmp_lt_u32_e64 s0, 15, v104
	s_wait_dscnt 0x0
	ds_store_b32 v106, v73
	s_wait_dscnt 0x0
	s_barrier_signal -1
	s_barrier_wait -1
	s_and_saveexec_b32 s4, s0
	s_cbranch_execz .LBB98_186
; %bb.177:
	s_and_not1_b32 vcc_lo, exec_lo, s6
	s_cbranch_vccnz .LBB98_179
; %bb.178:
	ds_load_b32 v73, v107
	ds_load_b32 v74, v106
	s_wait_dscnt 0x0
	v_mul_f32_e32 v73, v73, v74
	s_cbranch_execz .LBB98_180
	s_branch .LBB98_181
.LBB98_179:
                                        ; implicit-def: $vgpr73
.LBB98_180:
	ds_load_b32 v73, v106
.LBB98_181:
	s_and_saveexec_b32 s5, s1
	s_cbranch_execz .LBB98_185
; %bb.182:
	s_movk_i32 s1, 0x8c
	v_add_nc_u32_e32 v75, -16, v104
	v_mad_u32 v74, v72, s1, 0x160
	s_movk_i32 s7, 0xd0
	s_mov_b32 s1, 0
.LBB98_183:                             ; =>This Inner Loop Header: Depth=1
	s_delay_alu instid0(VALU_DEP_2)
	v_dual_mov_b32 v76, s7 :: v_dual_add_nc_u32 v75, -1, v75
	s_add_co_i32 s7, s7, 4
	ds_load_b32 v77, v74
	ds_load_b32 v76, v76
	v_add_nc_u32_e32 v74, 4, v74
	v_cmp_eq_u32_e32 vcc_lo, 0, v75
	s_or_b32 s1, vcc_lo, s1
	s_wait_dscnt 0x0
	v_fmac_f32_e32 v73, v77, v76
	s_and_not1_b32 exec_lo, exec_lo, s1
	s_cbranch_execnz .LBB98_183
; %bb.184:
	s_or_b32 exec_lo, exec_lo, s1
.LBB98_185:
	s_delay_alu instid0(SALU_CYCLE_1)
	s_or_b32 exec_lo, exec_lo, s5
	v_mov_b32_e32 v74, 0
	ds_load_b32 v74, v74 offset:60
	s_wait_dscnt 0x0
	v_mul_f32_e32 v73, v73, v74
	ds_store_b32 v5, v73 offset:60
.LBB98_186:
	s_or_b32 exec_lo, exec_lo, s4
	ds_load_b32 v73, v5 offset:56
	v_cmp_lt_u32_e64 s1, 14, v104
	s_wait_dscnt 0x0
	ds_store_b32 v106, v73
	s_wait_dscnt 0x0
	s_barrier_signal -1
	s_barrier_wait -1
	s_and_saveexec_b32 s4, s1
	s_cbranch_execz .LBB98_196
; %bb.187:
	s_and_not1_b32 vcc_lo, exec_lo, s6
	s_cbranch_vccnz .LBB98_189
; %bb.188:
	ds_load_b32 v73, v107
	ds_load_b32 v74, v106
	s_wait_dscnt 0x0
	v_mul_f32_e32 v73, v73, v74
	s_cbranch_execz .LBB98_190
	s_branch .LBB98_191
.LBB98_189:
                                        ; implicit-def: $vgpr73
.LBB98_190:
	ds_load_b32 v73, v106
.LBB98_191:
	s_and_saveexec_b32 s5, s0
	s_cbranch_execz .LBB98_195
; %bb.192:
	s_movk_i32 s0, 0x8c
	v_add_nc_u32_e32 v75, -15, v104
	v_mad_u32 v74, v72, s0, 0x15c
	s_movk_i32 s7, 0xcc
	s_mov_b32 s0, 0
.LBB98_193:                             ; =>This Inner Loop Header: Depth=1
	s_delay_alu instid0(VALU_DEP_2)
	v_dual_mov_b32 v76, s7 :: v_dual_add_nc_u32 v75, -1, v75
	s_add_co_i32 s7, s7, 4
	ds_load_b32 v77, v74
	ds_load_b32 v76, v76
	v_add_nc_u32_e32 v74, 4, v74
	v_cmp_eq_u32_e32 vcc_lo, 0, v75
	s_or_b32 s0, vcc_lo, s0
	s_wait_dscnt 0x0
	v_fmac_f32_e32 v73, v77, v76
	s_and_not1_b32 exec_lo, exec_lo, s0
	s_cbranch_execnz .LBB98_193
; %bb.194:
	s_or_b32 exec_lo, exec_lo, s0
.LBB98_195:
	s_delay_alu instid0(SALU_CYCLE_1)
	s_or_b32 exec_lo, exec_lo, s5
	v_mov_b32_e32 v74, 0
	ds_load_b32 v74, v74 offset:56
	s_wait_dscnt 0x0
	v_mul_f32_e32 v73, v73, v74
	ds_store_b32 v5, v73 offset:56
.LBB98_196:
	s_or_b32 exec_lo, exec_lo, s4
	ds_load_b32 v73, v5 offset:52
	v_cmp_lt_u32_e64 s0, 13, v104
	s_wait_dscnt 0x0
	ds_store_b32 v106, v73
	s_wait_dscnt 0x0
	s_barrier_signal -1
	s_barrier_wait -1
	s_and_saveexec_b32 s4, s0
	s_cbranch_execz .LBB98_206
; %bb.197:
	s_and_not1_b32 vcc_lo, exec_lo, s6
	s_cbranch_vccnz .LBB98_199
; %bb.198:
	ds_load_b32 v73, v107
	ds_load_b32 v74, v106
	s_wait_dscnt 0x0
	v_mul_f32_e32 v73, v73, v74
	s_cbranch_execz .LBB98_200
	s_branch .LBB98_201
.LBB98_199:
                                        ; implicit-def: $vgpr73
.LBB98_200:
	ds_load_b32 v73, v106
.LBB98_201:
	s_and_saveexec_b32 s5, s1
	s_cbranch_execz .LBB98_205
; %bb.202:
	s_movk_i32 s1, 0x8c
	v_add_nc_u32_e32 v75, -14, v104
	v_mad_u32 v74, v72, s1, 0x158
	s_movk_i32 s7, 0xc8
	s_mov_b32 s1, 0
.LBB98_203:                             ; =>This Inner Loop Header: Depth=1
	s_delay_alu instid0(VALU_DEP_2)
	v_dual_mov_b32 v76, s7 :: v_dual_add_nc_u32 v75, -1, v75
	s_add_co_i32 s7, s7, 4
	ds_load_b32 v77, v74
	ds_load_b32 v76, v76
	v_add_nc_u32_e32 v74, 4, v74
	v_cmp_eq_u32_e32 vcc_lo, 0, v75
	s_or_b32 s1, vcc_lo, s1
	s_wait_dscnt 0x0
	v_fmac_f32_e32 v73, v77, v76
	s_and_not1_b32 exec_lo, exec_lo, s1
	s_cbranch_execnz .LBB98_203
; %bb.204:
	s_or_b32 exec_lo, exec_lo, s1
.LBB98_205:
	s_delay_alu instid0(SALU_CYCLE_1)
	s_or_b32 exec_lo, exec_lo, s5
	v_mov_b32_e32 v74, 0
	ds_load_b32 v74, v74 offset:52
	s_wait_dscnt 0x0
	v_mul_f32_e32 v73, v73, v74
	ds_store_b32 v5, v73 offset:52
.LBB98_206:
	s_or_b32 exec_lo, exec_lo, s4
	ds_load_b32 v73, v5 offset:48
	v_cmp_lt_u32_e64 s1, 12, v104
	s_wait_dscnt 0x0
	ds_store_b32 v106, v73
	s_wait_dscnt 0x0
	s_barrier_signal -1
	s_barrier_wait -1
	s_and_saveexec_b32 s4, s1
	s_cbranch_execz .LBB98_216
; %bb.207:
	s_and_not1_b32 vcc_lo, exec_lo, s6
	s_cbranch_vccnz .LBB98_209
; %bb.208:
	ds_load_b32 v73, v107
	ds_load_b32 v74, v106
	s_wait_dscnt 0x0
	v_mul_f32_e32 v73, v73, v74
	s_cbranch_execz .LBB98_210
	s_branch .LBB98_211
.LBB98_209:
                                        ; implicit-def: $vgpr73
.LBB98_210:
	ds_load_b32 v73, v106
.LBB98_211:
	s_and_saveexec_b32 s5, s0
	s_cbranch_execz .LBB98_215
; %bb.212:
	s_movk_i32 s0, 0x8c
	v_add_nc_u32_e32 v75, -13, v104
	v_mad_u32 v74, v72, s0, 0x154
	s_movk_i32 s7, 0xc4
	s_mov_b32 s0, 0
.LBB98_213:                             ; =>This Inner Loop Header: Depth=1
	s_delay_alu instid0(VALU_DEP_2)
	v_dual_mov_b32 v76, s7 :: v_dual_add_nc_u32 v75, -1, v75
	s_add_co_i32 s7, s7, 4
	ds_load_b32 v77, v74
	ds_load_b32 v76, v76
	v_add_nc_u32_e32 v74, 4, v74
	v_cmp_eq_u32_e32 vcc_lo, 0, v75
	s_or_b32 s0, vcc_lo, s0
	s_wait_dscnt 0x0
	v_fmac_f32_e32 v73, v77, v76
	s_and_not1_b32 exec_lo, exec_lo, s0
	s_cbranch_execnz .LBB98_213
; %bb.214:
	s_or_b32 exec_lo, exec_lo, s0
.LBB98_215:
	s_delay_alu instid0(SALU_CYCLE_1)
	s_or_b32 exec_lo, exec_lo, s5
	v_mov_b32_e32 v74, 0
	ds_load_b32 v74, v74 offset:48
	s_wait_dscnt 0x0
	v_mul_f32_e32 v73, v73, v74
	ds_store_b32 v5, v73 offset:48
.LBB98_216:
	s_or_b32 exec_lo, exec_lo, s4
	ds_load_b32 v73, v5 offset:44
	v_cmp_lt_u32_e64 s0, 11, v104
	s_wait_dscnt 0x0
	ds_store_b32 v106, v73
	s_wait_dscnt 0x0
	s_barrier_signal -1
	s_barrier_wait -1
	s_and_saveexec_b32 s4, s0
	s_cbranch_execz .LBB98_226
; %bb.217:
	s_and_not1_b32 vcc_lo, exec_lo, s6
	s_cbranch_vccnz .LBB98_219
; %bb.218:
	ds_load_b32 v73, v107
	ds_load_b32 v74, v106
	s_wait_dscnt 0x0
	v_mul_f32_e32 v73, v73, v74
	s_cbranch_execz .LBB98_220
	s_branch .LBB98_221
.LBB98_219:
                                        ; implicit-def: $vgpr73
.LBB98_220:
	ds_load_b32 v73, v106
.LBB98_221:
	s_and_saveexec_b32 s5, s1
	s_cbranch_execz .LBB98_225
; %bb.222:
	s_movk_i32 s1, 0x8c
	v_add_nc_u32_e32 v75, -12, v104
	v_mad_u32 v74, v72, s1, 0x150
	s_movk_i32 s7, 0xc0
	s_mov_b32 s1, 0
.LBB98_223:                             ; =>This Inner Loop Header: Depth=1
	s_delay_alu instid0(VALU_DEP_2)
	v_dual_mov_b32 v76, s7 :: v_dual_add_nc_u32 v75, -1, v75
	s_add_co_i32 s7, s7, 4
	ds_load_b32 v77, v74
	ds_load_b32 v76, v76
	v_add_nc_u32_e32 v74, 4, v74
	v_cmp_eq_u32_e32 vcc_lo, 0, v75
	s_or_b32 s1, vcc_lo, s1
	s_wait_dscnt 0x0
	v_fmac_f32_e32 v73, v77, v76
	s_and_not1_b32 exec_lo, exec_lo, s1
	s_cbranch_execnz .LBB98_223
; %bb.224:
	s_or_b32 exec_lo, exec_lo, s1
.LBB98_225:
	s_delay_alu instid0(SALU_CYCLE_1)
	s_or_b32 exec_lo, exec_lo, s5
	v_mov_b32_e32 v74, 0
	ds_load_b32 v74, v74 offset:44
	s_wait_dscnt 0x0
	v_mul_f32_e32 v73, v73, v74
	ds_store_b32 v5, v73 offset:44
.LBB98_226:
	s_or_b32 exec_lo, exec_lo, s4
	ds_load_b32 v73, v5 offset:40
	v_cmp_lt_u32_e64 s1, 10, v104
	s_wait_dscnt 0x0
	ds_store_b32 v106, v73
	s_wait_dscnt 0x0
	s_barrier_signal -1
	s_barrier_wait -1
	s_and_saveexec_b32 s4, s1
	s_cbranch_execz .LBB98_236
; %bb.227:
	s_and_not1_b32 vcc_lo, exec_lo, s6
	s_cbranch_vccnz .LBB98_229
; %bb.228:
	ds_load_b32 v73, v107
	ds_load_b32 v74, v106
	s_wait_dscnt 0x0
	v_mul_f32_e32 v73, v73, v74
	s_cbranch_execz .LBB98_230
	s_branch .LBB98_231
.LBB98_229:
                                        ; implicit-def: $vgpr73
.LBB98_230:
	ds_load_b32 v73, v106
.LBB98_231:
	s_and_saveexec_b32 s5, s0
	s_cbranch_execz .LBB98_235
; %bb.232:
	s_movk_i32 s0, 0x8c
	v_add_nc_u32_e32 v75, -11, v104
	v_mad_u32 v74, v72, s0, 0x14c
	s_movk_i32 s7, 0xbc
	s_mov_b32 s0, 0
.LBB98_233:                             ; =>This Inner Loop Header: Depth=1
	s_delay_alu instid0(VALU_DEP_2)
	v_dual_mov_b32 v76, s7 :: v_dual_add_nc_u32 v75, -1, v75
	s_add_co_i32 s7, s7, 4
	ds_load_b32 v77, v74
	ds_load_b32 v76, v76
	v_add_nc_u32_e32 v74, 4, v74
	v_cmp_eq_u32_e32 vcc_lo, 0, v75
	s_or_b32 s0, vcc_lo, s0
	s_wait_dscnt 0x0
	v_fmac_f32_e32 v73, v77, v76
	s_and_not1_b32 exec_lo, exec_lo, s0
	s_cbranch_execnz .LBB98_233
; %bb.234:
	s_or_b32 exec_lo, exec_lo, s0
.LBB98_235:
	s_delay_alu instid0(SALU_CYCLE_1)
	s_or_b32 exec_lo, exec_lo, s5
	v_mov_b32_e32 v74, 0
	ds_load_b32 v74, v74 offset:40
	s_wait_dscnt 0x0
	v_mul_f32_e32 v73, v73, v74
	ds_store_b32 v5, v73 offset:40
.LBB98_236:
	s_or_b32 exec_lo, exec_lo, s4
	ds_load_b32 v73, v5 offset:36
	v_cmp_lt_u32_e64 s0, 9, v104
	s_wait_dscnt 0x0
	ds_store_b32 v106, v73
	s_wait_dscnt 0x0
	s_barrier_signal -1
	s_barrier_wait -1
	s_and_saveexec_b32 s4, s0
	s_cbranch_execz .LBB98_246
; %bb.237:
	s_and_not1_b32 vcc_lo, exec_lo, s6
	s_cbranch_vccnz .LBB98_239
; %bb.238:
	ds_load_b32 v73, v107
	ds_load_b32 v74, v106
	s_wait_dscnt 0x0
	v_mul_f32_e32 v73, v73, v74
	s_cbranch_execz .LBB98_240
	s_branch .LBB98_241
.LBB98_239:
                                        ; implicit-def: $vgpr73
.LBB98_240:
	ds_load_b32 v73, v106
.LBB98_241:
	s_and_saveexec_b32 s5, s1
	s_cbranch_execz .LBB98_245
; %bb.242:
	s_movk_i32 s1, 0x8c
	v_add_nc_u32_e32 v75, -10, v104
	v_mad_u32 v74, v72, s1, 0x148
	s_movk_i32 s7, 0xb8
	s_mov_b32 s1, 0
.LBB98_243:                             ; =>This Inner Loop Header: Depth=1
	s_delay_alu instid0(VALU_DEP_2)
	v_dual_mov_b32 v76, s7 :: v_dual_add_nc_u32 v75, -1, v75
	s_add_co_i32 s7, s7, 4
	ds_load_b32 v77, v74
	ds_load_b32 v76, v76
	v_add_nc_u32_e32 v74, 4, v74
	v_cmp_eq_u32_e32 vcc_lo, 0, v75
	s_or_b32 s1, vcc_lo, s1
	s_wait_dscnt 0x0
	v_fmac_f32_e32 v73, v77, v76
	s_and_not1_b32 exec_lo, exec_lo, s1
	s_cbranch_execnz .LBB98_243
; %bb.244:
	s_or_b32 exec_lo, exec_lo, s1
.LBB98_245:
	s_delay_alu instid0(SALU_CYCLE_1)
	s_or_b32 exec_lo, exec_lo, s5
	v_mov_b32_e32 v74, 0
	ds_load_b32 v74, v74 offset:36
	s_wait_dscnt 0x0
	v_mul_f32_e32 v73, v73, v74
	ds_store_b32 v5, v73 offset:36
.LBB98_246:
	s_or_b32 exec_lo, exec_lo, s4
	ds_load_b32 v73, v5 offset:32
	v_cmp_lt_u32_e64 s1, 8, v104
	s_wait_dscnt 0x0
	ds_store_b32 v106, v73
	s_wait_dscnt 0x0
	s_barrier_signal -1
	s_barrier_wait -1
	s_and_saveexec_b32 s4, s1
	s_cbranch_execz .LBB98_256
; %bb.247:
	s_and_not1_b32 vcc_lo, exec_lo, s6
	s_cbranch_vccnz .LBB98_249
; %bb.248:
	ds_load_b32 v73, v107
	ds_load_b32 v74, v106
	s_wait_dscnt 0x0
	v_mul_f32_e32 v73, v73, v74
	s_cbranch_execz .LBB98_250
	s_branch .LBB98_251
.LBB98_249:
                                        ; implicit-def: $vgpr73
.LBB98_250:
	ds_load_b32 v73, v106
.LBB98_251:
	s_and_saveexec_b32 s5, s0
	s_cbranch_execz .LBB98_255
; %bb.252:
	s_movk_i32 s0, 0x8c
	v_add_nc_u32_e32 v75, -9, v104
	v_mad_u32 v74, v72, s0, 0x144
	s_movk_i32 s7, 0xb4
	s_mov_b32 s0, 0
.LBB98_253:                             ; =>This Inner Loop Header: Depth=1
	s_delay_alu instid0(VALU_DEP_2)
	v_dual_mov_b32 v76, s7 :: v_dual_add_nc_u32 v75, -1, v75
	s_add_co_i32 s7, s7, 4
	ds_load_b32 v77, v74
	ds_load_b32 v76, v76
	v_add_nc_u32_e32 v74, 4, v74
	v_cmp_eq_u32_e32 vcc_lo, 0, v75
	s_or_b32 s0, vcc_lo, s0
	s_wait_dscnt 0x0
	v_fmac_f32_e32 v73, v77, v76
	s_and_not1_b32 exec_lo, exec_lo, s0
	s_cbranch_execnz .LBB98_253
; %bb.254:
	s_or_b32 exec_lo, exec_lo, s0
.LBB98_255:
	s_delay_alu instid0(SALU_CYCLE_1)
	s_or_b32 exec_lo, exec_lo, s5
	v_mov_b32_e32 v74, 0
	ds_load_b32 v74, v74 offset:32
	s_wait_dscnt 0x0
	v_mul_f32_e32 v73, v73, v74
	ds_store_b32 v5, v73 offset:32
.LBB98_256:
	s_or_b32 exec_lo, exec_lo, s4
	ds_load_b32 v73, v5 offset:28
	v_cmp_lt_u32_e64 s0, 7, v104
	s_wait_dscnt 0x0
	ds_store_b32 v106, v73
	s_wait_dscnt 0x0
	s_barrier_signal -1
	s_barrier_wait -1
	s_and_saveexec_b32 s4, s0
	s_cbranch_execz .LBB98_266
; %bb.257:
	s_and_not1_b32 vcc_lo, exec_lo, s6
	s_cbranch_vccnz .LBB98_259
; %bb.258:
	ds_load_b32 v73, v107
	ds_load_b32 v74, v106
	s_wait_dscnt 0x0
	v_mul_f32_e32 v73, v73, v74
	s_cbranch_execz .LBB98_260
	s_branch .LBB98_261
.LBB98_259:
                                        ; implicit-def: $vgpr73
.LBB98_260:
	ds_load_b32 v73, v106
.LBB98_261:
	s_and_saveexec_b32 s5, s1
	s_cbranch_execz .LBB98_265
; %bb.262:
	s_movk_i32 s1, 0x8c
	v_add_nc_u32_e32 v75, -8, v104
	v_mad_u32 v74, v72, s1, 0x140
	s_movk_i32 s7, 0xb0
	s_mov_b32 s1, 0
.LBB98_263:                             ; =>This Inner Loop Header: Depth=1
	s_delay_alu instid0(VALU_DEP_2)
	v_dual_mov_b32 v76, s7 :: v_dual_add_nc_u32 v75, -1, v75
	s_add_co_i32 s7, s7, 4
	ds_load_b32 v77, v74
	ds_load_b32 v76, v76
	v_add_nc_u32_e32 v74, 4, v74
	v_cmp_eq_u32_e32 vcc_lo, 0, v75
	s_or_b32 s1, vcc_lo, s1
	s_wait_dscnt 0x0
	v_fmac_f32_e32 v73, v77, v76
	s_and_not1_b32 exec_lo, exec_lo, s1
	s_cbranch_execnz .LBB98_263
; %bb.264:
	s_or_b32 exec_lo, exec_lo, s1
.LBB98_265:
	s_delay_alu instid0(SALU_CYCLE_1)
	s_or_b32 exec_lo, exec_lo, s5
	v_mov_b32_e32 v74, 0
	ds_load_b32 v74, v74 offset:28
	s_wait_dscnt 0x0
	v_mul_f32_e32 v73, v73, v74
	ds_store_b32 v5, v73 offset:28
.LBB98_266:
	s_or_b32 exec_lo, exec_lo, s4
	ds_load_b32 v73, v5 offset:24
	v_cmp_lt_u32_e64 s1, 6, v104
	s_wait_dscnt 0x0
	ds_store_b32 v106, v73
	s_wait_dscnt 0x0
	s_barrier_signal -1
	s_barrier_wait -1
	s_and_saveexec_b32 s4, s1
	s_cbranch_execz .LBB98_276
; %bb.267:
	s_and_not1_b32 vcc_lo, exec_lo, s6
	s_cbranch_vccnz .LBB98_269
; %bb.268:
	ds_load_b32 v73, v107
	ds_load_b32 v74, v106
	s_wait_dscnt 0x0
	v_mul_f32_e32 v73, v73, v74
	s_cbranch_execz .LBB98_270
	s_branch .LBB98_271
.LBB98_269:
                                        ; implicit-def: $vgpr73
.LBB98_270:
	ds_load_b32 v73, v106
.LBB98_271:
	s_and_saveexec_b32 s5, s0
	s_cbranch_execz .LBB98_275
; %bb.272:
	s_movk_i32 s0, 0x8c
	v_add_nc_u32_e32 v75, -7, v104
	v_mad_u32 v74, v72, s0, 0x13c
	s_movk_i32 s7, 0xac
	s_mov_b32 s0, 0
.LBB98_273:                             ; =>This Inner Loop Header: Depth=1
	s_delay_alu instid0(VALU_DEP_2)
	v_dual_mov_b32 v76, s7 :: v_dual_add_nc_u32 v75, -1, v75
	s_add_co_i32 s7, s7, 4
	ds_load_b32 v77, v74
	ds_load_b32 v76, v76
	v_add_nc_u32_e32 v74, 4, v74
	v_cmp_eq_u32_e32 vcc_lo, 0, v75
	s_or_b32 s0, vcc_lo, s0
	s_wait_dscnt 0x0
	v_fmac_f32_e32 v73, v77, v76
	s_and_not1_b32 exec_lo, exec_lo, s0
	s_cbranch_execnz .LBB98_273
; %bb.274:
	s_or_b32 exec_lo, exec_lo, s0
.LBB98_275:
	s_delay_alu instid0(SALU_CYCLE_1)
	s_or_b32 exec_lo, exec_lo, s5
	v_mov_b32_e32 v74, 0
	ds_load_b32 v74, v74 offset:24
	s_wait_dscnt 0x0
	v_mul_f32_e32 v73, v73, v74
	ds_store_b32 v5, v73 offset:24
.LBB98_276:
	s_or_b32 exec_lo, exec_lo, s4
	ds_load_b32 v73, v5 offset:20
	v_cmp_lt_u32_e64 s0, 5, v104
	s_wait_dscnt 0x0
	ds_store_b32 v106, v73
	s_wait_dscnt 0x0
	s_barrier_signal -1
	s_barrier_wait -1
	s_and_saveexec_b32 s4, s0
	s_cbranch_execz .LBB98_286
; %bb.277:
	s_and_not1_b32 vcc_lo, exec_lo, s6
	s_cbranch_vccnz .LBB98_279
; %bb.278:
	ds_load_b32 v73, v107
	ds_load_b32 v74, v106
	s_wait_dscnt 0x0
	v_mul_f32_e32 v73, v73, v74
	s_cbranch_execz .LBB98_280
	s_branch .LBB98_281
.LBB98_279:
                                        ; implicit-def: $vgpr73
.LBB98_280:
	ds_load_b32 v73, v106
.LBB98_281:
	s_and_saveexec_b32 s5, s1
	s_cbranch_execz .LBB98_285
; %bb.282:
	s_movk_i32 s1, 0x8c
	v_add_nc_u32_e32 v75, -6, v104
	v_mad_u32 v74, v72, s1, 0x138
	s_movk_i32 s7, 0xa8
	s_mov_b32 s1, 0
.LBB98_283:                             ; =>This Inner Loop Header: Depth=1
	s_delay_alu instid0(VALU_DEP_2)
	v_dual_mov_b32 v76, s7 :: v_dual_add_nc_u32 v75, -1, v75
	s_add_co_i32 s7, s7, 4
	ds_load_b32 v77, v74
	ds_load_b32 v76, v76
	v_add_nc_u32_e32 v74, 4, v74
	v_cmp_eq_u32_e32 vcc_lo, 0, v75
	s_or_b32 s1, vcc_lo, s1
	s_wait_dscnt 0x0
	v_fmac_f32_e32 v73, v77, v76
	s_and_not1_b32 exec_lo, exec_lo, s1
	s_cbranch_execnz .LBB98_283
; %bb.284:
	s_or_b32 exec_lo, exec_lo, s1
.LBB98_285:
	s_delay_alu instid0(SALU_CYCLE_1)
	s_or_b32 exec_lo, exec_lo, s5
	v_mov_b32_e32 v74, 0
	ds_load_b32 v74, v74 offset:20
	s_wait_dscnt 0x0
	v_mul_f32_e32 v73, v73, v74
	ds_store_b32 v5, v73 offset:20
.LBB98_286:
	s_or_b32 exec_lo, exec_lo, s4
	ds_load_b32 v73, v5 offset:16
	v_cmp_lt_u32_e64 s1, 4, v104
	s_wait_dscnt 0x0
	ds_store_b32 v106, v73
	s_wait_dscnt 0x0
	s_barrier_signal -1
	s_barrier_wait -1
	s_and_saveexec_b32 s4, s1
	s_cbranch_execz .LBB98_296
; %bb.287:
	s_and_not1_b32 vcc_lo, exec_lo, s6
	s_cbranch_vccnz .LBB98_289
; %bb.288:
	ds_load_b32 v73, v107
	ds_load_b32 v74, v106
	s_wait_dscnt 0x0
	v_mul_f32_e32 v73, v73, v74
	s_cbranch_execz .LBB98_290
	s_branch .LBB98_291
.LBB98_289:
                                        ; implicit-def: $vgpr73
.LBB98_290:
	ds_load_b32 v73, v106
.LBB98_291:
	s_and_saveexec_b32 s5, s0
	s_cbranch_execz .LBB98_295
; %bb.292:
	s_movk_i32 s0, 0x8c
	v_add_nc_u32_e32 v75, -5, v104
	v_mad_u32 v74, v72, s0, 0x134
	s_movk_i32 s7, 0xa4
	s_mov_b32 s0, 0
.LBB98_293:                             ; =>This Inner Loop Header: Depth=1
	s_delay_alu instid0(VALU_DEP_2)
	v_dual_mov_b32 v76, s7 :: v_dual_add_nc_u32 v75, -1, v75
	s_add_co_i32 s7, s7, 4
	ds_load_b32 v77, v74
	ds_load_b32 v76, v76
	v_add_nc_u32_e32 v74, 4, v74
	v_cmp_eq_u32_e32 vcc_lo, 0, v75
	s_or_b32 s0, vcc_lo, s0
	s_wait_dscnt 0x0
	v_fmac_f32_e32 v73, v77, v76
	s_and_not1_b32 exec_lo, exec_lo, s0
	s_cbranch_execnz .LBB98_293
; %bb.294:
	s_or_b32 exec_lo, exec_lo, s0
.LBB98_295:
	s_delay_alu instid0(SALU_CYCLE_1)
	s_or_b32 exec_lo, exec_lo, s5
	v_mov_b32_e32 v74, 0
	ds_load_b32 v74, v74 offset:16
	s_wait_dscnt 0x0
	v_mul_f32_e32 v73, v73, v74
	ds_store_b32 v5, v73 offset:16
.LBB98_296:
	s_or_b32 exec_lo, exec_lo, s4
	ds_load_b32 v73, v5 offset:12
	v_cmp_lt_u32_e64 s0, 3, v104
	s_wait_dscnt 0x0
	ds_store_b32 v106, v73
	s_wait_dscnt 0x0
	s_barrier_signal -1
	s_barrier_wait -1
	s_and_saveexec_b32 s4, s0
	s_cbranch_execz .LBB98_306
; %bb.297:
	s_and_not1_b32 vcc_lo, exec_lo, s6
	s_cbranch_vccnz .LBB98_299
; %bb.298:
	ds_load_b32 v73, v107
	ds_load_b32 v74, v106
	s_wait_dscnt 0x0
	v_mul_f32_e32 v73, v73, v74
	s_cbranch_execz .LBB98_300
	s_branch .LBB98_301
.LBB98_299:
                                        ; implicit-def: $vgpr73
.LBB98_300:
	ds_load_b32 v73, v106
.LBB98_301:
	s_and_saveexec_b32 s5, s1
	s_cbranch_execz .LBB98_305
; %bb.302:
	s_movk_i32 s1, 0x8c
	v_add_nc_u32_e32 v75, -4, v104
	v_mad_u32 v74, v72, s1, 0x130
	s_movk_i32 s7, 0xa0
	s_mov_b32 s1, 0
.LBB98_303:                             ; =>This Inner Loop Header: Depth=1
	s_delay_alu instid0(VALU_DEP_2)
	v_dual_mov_b32 v76, s7 :: v_dual_add_nc_u32 v75, -1, v75
	s_add_co_i32 s7, s7, 4
	ds_load_b32 v77, v74
	ds_load_b32 v76, v76
	v_add_nc_u32_e32 v74, 4, v74
	v_cmp_eq_u32_e32 vcc_lo, 0, v75
	s_or_b32 s1, vcc_lo, s1
	s_wait_dscnt 0x0
	v_fmac_f32_e32 v73, v77, v76
	s_and_not1_b32 exec_lo, exec_lo, s1
	s_cbranch_execnz .LBB98_303
; %bb.304:
	s_or_b32 exec_lo, exec_lo, s1
.LBB98_305:
	s_delay_alu instid0(SALU_CYCLE_1)
	s_or_b32 exec_lo, exec_lo, s5
	v_mov_b32_e32 v74, 0
	ds_load_b32 v74, v74 offset:12
	s_wait_dscnt 0x0
	v_mul_f32_e32 v73, v73, v74
	ds_store_b32 v5, v73 offset:12
.LBB98_306:
	s_or_b32 exec_lo, exec_lo, s4
	ds_load_b32 v73, v5 offset:8
	v_cmp_lt_u32_e64 s1, 2, v104
	s_wait_dscnt 0x0
	ds_store_b32 v106, v73
	s_wait_dscnt 0x0
	s_barrier_signal -1
	s_barrier_wait -1
	s_and_saveexec_b32 s4, s1
	s_cbranch_execz .LBB98_316
; %bb.307:
	s_and_not1_b32 vcc_lo, exec_lo, s6
	s_cbranch_vccnz .LBB98_309
; %bb.308:
	ds_load_b32 v73, v107
	ds_load_b32 v74, v106
	s_wait_dscnt 0x0
	v_mul_f32_e32 v73, v73, v74
	s_cbranch_execz .LBB98_310
	s_branch .LBB98_311
.LBB98_309:
                                        ; implicit-def: $vgpr73
.LBB98_310:
	ds_load_b32 v73, v106
.LBB98_311:
	s_and_saveexec_b32 s5, s0
	s_cbranch_execz .LBB98_315
; %bb.312:
	s_movk_i32 s0, 0x8c
	v_add_nc_u32_e32 v75, -3, v104
	v_mad_u32 v74, v72, s0, 0x12c
	s_movk_i32 s7, 0x9c
	s_mov_b32 s0, 0
.LBB98_313:                             ; =>This Inner Loop Header: Depth=1
	s_delay_alu instid0(VALU_DEP_2)
	v_dual_mov_b32 v76, s7 :: v_dual_add_nc_u32 v75, -1, v75
	s_add_co_i32 s7, s7, 4
	ds_load_b32 v77, v74
	ds_load_b32 v76, v76
	v_add_nc_u32_e32 v74, 4, v74
	v_cmp_eq_u32_e32 vcc_lo, 0, v75
	s_or_b32 s0, vcc_lo, s0
	s_wait_dscnt 0x0
	v_fmac_f32_e32 v73, v77, v76
	s_and_not1_b32 exec_lo, exec_lo, s0
	s_cbranch_execnz .LBB98_313
; %bb.314:
	s_or_b32 exec_lo, exec_lo, s0
.LBB98_315:
	s_delay_alu instid0(SALU_CYCLE_1)
	s_or_b32 exec_lo, exec_lo, s5
	v_mov_b32_e32 v74, 0
	ds_load_b32 v74, v74 offset:8
	s_wait_dscnt 0x0
	v_mul_f32_e32 v73, v73, v74
	ds_store_b32 v5, v73 offset:8
.LBB98_316:
	s_or_b32 exec_lo, exec_lo, s4
	ds_load_b32 v73, v5 offset:4
	v_cmp_lt_u32_e64 s0, 1, v104
	s_wait_dscnt 0x0
	ds_store_b32 v106, v73
	s_wait_dscnt 0x0
	s_barrier_signal -1
	s_barrier_wait -1
	s_and_saveexec_b32 s4, s0
	s_cbranch_execz .LBB98_326
; %bb.317:
	s_and_not1_b32 vcc_lo, exec_lo, s6
	s_cbranch_vccnz .LBB98_319
; %bb.318:
	ds_load_b32 v73, v107
	ds_load_b32 v74, v106
	s_wait_dscnt 0x0
	v_mul_f32_e32 v73, v73, v74
	s_cbranch_execz .LBB98_320
	s_branch .LBB98_321
.LBB98_319:
                                        ; implicit-def: $vgpr73
.LBB98_320:
	ds_load_b32 v73, v106
.LBB98_321:
	s_and_saveexec_b32 s5, s1
	s_cbranch_execz .LBB98_325
; %bb.322:
	s_movk_i32 s1, 0x8c
	v_add_nc_u32_e32 v75, -2, v104
	v_mad_u32 v74, v72, s1, 0x128
	s_movk_i32 s7, 0x98
	s_mov_b32 s1, 0
.LBB98_323:                             ; =>This Inner Loop Header: Depth=1
	s_delay_alu instid0(VALU_DEP_2)
	v_dual_mov_b32 v76, s7 :: v_dual_add_nc_u32 v75, -1, v75
	s_add_co_i32 s7, s7, 4
	ds_load_b32 v77, v74
	ds_load_b32 v76, v76
	v_add_nc_u32_e32 v74, 4, v74
	v_cmp_eq_u32_e32 vcc_lo, 0, v75
	s_or_b32 s1, vcc_lo, s1
	s_wait_dscnt 0x0
	v_fmac_f32_e32 v73, v77, v76
	s_and_not1_b32 exec_lo, exec_lo, s1
	s_cbranch_execnz .LBB98_323
; %bb.324:
	s_or_b32 exec_lo, exec_lo, s1
.LBB98_325:
	s_delay_alu instid0(SALU_CYCLE_1)
	s_or_b32 exec_lo, exec_lo, s5
	v_mov_b32_e32 v74, 0
	ds_load_b32 v74, v74 offset:4
	s_wait_dscnt 0x0
	v_mul_f32_e32 v73, v73, v74
	ds_store_b32 v5, v73 offset:4
.LBB98_326:
	s_or_b32 exec_lo, exec_lo, s4
	ds_load_b32 v73, v5
	s_mov_b32 s1, 0
	s_mov_b32 s4, exec_lo
	s_wait_dscnt 0x0
	ds_store_b32 v106, v73
	s_wait_dscnt 0x0
	s_barrier_signal -1
	s_barrier_wait -1
	v_cmpx_ne_u32_e32 0, v104
	s_cbranch_execz .LBB98_336
; %bb.327:
	s_and_not1_b32 vcc_lo, exec_lo, s6
	s_cbranch_vccnz .LBB98_329
; %bb.328:
	ds_load_b32 v73, v107
	ds_load_b32 v74, v106
	s_wait_dscnt 0x0
	v_mul_f32_e32 v73, v73, v74
	s_cbranch_execz .LBB98_330
	s_branch .LBB98_331
.LBB98_329:
                                        ; implicit-def: $vgpr73
.LBB98_330:
	ds_load_b32 v73, v106
.LBB98_331:
	s_and_saveexec_b32 s5, s0
	s_cbranch_execz .LBB98_335
; %bb.332:
	s_movk_i32 s0, 0x8c
	v_add_nc_u32_e32 v74, -1, v104
	v_mad_u32 v72, v72, s0, 0x124
	s_movk_i32 s7, 0x94
	s_mov_b32 s0, 0
.LBB98_333:                             ; =>This Inner Loop Header: Depth=1
	s_delay_alu instid0(VALU_DEP_2)
	v_dual_mov_b32 v75, s7 :: v_dual_add_nc_u32 v74, -1, v74
	s_add_co_i32 s7, s7, 4
	ds_load_b32 v76, v72
	ds_load_b32 v75, v75
	v_add_nc_u32_e32 v72, 4, v72
	v_cmp_eq_u32_e32 vcc_lo, 0, v74
	s_or_b32 s0, vcc_lo, s0
	s_wait_dscnt 0x0
	v_fmac_f32_e32 v73, v76, v75
	s_and_not1_b32 exec_lo, exec_lo, s0
	s_cbranch_execnz .LBB98_333
; %bb.334:
	s_or_b32 exec_lo, exec_lo, s0
.LBB98_335:
	s_delay_alu instid0(SALU_CYCLE_1)
	s_or_b32 exec_lo, exec_lo, s5
	v_mov_b32_e32 v72, 0
	ds_load_b32 v72, v72
	s_wait_dscnt 0x0
	v_mul_f32_e32 v72, v73, v72
	ds_store_b32 v5, v72
.LBB98_336:
	s_or_b32 exec_lo, exec_lo, s4
.LBB98_337:
	v_lshl_add_u64 v[102:103], v[6:7], 2, s[2:3]
	v_lshl_add_u64 v[100:101], v[8:9], 2, s[2:3]
	;; [unrolled: 1-line block ×33, first 2 shown]
	s_and_b32 vcc_lo, exec_lo, s1
	s_cbranch_vccz .LBB98_669
; %bb.338:
	ds_load_b32 v40, v5 offset:4
	v_cmp_eq_u32_e64 s0, 0, v104
	s_wait_dscnt 0x0
	ds_store_b32 v106, v40
	s_wait_dscnt 0x0
	s_barrier_signal -1
	s_barrier_wait -1
	s_and_saveexec_b32 s1, s0
	s_cbranch_execz .LBB98_344
; %bb.339:
	s_and_b32 vcc_lo, exec_lo, s6
	s_cbranch_vccz .LBB98_341
; %bb.340:
	ds_load_b32 v40, v107
	ds_load_b32 v41, v106
	s_wait_dscnt 0x0
	v_mul_f32_e32 v40, v40, v41
	s_cbranch_execz .LBB98_342
	s_branch .LBB98_343
.LBB98_341:
                                        ; implicit-def: $vgpr40
.LBB98_342:
	ds_load_b32 v40, v106
.LBB98_343:
	v_mov_b32_e32 v41, 0
	ds_load_b32 v41, v41 offset:4
	s_wait_dscnt 0x0
	v_mul_f32_e32 v40, v40, v41
	ds_store_b32 v5, v40 offset:4
.LBB98_344:
	s_or_b32 exec_lo, exec_lo, s1
	ds_load_b32 v41, v5 offset:8
	v_cndmask_b32_e64 v40, 0, 1, s6
	s_mov_b32 s1, exec_lo
	s_wait_dscnt 0x0
	ds_store_b32 v106, v41
	s_wait_dscnt 0x0
	s_barrier_signal -1
	s_barrier_wait -1
	v_cmpx_gt_u32_e32 2, v104
	s_cbranch_execz .LBB98_350
; %bb.345:
	s_and_not1_b32 vcc_lo, exec_lo, s6
	s_cbranch_vccnz .LBB98_347
; %bb.346:
	ds_load_b32 v41, v107
	ds_load_b32 v42, v106
	s_wait_dscnt 0x0
	v_mul_f32_e32 v41, v41, v42
	s_cbranch_execz .LBB98_348
	s_branch .LBB98_349
.LBB98_347:
                                        ; implicit-def: $vgpr41
.LBB98_348:
	ds_load_b32 v41, v106
.LBB98_349:
	v_mov_b32_e32 v42, 0
	ds_load_b32 v44, v5 offset:4
	ds_load_2addr_b32 v[42:43], v42 offset0:2 offset1:37
	s_wait_dscnt 0x0
	v_fma_f32 v43, v44, v43, v41
	s_delay_alu instid0(VALU_DEP_1) | instskip(NEXT) | instid1(VALU_DEP_1)
	v_cndmask_b32_e64 v41, v41, v43, s0
	v_mul_f32_e32 v41, v41, v42
	ds_store_b32 v5, v41 offset:8
.LBB98_350:
	s_or_b32 exec_lo, exec_lo, s1
	ds_load_b32 v41, v5 offset:12
	s_mov_b32 s1, exec_lo
	s_wait_dscnt 0x0
	ds_store_b32 v106, v41
	s_wait_dscnt 0x0
	s_barrier_signal -1
	s_barrier_wait -1
	v_cmpx_gt_u32_e32 3, v104
	s_cbranch_execz .LBB98_358
; %bb.351:
	v_cmp_ne_u32_e32 vcc_lo, 1, v40
	s_cbranch_vccnz .LBB98_353
; %bb.352:
	ds_load_b32 v41, v107
	ds_load_b32 v42, v106
	s_wait_dscnt 0x0
	v_mul_f32_e32 v41, v41, v42
	s_cbranch_execz .LBB98_354
	s_branch .LBB98_355
.LBB98_353:
                                        ; implicit-def: $vgpr41
.LBB98_354:
	ds_load_b32 v41, v106
.LBB98_355:
	s_mov_b32 s2, exec_lo
	v_cmpx_ne_u32_e32 2, v104
	s_cbranch_execz .LBB98_357
; %bb.356:
	ds_load_b32 v42, v107 offset:4
	ds_load_b32 v43, v106 offset:4
	s_wait_dscnt 0x0
	v_dual_mov_b32 v44, 0 :: v_dual_fmac_f32 v41, v42, v43
	ds_load_b32 v45, v5 offset:8
	ds_load_b32 v44, v44 offset:152
	s_wait_dscnt 0x0
	v_fma_f32 v42, v45, v44, v41
	s_delay_alu instid0(VALU_DEP_1)
	v_cndmask_b32_e64 v41, v41, v42, s0
.LBB98_357:
	s_or_b32 exec_lo, exec_lo, s2
	v_mov_b32_e32 v42, 0
	ds_load_b32 v42, v42 offset:12
	s_wait_dscnt 0x0
	v_mul_f32_e32 v41, v41, v42
	ds_store_b32 v5, v41 offset:12
.LBB98_358:
	s_or_b32 exec_lo, exec_lo, s1
	ds_load_b32 v41, v5 offset:16
	s_mov_b32 s0, exec_lo
	s_wait_dscnt 0x0
	ds_store_b32 v106, v41
	s_wait_dscnt 0x0
	s_barrier_signal -1
	s_barrier_wait -1
	v_cmpx_gt_u32_e32 4, v104
	s_cbranch_execz .LBB98_368
; %bb.359:
	v_cmp_ne_u32_e32 vcc_lo, 1, v40
	s_cbranch_vccnz .LBB98_361
; %bb.360:
	ds_load_b32 v41, v107
	ds_load_b32 v42, v106
	s_wait_dscnt 0x0
	v_mul_f32_e32 v41, v41, v42
	s_cbranch_execz .LBB98_362
	s_branch .LBB98_363
.LBB98_361:
                                        ; implicit-def: $vgpr41
.LBB98_362:
	ds_load_b32 v41, v106
.LBB98_363:
	s_mov_b32 s1, exec_lo
	v_cmpx_ne_u32_e32 3, v104
	s_cbranch_execz .LBB98_367
; %bb.364:
	v_add_nc_u32_e32 v42, 0x94, v4
	v_add3_u32 v43, v105, v4, 0x124
	v_mov_b32_e32 v44, v104
	s_mov_b32 s2, 0
.LBB98_365:                             ; =>This Inner Loop Header: Depth=1
	ds_load_b32 v45, v43
	ds_load_b32 v46, v42
	v_dual_add_nc_u32 v44, 1, v44 :: v_dual_add_nc_u32 v42, 4, v42
	v_add_nc_u32_e32 v43, 4, v43
	s_delay_alu instid0(VALU_DEP_2)
	v_cmp_lt_u32_e32 vcc_lo, 2, v44
	s_or_b32 s2, vcc_lo, s2
	s_wait_dscnt 0x0
	v_fmac_f32_e32 v41, v45, v46
	s_and_not1_b32 exec_lo, exec_lo, s2
	s_cbranch_execnz .LBB98_365
; %bb.366:
	s_or_b32 exec_lo, exec_lo, s2
.LBB98_367:
	s_delay_alu instid0(SALU_CYCLE_1)
	s_or_b32 exec_lo, exec_lo, s1
	v_mov_b32_e32 v42, 0
	ds_load_b32 v42, v42 offset:16
	s_wait_dscnt 0x0
	v_mul_f32_e32 v41, v41, v42
	ds_store_b32 v5, v41 offset:16
.LBB98_368:
	s_or_b32 exec_lo, exec_lo, s0
	ds_load_b32 v41, v5 offset:20
	s_mov_b32 s0, exec_lo
	s_wait_dscnt 0x0
	ds_store_b32 v106, v41
	s_wait_dscnt 0x0
	s_barrier_signal -1
	s_barrier_wait -1
	v_cmpx_gt_u32_e32 5, v104
	s_cbranch_execz .LBB98_378
; %bb.369:
	v_cmp_ne_u32_e32 vcc_lo, 1, v40
	s_cbranch_vccnz .LBB98_371
; %bb.370:
	ds_load_b32 v41, v107
	ds_load_b32 v42, v106
	s_wait_dscnt 0x0
	v_mul_f32_e32 v41, v41, v42
	s_cbranch_execz .LBB98_372
	s_branch .LBB98_373
.LBB98_371:
                                        ; implicit-def: $vgpr41
.LBB98_372:
	ds_load_b32 v41, v106
.LBB98_373:
	s_mov_b32 s1, exec_lo
	v_cmpx_ne_u32_e32 4, v104
	s_cbranch_execz .LBB98_377
; %bb.374:
	v_add_nc_u32_e32 v42, 0x94, v4
	v_add3_u32 v43, v105, v4, 0x124
	v_mov_b32_e32 v44, v104
	s_mov_b32 s2, 0
.LBB98_375:                             ; =>This Inner Loop Header: Depth=1
	ds_load_b32 v45, v43
	ds_load_b32 v46, v42
	v_dual_add_nc_u32 v44, 1, v44 :: v_dual_add_nc_u32 v42, 4, v42
	v_add_nc_u32_e32 v43, 4, v43
	s_delay_alu instid0(VALU_DEP_2)
	v_cmp_lt_u32_e32 vcc_lo, 3, v44
	s_or_b32 s2, vcc_lo, s2
	s_wait_dscnt 0x0
	v_fmac_f32_e32 v41, v45, v46
	s_and_not1_b32 exec_lo, exec_lo, s2
	s_cbranch_execnz .LBB98_375
; %bb.376:
	s_or_b32 exec_lo, exec_lo, s2
.LBB98_377:
	s_delay_alu instid0(SALU_CYCLE_1)
	s_or_b32 exec_lo, exec_lo, s1
	v_mov_b32_e32 v42, 0
	ds_load_b32 v42, v42 offset:20
	s_wait_dscnt 0x0
	v_mul_f32_e32 v41, v41, v42
	ds_store_b32 v5, v41 offset:20
.LBB98_378:
	;; [unrolled: 56-line block ×29, first 2 shown]
	s_or_b32 exec_lo, exec_lo, s0
	ds_load_b32 v41, v5 offset:132
	v_cmp_gt_u32_e64 s0, 33, v104
	s_wait_dscnt 0x0
	ds_store_b32 v106, v41
	s_wait_dscnt 0x0
	s_barrier_signal -1
	s_barrier_wait -1
	s_and_saveexec_b32 s1, s0
	s_cbranch_execz .LBB98_658
; %bb.649:
	v_cmp_ne_u32_e32 vcc_lo, 1, v40
	s_cbranch_vccnz .LBB98_651
; %bb.650:
	ds_load_b32 v41, v107
	ds_load_b32 v42, v106
	s_wait_dscnt 0x0
	v_mul_f32_e32 v41, v41, v42
	s_cbranch_execz .LBB98_652
	s_branch .LBB98_653
.LBB98_651:
                                        ; implicit-def: $vgpr41
.LBB98_652:
	ds_load_b32 v41, v106
.LBB98_653:
	s_mov_b32 s2, exec_lo
	v_cmpx_ne_u32_e32 32, v104
	s_cbranch_execz .LBB98_657
; %bb.654:
	v_add_nc_u32_e32 v42, 0x94, v4
	v_add3_u32 v43, v105, v4, 0x124
	v_mov_b32_e32 v44, v104
	s_mov_b32 s3, 0
.LBB98_655:                             ; =>This Inner Loop Header: Depth=1
	ds_load_b32 v45, v43
	ds_load_b32 v46, v42
	v_dual_add_nc_u32 v44, 1, v44 :: v_dual_add_nc_u32 v42, 4, v42
	v_add_nc_u32_e32 v43, 4, v43
	s_delay_alu instid0(VALU_DEP_2)
	v_cmp_lt_u32_e32 vcc_lo, 31, v44
	s_or_b32 s3, vcc_lo, s3
	s_wait_dscnt 0x0
	v_fmac_f32_e32 v41, v45, v46
	s_and_not1_b32 exec_lo, exec_lo, s3
	s_cbranch_execnz .LBB98_655
; %bb.656:
	s_or_b32 exec_lo, exec_lo, s3
.LBB98_657:
	s_delay_alu instid0(SALU_CYCLE_1)
	s_or_b32 exec_lo, exec_lo, s2
	v_mov_b32_e32 v42, 0
	ds_load_b32 v42, v42 offset:132
	s_wait_dscnt 0x0
	v_mul_f32_e32 v41, v41, v42
	ds_store_b32 v5, v41 offset:132
.LBB98_658:
	s_or_b32 exec_lo, exec_lo, s1
	ds_load_b32 v41, v5 offset:136
	s_mov_b32 s1, exec_lo
	s_wait_dscnt 0x0
	ds_store_b32 v106, v41
	s_wait_dscnt 0x0
	s_barrier_signal -1
	s_barrier_wait -1
	v_cmpx_ne_u32_e32 34, v104
	s_cbranch_execz .LBB98_668
; %bb.659:
	v_cmp_ne_u32_e32 vcc_lo, 1, v40
	s_cbranch_vccnz .LBB98_661
; %bb.660:
	ds_load_b32 v40, v107
	ds_load_b32 v41, v106
	s_wait_dscnt 0x0
	v_mul_f32_e32 v40, v40, v41
	s_cbranch_execz .LBB98_662
	s_branch .LBB98_663
.LBB98_661:
                                        ; implicit-def: $vgpr40
.LBB98_662:
	ds_load_b32 v40, v106
.LBB98_663:
	s_and_saveexec_b32 s2, s0
	s_cbranch_execz .LBB98_667
; %bb.664:
	v_add_nc_u32_e32 v41, 0x94, v4
	v_add3_u32 v4, v105, v4, 0x124
	s_mov_b32 s0, 0
.LBB98_665:                             ; =>This Inner Loop Header: Depth=1
	ds_load_b32 v42, v4
	ds_load_b32 v43, v41
	v_dual_add_nc_u32 v104, 1, v104 :: v_dual_add_nc_u32 v41, 4, v41
	v_add_nc_u32_e32 v4, 4, v4
	s_delay_alu instid0(VALU_DEP_2)
	v_cmp_lt_u32_e32 vcc_lo, 32, v104
	s_or_b32 s0, vcc_lo, s0
	s_wait_dscnt 0x0
	v_fmac_f32_e32 v40, v42, v43
	s_and_not1_b32 exec_lo, exec_lo, s0
	s_cbranch_execnz .LBB98_665
; %bb.666:
	s_or_b32 exec_lo, exec_lo, s0
.LBB98_667:
	s_delay_alu instid0(SALU_CYCLE_1)
	s_or_b32 exec_lo, exec_lo, s2
	v_mov_b32_e32 v4, 0
	ds_load_b32 v4, v4 offset:136
	s_wait_dscnt 0x0
	v_mul_f32_e32 v4, v40, v4
	ds_store_b32 v5, v4 offset:136
.LBB98_668:
	s_or_b32 exec_lo, exec_lo, s1
.LBB98_669:
	ds_load_b32 v4, v5
	s_wait_dscnt 0x0
	flat_store_b32 v[0:1], v4
	s_wait_xcnt 0x0
	ds_load_b32 v0, v5 offset:4
	s_wait_dscnt 0x0
	flat_store_b32 v[2:3], v0
	s_wait_xcnt 0x0
	ds_load_b32 v0, v5 offset:8
	;; [unrolled: 4-line block ×34, first 2 shown]
	s_wait_dscnt 0x0
	flat_store_b32 v[6:7], v0
.LBB98_670:
	s_sendmsg sendmsg(MSG_DEALLOC_VGPRS)
	s_endpgm
	.section	.rodata,"a",@progbits
	.p2align	6, 0x0
	.amdhsa_kernel _ZN9rocsolver6v33100L18trti2_kernel_smallILi35EfPKPfEEv13rocblas_fill_17rocblas_diagonal_T1_iil
		.amdhsa_group_segment_fixed_size 9248
		.amdhsa_private_segment_fixed_size 0
		.amdhsa_kernarg_size 32
		.amdhsa_user_sgpr_count 4
		.amdhsa_user_sgpr_dispatch_ptr 1
		.amdhsa_user_sgpr_queue_ptr 0
		.amdhsa_user_sgpr_kernarg_segment_ptr 1
		.amdhsa_user_sgpr_dispatch_id 0
		.amdhsa_user_sgpr_kernarg_preload_length 0
		.amdhsa_user_sgpr_kernarg_preload_offset 0
		.amdhsa_user_sgpr_private_segment_size 0
		.amdhsa_wavefront_size32 1
		.amdhsa_uses_dynamic_stack 0
		.amdhsa_enable_private_segment 0
		.amdhsa_system_sgpr_workgroup_id_x 1
		.amdhsa_system_sgpr_workgroup_id_y 0
		.amdhsa_system_sgpr_workgroup_id_z 0
		.amdhsa_system_sgpr_workgroup_info 0
		.amdhsa_system_vgpr_workitem_id 2
		.amdhsa_next_free_vgpr 108
		.amdhsa_next_free_sgpr 12
		.amdhsa_named_barrier_count 0
		.amdhsa_reserve_vcc 1
		.amdhsa_float_round_mode_32 0
		.amdhsa_float_round_mode_16_64 0
		.amdhsa_float_denorm_mode_32 3
		.amdhsa_float_denorm_mode_16_64 3
		.amdhsa_fp16_overflow 0
		.amdhsa_memory_ordered 1
		.amdhsa_forward_progress 1
		.amdhsa_inst_pref_size 146
		.amdhsa_round_robin_scheduling 0
		.amdhsa_exception_fp_ieee_invalid_op 0
		.amdhsa_exception_fp_denorm_src 0
		.amdhsa_exception_fp_ieee_div_zero 0
		.amdhsa_exception_fp_ieee_overflow 0
		.amdhsa_exception_fp_ieee_underflow 0
		.amdhsa_exception_fp_ieee_inexact 0
		.amdhsa_exception_int_div_zero 0
	.end_amdhsa_kernel
	.section	.text._ZN9rocsolver6v33100L18trti2_kernel_smallILi35EfPKPfEEv13rocblas_fill_17rocblas_diagonal_T1_iil,"axG",@progbits,_ZN9rocsolver6v33100L18trti2_kernel_smallILi35EfPKPfEEv13rocblas_fill_17rocblas_diagonal_T1_iil,comdat
.Lfunc_end98:
	.size	_ZN9rocsolver6v33100L18trti2_kernel_smallILi35EfPKPfEEv13rocblas_fill_17rocblas_diagonal_T1_iil, .Lfunc_end98-_ZN9rocsolver6v33100L18trti2_kernel_smallILi35EfPKPfEEv13rocblas_fill_17rocblas_diagonal_T1_iil
                                        ; -- End function
	.set _ZN9rocsolver6v33100L18trti2_kernel_smallILi35EfPKPfEEv13rocblas_fill_17rocblas_diagonal_T1_iil.num_vgpr, 108
	.set _ZN9rocsolver6v33100L18trti2_kernel_smallILi35EfPKPfEEv13rocblas_fill_17rocblas_diagonal_T1_iil.num_agpr, 0
	.set _ZN9rocsolver6v33100L18trti2_kernel_smallILi35EfPKPfEEv13rocblas_fill_17rocblas_diagonal_T1_iil.numbered_sgpr, 12
	.set _ZN9rocsolver6v33100L18trti2_kernel_smallILi35EfPKPfEEv13rocblas_fill_17rocblas_diagonal_T1_iil.num_named_barrier, 0
	.set _ZN9rocsolver6v33100L18trti2_kernel_smallILi35EfPKPfEEv13rocblas_fill_17rocblas_diagonal_T1_iil.private_seg_size, 0
	.set _ZN9rocsolver6v33100L18trti2_kernel_smallILi35EfPKPfEEv13rocblas_fill_17rocblas_diagonal_T1_iil.uses_vcc, 1
	.set _ZN9rocsolver6v33100L18trti2_kernel_smallILi35EfPKPfEEv13rocblas_fill_17rocblas_diagonal_T1_iil.uses_flat_scratch, 0
	.set _ZN9rocsolver6v33100L18trti2_kernel_smallILi35EfPKPfEEv13rocblas_fill_17rocblas_diagonal_T1_iil.has_dyn_sized_stack, 0
	.set _ZN9rocsolver6v33100L18trti2_kernel_smallILi35EfPKPfEEv13rocblas_fill_17rocblas_diagonal_T1_iil.has_recursion, 0
	.set _ZN9rocsolver6v33100L18trti2_kernel_smallILi35EfPKPfEEv13rocblas_fill_17rocblas_diagonal_T1_iil.has_indirect_call, 0
	.section	.AMDGPU.csdata,"",@progbits
; Kernel info:
; codeLenInByte = 18604
; TotalNumSgprs: 14
; NumVgprs: 108
; ScratchSize: 0
; MemoryBound: 0
; FloatMode: 240
; IeeeMode: 1
; LDSByteSize: 9248 bytes/workgroup (compile time only)
; SGPRBlocks: 0
; VGPRBlocks: 6
; NumSGPRsForWavesPerEU: 14
; NumVGPRsForWavesPerEU: 108
; NamedBarCnt: 0
; Occupancy: 9
; WaveLimiterHint : 1
; COMPUTE_PGM_RSRC2:SCRATCH_EN: 0
; COMPUTE_PGM_RSRC2:USER_SGPR: 4
; COMPUTE_PGM_RSRC2:TRAP_HANDLER: 0
; COMPUTE_PGM_RSRC2:TGID_X_EN: 1
; COMPUTE_PGM_RSRC2:TGID_Y_EN: 0
; COMPUTE_PGM_RSRC2:TGID_Z_EN: 0
; COMPUTE_PGM_RSRC2:TIDIG_COMP_CNT: 2
	.section	.text._ZN9rocsolver6v33100L18trti2_kernel_smallILi36EfPKPfEEv13rocblas_fill_17rocblas_diagonal_T1_iil,"axG",@progbits,_ZN9rocsolver6v33100L18trti2_kernel_smallILi36EfPKPfEEv13rocblas_fill_17rocblas_diagonal_T1_iil,comdat
	.globl	_ZN9rocsolver6v33100L18trti2_kernel_smallILi36EfPKPfEEv13rocblas_fill_17rocblas_diagonal_T1_iil ; -- Begin function _ZN9rocsolver6v33100L18trti2_kernel_smallILi36EfPKPfEEv13rocblas_fill_17rocblas_diagonal_T1_iil
	.p2align	8
	.type	_ZN9rocsolver6v33100L18trti2_kernel_smallILi36EfPKPfEEv13rocblas_fill_17rocblas_diagonal_T1_iil,@function
_ZN9rocsolver6v33100L18trti2_kernel_smallILi36EfPKPfEEv13rocblas_fill_17rocblas_diagonal_T1_iil: ; @_ZN9rocsolver6v33100L18trti2_kernel_smallILi36EfPKPfEEv13rocblas_fill_17rocblas_diagonal_T1_iil
; %bb.0:
	v_and_b32_e32 v108, 0x3ff, v0
	s_mov_b32 s4, exec_lo
	s_delay_alu instid0(VALU_DEP_1)
	v_cmpx_gt_u32_e32 36, v108
	s_cbranch_execz .LBB99_690
; %bb.1:
	s_load_b64 s[10:11], s[0:1], 0x4
	s_clause 0x1
	s_load_b64 s[8:9], s[2:3], 0x10
	s_load_b128 s[4:7], s[2:3], 0x0
	s_wait_xcnt 0x0
	s_bfe_u32 s0, ttmp6, 0x4000c
	s_and_b32 s2, ttmp6, 15
	s_add_co_i32 s0, s0, 1
	s_getreg_b32 s3, hwreg(HW_REG_IB_STS2, 6, 4)
	s_mul_i32 s0, ttmp9, s0
	v_bfe_u32 v1, v0, 10, 10
	s_add_co_i32 s2, s2, s0
	v_bfe_u32 v0, v0, 20, 10
	v_dual_mov_b32 v5, 0 :: v_dual_lshlrev_b32 v4, 2, v108
	v_mov_b32_e32 v75, -1.0
	s_wait_kmcnt 0x0
	s_lshr_b32 s10, s10, 16
	s_ashr_i32 s1, s8, 31
	s_cmp_eq_u32 s3, 0
	s_mov_b32 s0, s8
	s_cselect_b32 s2, ttmp9, s2
	s_lshl_b64 s[0:1], s[0:1], 2
	s_ashr_i32 s3, s2, 31
	s_mul_i32 s10, s10, s11
	s_lshl_b64 s[2:3], s[2:3], 3
	v_mul_u32_u24_e32 v2, s10, v108
	s_add_nc_u64 s[2:3], s[6:7], s[2:3]
	v_mul_u32_u24_e32 v1, s11, v1
	s_load_b64 s[2:3], s[2:3], 0x0
	s_delay_alu instid0(VALU_DEP_1) | instskip(NEXT) | instid1(VALU_DEP_1)
	v_add3_u32 v74, v2, v1, v0
	v_mul_lo_u32 v109, 0x90, v74
	s_wait_kmcnt 0x0
	s_add_nc_u64 s[6:7], s[2:3], s[0:1]
	s_ashr_i32 s1, s9, 31
	flat_load_b32 v6, v108, s[6:7] scale_offset
	v_add_nc_u64_e32 v[0:1], s[6:7], v[4:5]
	s_mov_b32 s0, s9
	s_cmp_lg_u32 s5, 0x84
	s_cselect_b32 s3, -1, 0
	s_cmp_eq_u32 s5, 0x84
	s_delay_alu instid0(VALU_DEP_1) | instskip(SKIP_4) | instid1(VALU_DEP_1)
	v_lshl_add_u64 v[2:3], s[0:1], 2, v[0:1]
	s_wait_loadcnt_dscnt 0x0
	ds_store_b32 v109, v6 offset:288
	flat_load_b32 v5, v[2:3]
	v_add3_u32 v6, s9, s9, v108
	v_dual_add_nc_u32 v8, s9, v6 :: v_dual_ashrrev_i32 v7, 31, v6
	s_delay_alu instid0(VALU_DEP_1) | instskip(NEXT) | instid1(VALU_DEP_1)
	v_add_nc_u32_e32 v10, s9, v8
	v_add_nc_u32_e32 v12, s9, v10
	s_delay_alu instid0(VALU_DEP_1) | instskip(NEXT) | instid1(VALU_DEP_1)
	v_add_nc_u32_e32 v14, s9, v12
	v_dual_ashrrev_i32 v9, 31, v8 :: v_dual_add_nc_u32 v16, s9, v14
	s_delay_alu instid0(VALU_DEP_1) | instskip(SKIP_1) | instid1(VALU_DEP_1)
	v_dual_ashrrev_i32 v11, 31, v10 :: v_dual_ashrrev_i32 v17, 31, v16
	v_add_nc_u32_e32 v18, s9, v16
	v_dual_ashrrev_i32 v13, 31, v12 :: v_dual_add_nc_u32 v20, s9, v18
	s_delay_alu instid0(VALU_DEP_1) | instskip(NEXT) | instid1(VALU_DEP_1)
	v_add_nc_u32_e32 v22, s9, v20
	v_add_nc_u32_e32 v24, s9, v22
	s_delay_alu instid0(VALU_DEP_1) | instskip(NEXT) | instid1(VALU_DEP_1)
	v_dual_add_nc_u32 v26, s9, v24 :: v_dual_ashrrev_i32 v15, 31, v14
	v_dual_ashrrev_i32 v21, 31, v20 :: v_dual_add_nc_u32 v28, s9, v26
	s_delay_alu instid0(VALU_DEP_1) | instskip(SKIP_1) | instid1(VALU_DEP_1)
	v_dual_ashrrev_i32 v23, 31, v22 :: v_dual_ashrrev_i32 v29, 31, v28
	v_dual_add_nc_u32 v30, s9, v28 :: v_dual_ashrrev_i32 v19, 31, v18
	v_dual_ashrrev_i32 v25, 31, v24 :: v_dual_add_nc_u32 v32, s9, v30
	s_delay_alu instid0(VALU_DEP_1) | instskip(NEXT) | instid1(VALU_DEP_1)
	v_add_nc_u32_e32 v34, s9, v32
	v_add_nc_u32_e32 v36, s9, v34
	s_delay_alu instid0(VALU_DEP_1) | instskip(NEXT) | instid1(VALU_DEP_1)
	v_dual_add_nc_u32 v38, s9, v36 :: v_dual_ashrrev_i32 v27, 31, v26
	v_dual_ashrrev_i32 v33, 31, v32 :: v_dual_add_nc_u32 v40, s9, v38
	s_delay_alu instid0(VALU_DEP_1) | instskip(SKIP_1) | instid1(VALU_DEP_1)
	v_dual_ashrrev_i32 v35, 31, v34 :: v_dual_ashrrev_i32 v41, 31, v40
	v_dual_add_nc_u32 v42, s9, v40 :: v_dual_ashrrev_i32 v31, 31, v30
	;; [unrolled: 10-line block ×4, first 2 shown]
	v_dual_ashrrev_i32 v61, 31, v60 :: v_dual_add_nc_u32 v68, s9, v66
	s_delay_alu instid0(VALU_DEP_1) | instskip(SKIP_1) | instid1(VALU_DEP_1)
	v_dual_ashrrev_i32 v63, 31, v62 :: v_dual_ashrrev_i32 v69, 31, v68
	v_add_nc_u32_e32 v70, s9, v68
	v_add_nc_u32_e32 v72, s9, v70
	v_ashrrev_i32_e32 v67, 31, v66
	s_delay_alu instid0(VALU_DEP_2)
	v_dual_ashrrev_i32 v71, 31, v70 :: v_dual_ashrrev_i32 v73, 31, v72
	s_wait_loadcnt_dscnt 0x0
	ds_store_b32 v109, v5 offset:292
	flat_load_b32 v5, v6, s[6:7] scale_offset
	s_wait_loadcnt_dscnt 0x0
	ds_store_b32 v109, v5 offset:296
	flat_load_b32 v5, v8, s[6:7] scale_offset
	;; [unrolled: 3-line block ×34, first 2 shown]
	v_add_nc_u32_e32 v5, 0x120, v109
	s_wait_loadcnt_dscnt 0x0
	ds_store_b32 v109, v76 offset:428
	s_cbranch_scc1 .LBB99_3
; %bb.2:
	v_lshl_add_u32 v76, v108, 2, v5
	ds_load_b32 v75, v76
	s_wait_dscnt 0x0
	v_div_scale_f32 v77, null, v75, v75, 1.0
	s_delay_alu instid0(VALU_DEP_1) | instskip(SKIP_1) | instid1(TRANS32_DEP_1)
	v_rcp_f32_e32 v78, v77
	v_nop
	v_fma_f32 v79, -v77, v78, 1.0
	s_delay_alu instid0(VALU_DEP_1) | instskip(SKIP_1) | instid1(VALU_DEP_1)
	v_fmac_f32_e32 v78, v79, v78
	v_div_scale_f32 v79, vcc_lo, 1.0, v75, 1.0
	v_mul_f32_e32 v80, v79, v78
	s_delay_alu instid0(VALU_DEP_1) | instskip(NEXT) | instid1(VALU_DEP_1)
	v_fma_f32 v81, -v77, v80, v79
	v_fmac_f32_e32 v80, v81, v78
	s_delay_alu instid0(VALU_DEP_1) | instskip(NEXT) | instid1(VALU_DEP_1)
	v_fma_f32 v77, -v77, v80, v79
	v_div_fmas_f32 v77, v77, v78, v80
	s_delay_alu instid0(VALU_DEP_1) | instskip(NEXT) | instid1(VALU_DEP_1)
	v_div_fixup_f32 v77, v77, v75, 1.0
	v_xor_b32_e32 v75, 0x80000000, v77
	ds_store_b32 v76, v77
.LBB99_3:
	v_add_nc_u32_e32 v110, 0x90, v4
	v_add_nc_u32_e32 v111, v5, v4
	s_cmp_eq_u32 s4, 0x79
	s_mov_b32 s1, -1
	ds_store_b32 v4, v75
	s_cbranch_scc1 .LBB99_347
; %bb.4:
	ds_load_b32 v75, v5 offset:136
	v_cmp_eq_u32_e64 s0, 35, v108
	s_wait_dscnt 0x0
	ds_store_b32 v110, v75
	s_wait_dscnt 0x0
	s_barrier_signal -1
	s_barrier_wait -1
	s_and_saveexec_b32 s1, s0
	s_cbranch_execz .LBB99_10
; %bb.5:
	s_and_b32 vcc_lo, exec_lo, s3
	s_cbranch_vccz .LBB99_7
; %bb.6:
	ds_load_b32 v75, v111
	ds_load_b32 v76, v110
	s_wait_dscnt 0x0
	v_mul_f32_e32 v75, v75, v76
	s_cbranch_execz .LBB99_8
	s_branch .LBB99_9
.LBB99_7:
                                        ; implicit-def: $vgpr75
.LBB99_8:
	ds_load_b32 v75, v110
.LBB99_9:
	v_mov_b32_e32 v76, 0
	ds_load_b32 v76, v76 offset:136
	s_wait_dscnt 0x0
	v_mul_f32_e32 v75, v75, v76
	ds_store_b32 v5, v75 offset:136
.LBB99_10:
	s_or_b32 exec_lo, exec_lo, s1
	ds_load_b32 v75, v5 offset:132
	v_cmp_lt_u32_e64 s1, 33, v108
	s_wait_dscnt 0x0
	ds_store_b32 v110, v75
	s_wait_dscnt 0x0
	s_barrier_signal -1
	s_barrier_wait -1
	s_and_saveexec_b32 s2, s1
	s_cbranch_execz .LBB99_16
; %bb.11:
	s_and_not1_b32 vcc_lo, exec_lo, s3
	s_cbranch_vccnz .LBB99_13
; %bb.12:
	ds_load_b32 v75, v111
	ds_load_b32 v76, v110
	s_wait_dscnt 0x0
	v_mul_f32_e32 v75, v75, v76
	s_cbranch_execz .LBB99_14
	s_branch .LBB99_15
.LBB99_13:
                                        ; implicit-def: $vgpr75
.LBB99_14:
	ds_load_b32 v75, v110
.LBB99_15:
	v_mov_b32_e32 v76, 0
	ds_load_b32 v78, v5 offset:136
	ds_load_2addr_b32 v[76:77], v76 offset0:33 offset1:70
	s_wait_dscnt 0x0
	v_fma_f32 v77, v78, v77, v75
	s_delay_alu instid0(VALU_DEP_1) | instskip(NEXT) | instid1(VALU_DEP_1)
	v_cndmask_b32_e64 v75, v75, v77, s0
	v_mul_f32_e32 v75, v75, v76
	ds_store_b32 v5, v75 offset:132
.LBB99_16:
	s_or_b32 exec_lo, exec_lo, s2
	ds_load_b32 v75, v5 offset:128
	v_cmp_lt_u32_e64 s0, 32, v108
	s_wait_dscnt 0x0
	ds_store_b32 v110, v75
	s_wait_dscnt 0x0
	s_barrier_signal -1
	s_barrier_wait -1
	s_and_saveexec_b32 s2, s0
	s_cbranch_execz .LBB99_26
; %bb.17:
	s_and_not1_b32 vcc_lo, exec_lo, s3
	s_cbranch_vccnz .LBB99_19
; %bb.18:
	ds_load_b32 v75, v111
	ds_load_b32 v76, v110
	s_wait_dscnt 0x0
	v_mul_f32_e32 v75, v75, v76
	s_cbranch_execz .LBB99_20
	s_branch .LBB99_21
.LBB99_19:
                                        ; implicit-def: $vgpr75
.LBB99_20:
	ds_load_b32 v75, v110
.LBB99_21:
	s_and_saveexec_b32 s4, s1
	s_cbranch_execz .LBB99_25
; %bb.22:
	s_movk_i32 s1, 0x90
	v_subrev_nc_u32_e32 v77, 33, v108
	v_mad_u32 v76, v74, s1, 0x1a4
	s_movk_i32 s5, 0x114
	s_mov_b32 s1, 0
.LBB99_23:                              ; =>This Inner Loop Header: Depth=1
	s_delay_alu instid0(VALU_DEP_2)
	v_dual_mov_b32 v78, s5 :: v_dual_add_nc_u32 v77, -1, v77
	s_add_co_i32 s5, s5, 4
	ds_load_b32 v79, v76
	ds_load_b32 v78, v78
	v_add_nc_u32_e32 v76, 4, v76
	v_cmp_eq_u32_e32 vcc_lo, 0, v77
	s_or_b32 s1, vcc_lo, s1
	s_wait_dscnt 0x0
	v_fmac_f32_e32 v75, v79, v78
	s_and_not1_b32 exec_lo, exec_lo, s1
	s_cbranch_execnz .LBB99_23
; %bb.24:
	s_or_b32 exec_lo, exec_lo, s1
.LBB99_25:
	s_delay_alu instid0(SALU_CYCLE_1)
	s_or_b32 exec_lo, exec_lo, s4
	v_mov_b32_e32 v76, 0
	ds_load_b32 v76, v76 offset:128
	s_wait_dscnt 0x0
	v_mul_f32_e32 v75, v75, v76
	ds_store_b32 v5, v75 offset:128
.LBB99_26:
	s_or_b32 exec_lo, exec_lo, s2
	ds_load_b32 v75, v5 offset:124
	v_cmp_lt_u32_e64 s1, 31, v108
	s_wait_dscnt 0x0
	ds_store_b32 v110, v75
	s_wait_dscnt 0x0
	s_barrier_signal -1
	s_barrier_wait -1
	s_and_saveexec_b32 s2, s1
	s_cbranch_execz .LBB99_36
; %bb.27:
	s_and_not1_b32 vcc_lo, exec_lo, s3
	s_cbranch_vccnz .LBB99_29
; %bb.28:
	ds_load_b32 v75, v111
	ds_load_b32 v76, v110
	s_wait_dscnt 0x0
	v_mul_f32_e32 v75, v75, v76
	s_cbranch_execz .LBB99_30
	s_branch .LBB99_31
.LBB99_29:
                                        ; implicit-def: $vgpr75
.LBB99_30:
	ds_load_b32 v75, v110
.LBB99_31:
	s_and_saveexec_b32 s4, s0
	s_cbranch_execz .LBB99_35
; %bb.32:
	s_movk_i32 s0, 0x90
	v_subrev_nc_u32_e32 v77, 32, v108
	v_mad_u32 v76, v74, s0, 0x1a0
	s_movk_i32 s5, 0x110
	s_mov_b32 s0, 0
.LBB99_33:                              ; =>This Inner Loop Header: Depth=1
	s_delay_alu instid0(VALU_DEP_2)
	v_dual_mov_b32 v78, s5 :: v_dual_add_nc_u32 v77, -1, v77
	s_add_co_i32 s5, s5, 4
	ds_load_b32 v79, v76
	ds_load_b32 v78, v78
	v_add_nc_u32_e32 v76, 4, v76
	v_cmp_eq_u32_e32 vcc_lo, 0, v77
	s_or_b32 s0, vcc_lo, s0
	s_wait_dscnt 0x0
	v_fmac_f32_e32 v75, v79, v78
	s_and_not1_b32 exec_lo, exec_lo, s0
	s_cbranch_execnz .LBB99_33
; %bb.34:
	s_or_b32 exec_lo, exec_lo, s0
.LBB99_35:
	s_delay_alu instid0(SALU_CYCLE_1)
	s_or_b32 exec_lo, exec_lo, s4
	v_mov_b32_e32 v76, 0
	ds_load_b32 v76, v76 offset:124
	s_wait_dscnt 0x0
	v_mul_f32_e32 v75, v75, v76
	ds_store_b32 v5, v75 offset:124
.LBB99_36:
	s_or_b32 exec_lo, exec_lo, s2
	ds_load_b32 v75, v5 offset:120
	v_cmp_lt_u32_e64 s0, 30, v108
	s_wait_dscnt 0x0
	ds_store_b32 v110, v75
	s_wait_dscnt 0x0
	s_barrier_signal -1
	s_barrier_wait -1
	s_and_saveexec_b32 s2, s0
	s_cbranch_execz .LBB99_46
; %bb.37:
	s_and_not1_b32 vcc_lo, exec_lo, s3
	s_cbranch_vccnz .LBB99_39
; %bb.38:
	ds_load_b32 v75, v111
	ds_load_b32 v76, v110
	s_wait_dscnt 0x0
	v_mul_f32_e32 v75, v75, v76
	s_cbranch_execz .LBB99_40
	s_branch .LBB99_41
.LBB99_39:
                                        ; implicit-def: $vgpr75
.LBB99_40:
	ds_load_b32 v75, v110
.LBB99_41:
	s_and_saveexec_b32 s4, s1
	s_cbranch_execz .LBB99_45
; %bb.42:
	s_movk_i32 s1, 0x90
	v_subrev_nc_u32_e32 v77, 31, v108
	v_mad_u32 v76, v74, s1, 0x19c
	s_movk_i32 s5, 0x10c
	s_mov_b32 s1, 0
.LBB99_43:                              ; =>This Inner Loop Header: Depth=1
	s_delay_alu instid0(VALU_DEP_2)
	v_dual_mov_b32 v78, s5 :: v_dual_add_nc_u32 v77, -1, v77
	s_add_co_i32 s5, s5, 4
	ds_load_b32 v79, v76
	ds_load_b32 v78, v78
	v_add_nc_u32_e32 v76, 4, v76
	v_cmp_eq_u32_e32 vcc_lo, 0, v77
	s_or_b32 s1, vcc_lo, s1
	s_wait_dscnt 0x0
	v_fmac_f32_e32 v75, v79, v78
	s_and_not1_b32 exec_lo, exec_lo, s1
	s_cbranch_execnz .LBB99_43
; %bb.44:
	s_or_b32 exec_lo, exec_lo, s1
.LBB99_45:
	s_delay_alu instid0(SALU_CYCLE_1)
	s_or_b32 exec_lo, exec_lo, s4
	v_mov_b32_e32 v76, 0
	ds_load_b32 v76, v76 offset:120
	s_wait_dscnt 0x0
	v_mul_f32_e32 v75, v75, v76
	ds_store_b32 v5, v75 offset:120
.LBB99_46:
	s_or_b32 exec_lo, exec_lo, s2
	ds_load_b32 v75, v5 offset:116
	v_cmp_lt_u32_e64 s1, 29, v108
	s_wait_dscnt 0x0
	ds_store_b32 v110, v75
	s_wait_dscnt 0x0
	s_barrier_signal -1
	s_barrier_wait -1
	s_and_saveexec_b32 s2, s1
	s_cbranch_execz .LBB99_56
; %bb.47:
	s_and_not1_b32 vcc_lo, exec_lo, s3
	s_cbranch_vccnz .LBB99_49
; %bb.48:
	ds_load_b32 v75, v111
	ds_load_b32 v76, v110
	s_wait_dscnt 0x0
	v_mul_f32_e32 v75, v75, v76
	s_cbranch_execz .LBB99_50
	s_branch .LBB99_51
.LBB99_49:
                                        ; implicit-def: $vgpr75
.LBB99_50:
	ds_load_b32 v75, v110
.LBB99_51:
	s_and_saveexec_b32 s4, s0
	s_cbranch_execz .LBB99_55
; %bb.52:
	s_movk_i32 s0, 0x90
	v_subrev_nc_u32_e32 v77, 30, v108
	v_mad_u32 v76, v74, s0, 0x198
	s_movk_i32 s5, 0x108
	s_mov_b32 s0, 0
.LBB99_53:                              ; =>This Inner Loop Header: Depth=1
	s_delay_alu instid0(VALU_DEP_2)
	v_dual_mov_b32 v78, s5 :: v_dual_add_nc_u32 v77, -1, v77
	s_add_co_i32 s5, s5, 4
	ds_load_b32 v79, v76
	ds_load_b32 v78, v78
	v_add_nc_u32_e32 v76, 4, v76
	v_cmp_eq_u32_e32 vcc_lo, 0, v77
	s_or_b32 s0, vcc_lo, s0
	s_wait_dscnt 0x0
	v_fmac_f32_e32 v75, v79, v78
	s_and_not1_b32 exec_lo, exec_lo, s0
	s_cbranch_execnz .LBB99_53
; %bb.54:
	s_or_b32 exec_lo, exec_lo, s0
.LBB99_55:
	s_delay_alu instid0(SALU_CYCLE_1)
	s_or_b32 exec_lo, exec_lo, s4
	v_mov_b32_e32 v76, 0
	ds_load_b32 v76, v76 offset:116
	s_wait_dscnt 0x0
	v_mul_f32_e32 v75, v75, v76
	ds_store_b32 v5, v75 offset:116
.LBB99_56:
	s_or_b32 exec_lo, exec_lo, s2
	ds_load_b32 v75, v5 offset:112
	v_cmp_lt_u32_e64 s0, 28, v108
	s_wait_dscnt 0x0
	ds_store_b32 v110, v75
	s_wait_dscnt 0x0
	s_barrier_signal -1
	s_barrier_wait -1
	s_and_saveexec_b32 s2, s0
	s_cbranch_execz .LBB99_66
; %bb.57:
	s_and_not1_b32 vcc_lo, exec_lo, s3
	s_cbranch_vccnz .LBB99_59
; %bb.58:
	ds_load_b32 v75, v111
	ds_load_b32 v76, v110
	s_wait_dscnt 0x0
	v_mul_f32_e32 v75, v75, v76
	s_cbranch_execz .LBB99_60
	s_branch .LBB99_61
.LBB99_59:
                                        ; implicit-def: $vgpr75
.LBB99_60:
	ds_load_b32 v75, v110
.LBB99_61:
	s_and_saveexec_b32 s4, s1
	s_cbranch_execz .LBB99_65
; %bb.62:
	s_movk_i32 s1, 0x90
	v_subrev_nc_u32_e32 v77, 29, v108
	v_mad_u32 v76, v74, s1, 0x194
	s_movk_i32 s5, 0x104
	s_mov_b32 s1, 0
.LBB99_63:                              ; =>This Inner Loop Header: Depth=1
	s_delay_alu instid0(VALU_DEP_2)
	v_dual_mov_b32 v78, s5 :: v_dual_add_nc_u32 v77, -1, v77
	s_add_co_i32 s5, s5, 4
	ds_load_b32 v79, v76
	ds_load_b32 v78, v78
	v_add_nc_u32_e32 v76, 4, v76
	v_cmp_eq_u32_e32 vcc_lo, 0, v77
	s_or_b32 s1, vcc_lo, s1
	s_wait_dscnt 0x0
	v_fmac_f32_e32 v75, v79, v78
	s_and_not1_b32 exec_lo, exec_lo, s1
	s_cbranch_execnz .LBB99_63
; %bb.64:
	s_or_b32 exec_lo, exec_lo, s1
.LBB99_65:
	s_delay_alu instid0(SALU_CYCLE_1)
	s_or_b32 exec_lo, exec_lo, s4
	v_mov_b32_e32 v76, 0
	ds_load_b32 v76, v76 offset:112
	s_wait_dscnt 0x0
	v_mul_f32_e32 v75, v75, v76
	ds_store_b32 v5, v75 offset:112
.LBB99_66:
	s_or_b32 exec_lo, exec_lo, s2
	ds_load_b32 v75, v5 offset:108
	v_cmp_lt_u32_e64 s1, 27, v108
	s_wait_dscnt 0x0
	ds_store_b32 v110, v75
	s_wait_dscnt 0x0
	s_barrier_signal -1
	s_barrier_wait -1
	s_and_saveexec_b32 s2, s1
	s_cbranch_execz .LBB99_76
; %bb.67:
	s_and_not1_b32 vcc_lo, exec_lo, s3
	s_cbranch_vccnz .LBB99_69
; %bb.68:
	ds_load_b32 v75, v111
	ds_load_b32 v76, v110
	s_wait_dscnt 0x0
	v_mul_f32_e32 v75, v75, v76
	s_cbranch_execz .LBB99_70
	s_branch .LBB99_71
.LBB99_69:
                                        ; implicit-def: $vgpr75
.LBB99_70:
	ds_load_b32 v75, v110
.LBB99_71:
	s_and_saveexec_b32 s4, s0
	s_cbranch_execz .LBB99_75
; %bb.72:
	s_movk_i32 s0, 0x90
	v_subrev_nc_u32_e32 v77, 28, v108
	v_mad_u32 v76, v74, s0, 0x190
	s_movk_i32 s5, 0x100
	s_mov_b32 s0, 0
.LBB99_73:                              ; =>This Inner Loop Header: Depth=1
	s_delay_alu instid0(VALU_DEP_2)
	v_dual_mov_b32 v78, s5 :: v_dual_add_nc_u32 v77, -1, v77
	s_add_co_i32 s5, s5, 4
	ds_load_b32 v79, v76
	ds_load_b32 v78, v78
	v_add_nc_u32_e32 v76, 4, v76
	v_cmp_eq_u32_e32 vcc_lo, 0, v77
	s_or_b32 s0, vcc_lo, s0
	s_wait_dscnt 0x0
	v_fmac_f32_e32 v75, v79, v78
	s_and_not1_b32 exec_lo, exec_lo, s0
	s_cbranch_execnz .LBB99_73
; %bb.74:
	s_or_b32 exec_lo, exec_lo, s0
.LBB99_75:
	s_delay_alu instid0(SALU_CYCLE_1)
	s_or_b32 exec_lo, exec_lo, s4
	v_mov_b32_e32 v76, 0
	ds_load_b32 v76, v76 offset:108
	s_wait_dscnt 0x0
	v_mul_f32_e32 v75, v75, v76
	ds_store_b32 v5, v75 offset:108
.LBB99_76:
	s_or_b32 exec_lo, exec_lo, s2
	ds_load_b32 v75, v5 offset:104
	v_cmp_lt_u32_e64 s0, 26, v108
	s_wait_dscnt 0x0
	ds_store_b32 v110, v75
	s_wait_dscnt 0x0
	s_barrier_signal -1
	s_barrier_wait -1
	s_and_saveexec_b32 s2, s0
	s_cbranch_execz .LBB99_86
; %bb.77:
	s_and_not1_b32 vcc_lo, exec_lo, s3
	s_cbranch_vccnz .LBB99_79
; %bb.78:
	ds_load_b32 v75, v111
	ds_load_b32 v76, v110
	s_wait_dscnt 0x0
	v_mul_f32_e32 v75, v75, v76
	s_cbranch_execz .LBB99_80
	s_branch .LBB99_81
.LBB99_79:
                                        ; implicit-def: $vgpr75
.LBB99_80:
	ds_load_b32 v75, v110
.LBB99_81:
	s_and_saveexec_b32 s4, s1
	s_cbranch_execz .LBB99_85
; %bb.82:
	s_movk_i32 s1, 0x90
	v_subrev_nc_u32_e32 v77, 27, v108
	v_mad_u32 v76, v74, s1, 0x18c
	s_movk_i32 s5, 0xfc
	s_mov_b32 s1, 0
.LBB99_83:                              ; =>This Inner Loop Header: Depth=1
	s_delay_alu instid0(VALU_DEP_2)
	v_dual_mov_b32 v78, s5 :: v_dual_add_nc_u32 v77, -1, v77
	s_add_co_i32 s5, s5, 4
	ds_load_b32 v79, v76
	ds_load_b32 v78, v78
	v_add_nc_u32_e32 v76, 4, v76
	v_cmp_eq_u32_e32 vcc_lo, 0, v77
	s_or_b32 s1, vcc_lo, s1
	s_wait_dscnt 0x0
	v_fmac_f32_e32 v75, v79, v78
	s_and_not1_b32 exec_lo, exec_lo, s1
	s_cbranch_execnz .LBB99_83
; %bb.84:
	s_or_b32 exec_lo, exec_lo, s1
.LBB99_85:
	s_delay_alu instid0(SALU_CYCLE_1)
	s_or_b32 exec_lo, exec_lo, s4
	v_mov_b32_e32 v76, 0
	ds_load_b32 v76, v76 offset:104
	s_wait_dscnt 0x0
	v_mul_f32_e32 v75, v75, v76
	ds_store_b32 v5, v75 offset:104
.LBB99_86:
	s_or_b32 exec_lo, exec_lo, s2
	ds_load_b32 v75, v5 offset:100
	v_cmp_lt_u32_e64 s1, 25, v108
	s_wait_dscnt 0x0
	ds_store_b32 v110, v75
	s_wait_dscnt 0x0
	s_barrier_signal -1
	s_barrier_wait -1
	s_and_saveexec_b32 s2, s1
	s_cbranch_execz .LBB99_96
; %bb.87:
	s_and_not1_b32 vcc_lo, exec_lo, s3
	s_cbranch_vccnz .LBB99_89
; %bb.88:
	ds_load_b32 v75, v111
	ds_load_b32 v76, v110
	s_wait_dscnt 0x0
	v_mul_f32_e32 v75, v75, v76
	s_cbranch_execz .LBB99_90
	s_branch .LBB99_91
.LBB99_89:
                                        ; implicit-def: $vgpr75
.LBB99_90:
	ds_load_b32 v75, v110
.LBB99_91:
	s_and_saveexec_b32 s4, s0
	s_cbranch_execz .LBB99_95
; %bb.92:
	s_movk_i32 s0, 0x90
	v_subrev_nc_u32_e32 v77, 26, v108
	v_mad_u32 v76, v74, s0, 0x188
	s_movk_i32 s5, 0xf8
	s_mov_b32 s0, 0
.LBB99_93:                              ; =>This Inner Loop Header: Depth=1
	s_delay_alu instid0(VALU_DEP_2)
	v_dual_mov_b32 v78, s5 :: v_dual_add_nc_u32 v77, -1, v77
	s_add_co_i32 s5, s5, 4
	ds_load_b32 v79, v76
	ds_load_b32 v78, v78
	v_add_nc_u32_e32 v76, 4, v76
	v_cmp_eq_u32_e32 vcc_lo, 0, v77
	s_or_b32 s0, vcc_lo, s0
	s_wait_dscnt 0x0
	v_fmac_f32_e32 v75, v79, v78
	s_and_not1_b32 exec_lo, exec_lo, s0
	s_cbranch_execnz .LBB99_93
; %bb.94:
	s_or_b32 exec_lo, exec_lo, s0
.LBB99_95:
	s_delay_alu instid0(SALU_CYCLE_1)
	s_or_b32 exec_lo, exec_lo, s4
	v_mov_b32_e32 v76, 0
	ds_load_b32 v76, v76 offset:100
	s_wait_dscnt 0x0
	v_mul_f32_e32 v75, v75, v76
	ds_store_b32 v5, v75 offset:100
.LBB99_96:
	s_or_b32 exec_lo, exec_lo, s2
	ds_load_b32 v75, v5 offset:96
	v_cmp_lt_u32_e64 s0, 24, v108
	s_wait_dscnt 0x0
	ds_store_b32 v110, v75
	s_wait_dscnt 0x0
	s_barrier_signal -1
	s_barrier_wait -1
	s_and_saveexec_b32 s2, s0
	s_cbranch_execz .LBB99_106
; %bb.97:
	s_and_not1_b32 vcc_lo, exec_lo, s3
	s_cbranch_vccnz .LBB99_99
; %bb.98:
	ds_load_b32 v75, v111
	ds_load_b32 v76, v110
	s_wait_dscnt 0x0
	v_mul_f32_e32 v75, v75, v76
	s_cbranch_execz .LBB99_100
	s_branch .LBB99_101
.LBB99_99:
                                        ; implicit-def: $vgpr75
.LBB99_100:
	ds_load_b32 v75, v110
.LBB99_101:
	s_and_saveexec_b32 s4, s1
	s_cbranch_execz .LBB99_105
; %bb.102:
	s_movk_i32 s1, 0x90
	v_subrev_nc_u32_e32 v77, 25, v108
	v_mad_u32 v76, v74, s1, 0x184
	s_movk_i32 s5, 0xf4
	s_mov_b32 s1, 0
.LBB99_103:                             ; =>This Inner Loop Header: Depth=1
	s_delay_alu instid0(VALU_DEP_2)
	v_dual_mov_b32 v78, s5 :: v_dual_add_nc_u32 v77, -1, v77
	s_add_co_i32 s5, s5, 4
	ds_load_b32 v79, v76
	ds_load_b32 v78, v78
	v_add_nc_u32_e32 v76, 4, v76
	v_cmp_eq_u32_e32 vcc_lo, 0, v77
	s_or_b32 s1, vcc_lo, s1
	s_wait_dscnt 0x0
	v_fmac_f32_e32 v75, v79, v78
	s_and_not1_b32 exec_lo, exec_lo, s1
	s_cbranch_execnz .LBB99_103
; %bb.104:
	s_or_b32 exec_lo, exec_lo, s1
.LBB99_105:
	s_delay_alu instid0(SALU_CYCLE_1)
	s_or_b32 exec_lo, exec_lo, s4
	v_mov_b32_e32 v76, 0
	ds_load_b32 v76, v76 offset:96
	s_wait_dscnt 0x0
	v_mul_f32_e32 v75, v75, v76
	ds_store_b32 v5, v75 offset:96
.LBB99_106:
	s_or_b32 exec_lo, exec_lo, s2
	ds_load_b32 v75, v5 offset:92
	v_cmp_lt_u32_e64 s1, 23, v108
	s_wait_dscnt 0x0
	ds_store_b32 v110, v75
	s_wait_dscnt 0x0
	s_barrier_signal -1
	s_barrier_wait -1
	s_and_saveexec_b32 s2, s1
	s_cbranch_execz .LBB99_116
; %bb.107:
	s_and_not1_b32 vcc_lo, exec_lo, s3
	s_cbranch_vccnz .LBB99_109
; %bb.108:
	ds_load_b32 v75, v111
	ds_load_b32 v76, v110
	s_wait_dscnt 0x0
	v_mul_f32_e32 v75, v75, v76
	s_cbranch_execz .LBB99_110
	s_branch .LBB99_111
.LBB99_109:
                                        ; implicit-def: $vgpr75
.LBB99_110:
	ds_load_b32 v75, v110
.LBB99_111:
	s_and_saveexec_b32 s4, s0
	s_cbranch_execz .LBB99_115
; %bb.112:
	s_movk_i32 s0, 0x90
	v_subrev_nc_u32_e32 v77, 24, v108
	v_mad_u32 v76, v74, s0, 0x180
	s_movk_i32 s5, 0xf0
	s_mov_b32 s0, 0
.LBB99_113:                             ; =>This Inner Loop Header: Depth=1
	s_delay_alu instid0(VALU_DEP_2)
	v_dual_mov_b32 v78, s5 :: v_dual_add_nc_u32 v77, -1, v77
	s_add_co_i32 s5, s5, 4
	ds_load_b32 v79, v76
	ds_load_b32 v78, v78
	v_add_nc_u32_e32 v76, 4, v76
	v_cmp_eq_u32_e32 vcc_lo, 0, v77
	s_or_b32 s0, vcc_lo, s0
	s_wait_dscnt 0x0
	v_fmac_f32_e32 v75, v79, v78
	s_and_not1_b32 exec_lo, exec_lo, s0
	s_cbranch_execnz .LBB99_113
; %bb.114:
	s_or_b32 exec_lo, exec_lo, s0
.LBB99_115:
	s_delay_alu instid0(SALU_CYCLE_1)
	s_or_b32 exec_lo, exec_lo, s4
	v_mov_b32_e32 v76, 0
	ds_load_b32 v76, v76 offset:92
	s_wait_dscnt 0x0
	v_mul_f32_e32 v75, v75, v76
	ds_store_b32 v5, v75 offset:92
.LBB99_116:
	;; [unrolled: 57-line block ×9, first 2 shown]
	s_or_b32 exec_lo, exec_lo, s2
	ds_load_b32 v75, v5 offset:60
	v_cmp_lt_u32_e64 s1, 15, v108
	s_wait_dscnt 0x0
	ds_store_b32 v110, v75
	s_wait_dscnt 0x0
	s_barrier_signal -1
	s_barrier_wait -1
	s_and_saveexec_b32 s2, s1
	s_cbranch_execz .LBB99_196
; %bb.187:
	s_and_not1_b32 vcc_lo, exec_lo, s3
	s_cbranch_vccnz .LBB99_189
; %bb.188:
	ds_load_b32 v75, v111
	ds_load_b32 v76, v110
	s_wait_dscnt 0x0
	v_mul_f32_e32 v75, v75, v76
	s_cbranch_execz .LBB99_190
	s_branch .LBB99_191
.LBB99_189:
                                        ; implicit-def: $vgpr75
.LBB99_190:
	ds_load_b32 v75, v110
.LBB99_191:
	s_and_saveexec_b32 s4, s0
	s_cbranch_execz .LBB99_195
; %bb.192:
	s_movk_i32 s0, 0x90
	v_add_nc_u32_e32 v77, -16, v108
	v_mad_u32 v76, v74, s0, 0x160
	s_movk_i32 s5, 0xd0
	s_mov_b32 s0, 0
.LBB99_193:                             ; =>This Inner Loop Header: Depth=1
	s_delay_alu instid0(VALU_DEP_2)
	v_dual_mov_b32 v78, s5 :: v_dual_add_nc_u32 v77, -1, v77
	s_add_co_i32 s5, s5, 4
	ds_load_b32 v79, v76
	ds_load_b32 v78, v78
	v_add_nc_u32_e32 v76, 4, v76
	v_cmp_eq_u32_e32 vcc_lo, 0, v77
	s_or_b32 s0, vcc_lo, s0
	s_wait_dscnt 0x0
	v_fmac_f32_e32 v75, v79, v78
	s_and_not1_b32 exec_lo, exec_lo, s0
	s_cbranch_execnz .LBB99_193
; %bb.194:
	s_or_b32 exec_lo, exec_lo, s0
.LBB99_195:
	s_delay_alu instid0(SALU_CYCLE_1)
	s_or_b32 exec_lo, exec_lo, s4
	v_mov_b32_e32 v76, 0
	ds_load_b32 v76, v76 offset:60
	s_wait_dscnt 0x0
	v_mul_f32_e32 v75, v75, v76
	ds_store_b32 v5, v75 offset:60
.LBB99_196:
	s_or_b32 exec_lo, exec_lo, s2
	ds_load_b32 v75, v5 offset:56
	v_cmp_lt_u32_e64 s0, 14, v108
	s_wait_dscnt 0x0
	ds_store_b32 v110, v75
	s_wait_dscnt 0x0
	s_barrier_signal -1
	s_barrier_wait -1
	s_and_saveexec_b32 s2, s0
	s_cbranch_execz .LBB99_206
; %bb.197:
	s_and_not1_b32 vcc_lo, exec_lo, s3
	s_cbranch_vccnz .LBB99_199
; %bb.198:
	ds_load_b32 v75, v111
	ds_load_b32 v76, v110
	s_wait_dscnt 0x0
	v_mul_f32_e32 v75, v75, v76
	s_cbranch_execz .LBB99_200
	s_branch .LBB99_201
.LBB99_199:
                                        ; implicit-def: $vgpr75
.LBB99_200:
	ds_load_b32 v75, v110
.LBB99_201:
	s_and_saveexec_b32 s4, s1
	s_cbranch_execz .LBB99_205
; %bb.202:
	s_movk_i32 s1, 0x90
	v_add_nc_u32_e32 v77, -15, v108
	v_mad_u32 v76, v74, s1, 0x15c
	s_movk_i32 s5, 0xcc
	s_mov_b32 s1, 0
.LBB99_203:                             ; =>This Inner Loop Header: Depth=1
	s_delay_alu instid0(VALU_DEP_2)
	v_dual_mov_b32 v78, s5 :: v_dual_add_nc_u32 v77, -1, v77
	s_add_co_i32 s5, s5, 4
	ds_load_b32 v79, v76
	ds_load_b32 v78, v78
	v_add_nc_u32_e32 v76, 4, v76
	v_cmp_eq_u32_e32 vcc_lo, 0, v77
	s_or_b32 s1, vcc_lo, s1
	s_wait_dscnt 0x0
	v_fmac_f32_e32 v75, v79, v78
	s_and_not1_b32 exec_lo, exec_lo, s1
	s_cbranch_execnz .LBB99_203
; %bb.204:
	s_or_b32 exec_lo, exec_lo, s1
.LBB99_205:
	s_delay_alu instid0(SALU_CYCLE_1)
	s_or_b32 exec_lo, exec_lo, s4
	v_mov_b32_e32 v76, 0
	ds_load_b32 v76, v76 offset:56
	s_wait_dscnt 0x0
	v_mul_f32_e32 v75, v75, v76
	ds_store_b32 v5, v75 offset:56
.LBB99_206:
	s_or_b32 exec_lo, exec_lo, s2
	ds_load_b32 v75, v5 offset:52
	v_cmp_lt_u32_e64 s1, 13, v108
	s_wait_dscnt 0x0
	ds_store_b32 v110, v75
	s_wait_dscnt 0x0
	s_barrier_signal -1
	s_barrier_wait -1
	s_and_saveexec_b32 s2, s1
	s_cbranch_execz .LBB99_216
; %bb.207:
	s_and_not1_b32 vcc_lo, exec_lo, s3
	s_cbranch_vccnz .LBB99_209
; %bb.208:
	ds_load_b32 v75, v111
	ds_load_b32 v76, v110
	s_wait_dscnt 0x0
	v_mul_f32_e32 v75, v75, v76
	s_cbranch_execz .LBB99_210
	s_branch .LBB99_211
.LBB99_209:
                                        ; implicit-def: $vgpr75
.LBB99_210:
	ds_load_b32 v75, v110
.LBB99_211:
	s_and_saveexec_b32 s4, s0
	s_cbranch_execz .LBB99_215
; %bb.212:
	s_movk_i32 s0, 0x90
	v_add_nc_u32_e32 v77, -14, v108
	v_mad_u32 v76, v74, s0, 0x158
	s_movk_i32 s5, 0xc8
	s_mov_b32 s0, 0
.LBB99_213:                             ; =>This Inner Loop Header: Depth=1
	s_delay_alu instid0(VALU_DEP_2)
	v_dual_mov_b32 v78, s5 :: v_dual_add_nc_u32 v77, -1, v77
	s_add_co_i32 s5, s5, 4
	ds_load_b32 v79, v76
	ds_load_b32 v78, v78
	v_add_nc_u32_e32 v76, 4, v76
	v_cmp_eq_u32_e32 vcc_lo, 0, v77
	s_or_b32 s0, vcc_lo, s0
	s_wait_dscnt 0x0
	v_fmac_f32_e32 v75, v79, v78
	s_and_not1_b32 exec_lo, exec_lo, s0
	s_cbranch_execnz .LBB99_213
; %bb.214:
	s_or_b32 exec_lo, exec_lo, s0
.LBB99_215:
	s_delay_alu instid0(SALU_CYCLE_1)
	s_or_b32 exec_lo, exec_lo, s4
	v_mov_b32_e32 v76, 0
	ds_load_b32 v76, v76 offset:52
	s_wait_dscnt 0x0
	v_mul_f32_e32 v75, v75, v76
	ds_store_b32 v5, v75 offset:52
.LBB99_216:
	s_or_b32 exec_lo, exec_lo, s2
	ds_load_b32 v75, v5 offset:48
	v_cmp_lt_u32_e64 s0, 12, v108
	s_wait_dscnt 0x0
	ds_store_b32 v110, v75
	s_wait_dscnt 0x0
	s_barrier_signal -1
	s_barrier_wait -1
	s_and_saveexec_b32 s2, s0
	s_cbranch_execz .LBB99_226
; %bb.217:
	s_and_not1_b32 vcc_lo, exec_lo, s3
	s_cbranch_vccnz .LBB99_219
; %bb.218:
	ds_load_b32 v75, v111
	ds_load_b32 v76, v110
	s_wait_dscnt 0x0
	v_mul_f32_e32 v75, v75, v76
	s_cbranch_execz .LBB99_220
	s_branch .LBB99_221
.LBB99_219:
                                        ; implicit-def: $vgpr75
.LBB99_220:
	ds_load_b32 v75, v110
.LBB99_221:
	s_and_saveexec_b32 s4, s1
	s_cbranch_execz .LBB99_225
; %bb.222:
	s_movk_i32 s1, 0x90
	v_add_nc_u32_e32 v77, -13, v108
	v_mad_u32 v76, v74, s1, 0x154
	s_movk_i32 s5, 0xc4
	s_mov_b32 s1, 0
.LBB99_223:                             ; =>This Inner Loop Header: Depth=1
	s_delay_alu instid0(VALU_DEP_2)
	v_dual_mov_b32 v78, s5 :: v_dual_add_nc_u32 v77, -1, v77
	s_add_co_i32 s5, s5, 4
	ds_load_b32 v79, v76
	ds_load_b32 v78, v78
	v_add_nc_u32_e32 v76, 4, v76
	v_cmp_eq_u32_e32 vcc_lo, 0, v77
	s_or_b32 s1, vcc_lo, s1
	s_wait_dscnt 0x0
	v_fmac_f32_e32 v75, v79, v78
	s_and_not1_b32 exec_lo, exec_lo, s1
	s_cbranch_execnz .LBB99_223
; %bb.224:
	s_or_b32 exec_lo, exec_lo, s1
.LBB99_225:
	s_delay_alu instid0(SALU_CYCLE_1)
	s_or_b32 exec_lo, exec_lo, s4
	v_mov_b32_e32 v76, 0
	ds_load_b32 v76, v76 offset:48
	s_wait_dscnt 0x0
	v_mul_f32_e32 v75, v75, v76
	ds_store_b32 v5, v75 offset:48
.LBB99_226:
	s_or_b32 exec_lo, exec_lo, s2
	ds_load_b32 v75, v5 offset:44
	v_cmp_lt_u32_e64 s1, 11, v108
	s_wait_dscnt 0x0
	ds_store_b32 v110, v75
	s_wait_dscnt 0x0
	s_barrier_signal -1
	s_barrier_wait -1
	s_and_saveexec_b32 s2, s1
	s_cbranch_execz .LBB99_236
; %bb.227:
	s_and_not1_b32 vcc_lo, exec_lo, s3
	s_cbranch_vccnz .LBB99_229
; %bb.228:
	ds_load_b32 v75, v111
	ds_load_b32 v76, v110
	s_wait_dscnt 0x0
	v_mul_f32_e32 v75, v75, v76
	s_cbranch_execz .LBB99_230
	s_branch .LBB99_231
.LBB99_229:
                                        ; implicit-def: $vgpr75
.LBB99_230:
	ds_load_b32 v75, v110
.LBB99_231:
	s_and_saveexec_b32 s4, s0
	s_cbranch_execz .LBB99_235
; %bb.232:
	s_movk_i32 s0, 0x90
	v_add_nc_u32_e32 v77, -12, v108
	v_mad_u32 v76, v74, s0, 0x150
	s_movk_i32 s5, 0xc0
	s_mov_b32 s0, 0
.LBB99_233:                             ; =>This Inner Loop Header: Depth=1
	s_delay_alu instid0(VALU_DEP_2)
	v_dual_mov_b32 v78, s5 :: v_dual_add_nc_u32 v77, -1, v77
	s_add_co_i32 s5, s5, 4
	ds_load_b32 v79, v76
	ds_load_b32 v78, v78
	v_add_nc_u32_e32 v76, 4, v76
	v_cmp_eq_u32_e32 vcc_lo, 0, v77
	s_or_b32 s0, vcc_lo, s0
	s_wait_dscnt 0x0
	v_fmac_f32_e32 v75, v79, v78
	s_and_not1_b32 exec_lo, exec_lo, s0
	s_cbranch_execnz .LBB99_233
; %bb.234:
	s_or_b32 exec_lo, exec_lo, s0
.LBB99_235:
	s_delay_alu instid0(SALU_CYCLE_1)
	s_or_b32 exec_lo, exec_lo, s4
	v_mov_b32_e32 v76, 0
	ds_load_b32 v76, v76 offset:44
	s_wait_dscnt 0x0
	v_mul_f32_e32 v75, v75, v76
	ds_store_b32 v5, v75 offset:44
.LBB99_236:
	s_or_b32 exec_lo, exec_lo, s2
	ds_load_b32 v75, v5 offset:40
	v_cmp_lt_u32_e64 s0, 10, v108
	s_wait_dscnt 0x0
	ds_store_b32 v110, v75
	s_wait_dscnt 0x0
	s_barrier_signal -1
	s_barrier_wait -1
	s_and_saveexec_b32 s2, s0
	s_cbranch_execz .LBB99_246
; %bb.237:
	s_and_not1_b32 vcc_lo, exec_lo, s3
	s_cbranch_vccnz .LBB99_239
; %bb.238:
	ds_load_b32 v75, v111
	ds_load_b32 v76, v110
	s_wait_dscnt 0x0
	v_mul_f32_e32 v75, v75, v76
	s_cbranch_execz .LBB99_240
	s_branch .LBB99_241
.LBB99_239:
                                        ; implicit-def: $vgpr75
.LBB99_240:
	ds_load_b32 v75, v110
.LBB99_241:
	s_and_saveexec_b32 s4, s1
	s_cbranch_execz .LBB99_245
; %bb.242:
	s_movk_i32 s1, 0x90
	v_add_nc_u32_e32 v77, -11, v108
	v_mad_u32 v76, v74, s1, 0x14c
	s_movk_i32 s5, 0xbc
	s_mov_b32 s1, 0
.LBB99_243:                             ; =>This Inner Loop Header: Depth=1
	s_delay_alu instid0(VALU_DEP_2)
	v_dual_mov_b32 v78, s5 :: v_dual_add_nc_u32 v77, -1, v77
	s_add_co_i32 s5, s5, 4
	ds_load_b32 v79, v76
	ds_load_b32 v78, v78
	v_add_nc_u32_e32 v76, 4, v76
	v_cmp_eq_u32_e32 vcc_lo, 0, v77
	s_or_b32 s1, vcc_lo, s1
	s_wait_dscnt 0x0
	v_fmac_f32_e32 v75, v79, v78
	s_and_not1_b32 exec_lo, exec_lo, s1
	s_cbranch_execnz .LBB99_243
; %bb.244:
	s_or_b32 exec_lo, exec_lo, s1
.LBB99_245:
	s_delay_alu instid0(SALU_CYCLE_1)
	s_or_b32 exec_lo, exec_lo, s4
	v_mov_b32_e32 v76, 0
	ds_load_b32 v76, v76 offset:40
	s_wait_dscnt 0x0
	v_mul_f32_e32 v75, v75, v76
	ds_store_b32 v5, v75 offset:40
.LBB99_246:
	s_or_b32 exec_lo, exec_lo, s2
	ds_load_b32 v75, v5 offset:36
	v_cmp_lt_u32_e64 s1, 9, v108
	s_wait_dscnt 0x0
	ds_store_b32 v110, v75
	s_wait_dscnt 0x0
	s_barrier_signal -1
	s_barrier_wait -1
	s_and_saveexec_b32 s2, s1
	s_cbranch_execz .LBB99_256
; %bb.247:
	s_and_not1_b32 vcc_lo, exec_lo, s3
	s_cbranch_vccnz .LBB99_249
; %bb.248:
	ds_load_b32 v75, v111
	ds_load_b32 v76, v110
	s_wait_dscnt 0x0
	v_mul_f32_e32 v75, v75, v76
	s_cbranch_execz .LBB99_250
	s_branch .LBB99_251
.LBB99_249:
                                        ; implicit-def: $vgpr75
.LBB99_250:
	ds_load_b32 v75, v110
.LBB99_251:
	s_and_saveexec_b32 s4, s0
	s_cbranch_execz .LBB99_255
; %bb.252:
	s_movk_i32 s0, 0x90
	v_add_nc_u32_e32 v77, -10, v108
	v_mad_u32 v76, v74, s0, 0x148
	s_movk_i32 s5, 0xb8
	s_mov_b32 s0, 0
.LBB99_253:                             ; =>This Inner Loop Header: Depth=1
	s_delay_alu instid0(VALU_DEP_2)
	v_dual_mov_b32 v78, s5 :: v_dual_add_nc_u32 v77, -1, v77
	s_add_co_i32 s5, s5, 4
	ds_load_b32 v79, v76
	ds_load_b32 v78, v78
	v_add_nc_u32_e32 v76, 4, v76
	v_cmp_eq_u32_e32 vcc_lo, 0, v77
	s_or_b32 s0, vcc_lo, s0
	s_wait_dscnt 0x0
	v_fmac_f32_e32 v75, v79, v78
	s_and_not1_b32 exec_lo, exec_lo, s0
	s_cbranch_execnz .LBB99_253
; %bb.254:
	s_or_b32 exec_lo, exec_lo, s0
.LBB99_255:
	s_delay_alu instid0(SALU_CYCLE_1)
	s_or_b32 exec_lo, exec_lo, s4
	v_mov_b32_e32 v76, 0
	ds_load_b32 v76, v76 offset:36
	s_wait_dscnt 0x0
	v_mul_f32_e32 v75, v75, v76
	ds_store_b32 v5, v75 offset:36
.LBB99_256:
	s_or_b32 exec_lo, exec_lo, s2
	ds_load_b32 v75, v5 offset:32
	v_cmp_lt_u32_e64 s0, 8, v108
	s_wait_dscnt 0x0
	ds_store_b32 v110, v75
	s_wait_dscnt 0x0
	s_barrier_signal -1
	s_barrier_wait -1
	s_and_saveexec_b32 s2, s0
	s_cbranch_execz .LBB99_266
; %bb.257:
	s_and_not1_b32 vcc_lo, exec_lo, s3
	s_cbranch_vccnz .LBB99_259
; %bb.258:
	ds_load_b32 v75, v111
	ds_load_b32 v76, v110
	s_wait_dscnt 0x0
	v_mul_f32_e32 v75, v75, v76
	s_cbranch_execz .LBB99_260
	s_branch .LBB99_261
.LBB99_259:
                                        ; implicit-def: $vgpr75
.LBB99_260:
	ds_load_b32 v75, v110
.LBB99_261:
	s_and_saveexec_b32 s4, s1
	s_cbranch_execz .LBB99_265
; %bb.262:
	s_movk_i32 s1, 0x90
	v_add_nc_u32_e32 v77, -9, v108
	v_mad_u32 v76, v74, s1, 0x144
	s_movk_i32 s5, 0xb4
	s_mov_b32 s1, 0
.LBB99_263:                             ; =>This Inner Loop Header: Depth=1
	s_delay_alu instid0(VALU_DEP_2)
	v_dual_mov_b32 v78, s5 :: v_dual_add_nc_u32 v77, -1, v77
	s_add_co_i32 s5, s5, 4
	ds_load_b32 v79, v76
	ds_load_b32 v78, v78
	v_add_nc_u32_e32 v76, 4, v76
	v_cmp_eq_u32_e32 vcc_lo, 0, v77
	s_or_b32 s1, vcc_lo, s1
	s_wait_dscnt 0x0
	v_fmac_f32_e32 v75, v79, v78
	s_and_not1_b32 exec_lo, exec_lo, s1
	s_cbranch_execnz .LBB99_263
; %bb.264:
	s_or_b32 exec_lo, exec_lo, s1
.LBB99_265:
	s_delay_alu instid0(SALU_CYCLE_1)
	s_or_b32 exec_lo, exec_lo, s4
	v_mov_b32_e32 v76, 0
	ds_load_b32 v76, v76 offset:32
	s_wait_dscnt 0x0
	v_mul_f32_e32 v75, v75, v76
	ds_store_b32 v5, v75 offset:32
.LBB99_266:
	s_or_b32 exec_lo, exec_lo, s2
	ds_load_b32 v75, v5 offset:28
	v_cmp_lt_u32_e64 s1, 7, v108
	s_wait_dscnt 0x0
	ds_store_b32 v110, v75
	s_wait_dscnt 0x0
	s_barrier_signal -1
	s_barrier_wait -1
	s_and_saveexec_b32 s2, s1
	s_cbranch_execz .LBB99_276
; %bb.267:
	s_and_not1_b32 vcc_lo, exec_lo, s3
	s_cbranch_vccnz .LBB99_269
; %bb.268:
	ds_load_b32 v75, v111
	ds_load_b32 v76, v110
	s_wait_dscnt 0x0
	v_mul_f32_e32 v75, v75, v76
	s_cbranch_execz .LBB99_270
	s_branch .LBB99_271
.LBB99_269:
                                        ; implicit-def: $vgpr75
.LBB99_270:
	ds_load_b32 v75, v110
.LBB99_271:
	s_and_saveexec_b32 s4, s0
	s_cbranch_execz .LBB99_275
; %bb.272:
	s_movk_i32 s0, 0x90
	v_add_nc_u32_e32 v77, -8, v108
	v_mad_u32 v76, v74, s0, 0x140
	s_movk_i32 s5, 0xb0
	s_mov_b32 s0, 0
.LBB99_273:                             ; =>This Inner Loop Header: Depth=1
	s_delay_alu instid0(VALU_DEP_2)
	v_dual_mov_b32 v78, s5 :: v_dual_add_nc_u32 v77, -1, v77
	s_add_co_i32 s5, s5, 4
	ds_load_b32 v79, v76
	ds_load_b32 v78, v78
	v_add_nc_u32_e32 v76, 4, v76
	v_cmp_eq_u32_e32 vcc_lo, 0, v77
	s_or_b32 s0, vcc_lo, s0
	s_wait_dscnt 0x0
	v_fmac_f32_e32 v75, v79, v78
	s_and_not1_b32 exec_lo, exec_lo, s0
	s_cbranch_execnz .LBB99_273
; %bb.274:
	s_or_b32 exec_lo, exec_lo, s0
.LBB99_275:
	s_delay_alu instid0(SALU_CYCLE_1)
	s_or_b32 exec_lo, exec_lo, s4
	v_mov_b32_e32 v76, 0
	ds_load_b32 v76, v76 offset:28
	s_wait_dscnt 0x0
	v_mul_f32_e32 v75, v75, v76
	ds_store_b32 v5, v75 offset:28
.LBB99_276:
	s_or_b32 exec_lo, exec_lo, s2
	ds_load_b32 v75, v5 offset:24
	v_cmp_lt_u32_e64 s0, 6, v108
	s_wait_dscnt 0x0
	ds_store_b32 v110, v75
	s_wait_dscnt 0x0
	s_barrier_signal -1
	s_barrier_wait -1
	s_and_saveexec_b32 s2, s0
	s_cbranch_execz .LBB99_286
; %bb.277:
	s_and_not1_b32 vcc_lo, exec_lo, s3
	s_cbranch_vccnz .LBB99_279
; %bb.278:
	ds_load_b32 v75, v111
	ds_load_b32 v76, v110
	s_wait_dscnt 0x0
	v_mul_f32_e32 v75, v75, v76
	s_cbranch_execz .LBB99_280
	s_branch .LBB99_281
.LBB99_279:
                                        ; implicit-def: $vgpr75
.LBB99_280:
	ds_load_b32 v75, v110
.LBB99_281:
	s_and_saveexec_b32 s4, s1
	s_cbranch_execz .LBB99_285
; %bb.282:
	s_movk_i32 s1, 0x90
	v_add_nc_u32_e32 v77, -7, v108
	v_mad_u32 v76, v74, s1, 0x13c
	s_movk_i32 s5, 0xac
	s_mov_b32 s1, 0
.LBB99_283:                             ; =>This Inner Loop Header: Depth=1
	s_delay_alu instid0(VALU_DEP_2)
	v_dual_mov_b32 v78, s5 :: v_dual_add_nc_u32 v77, -1, v77
	s_add_co_i32 s5, s5, 4
	ds_load_b32 v79, v76
	ds_load_b32 v78, v78
	v_add_nc_u32_e32 v76, 4, v76
	v_cmp_eq_u32_e32 vcc_lo, 0, v77
	s_or_b32 s1, vcc_lo, s1
	s_wait_dscnt 0x0
	v_fmac_f32_e32 v75, v79, v78
	s_and_not1_b32 exec_lo, exec_lo, s1
	s_cbranch_execnz .LBB99_283
; %bb.284:
	s_or_b32 exec_lo, exec_lo, s1
.LBB99_285:
	s_delay_alu instid0(SALU_CYCLE_1)
	s_or_b32 exec_lo, exec_lo, s4
	v_mov_b32_e32 v76, 0
	ds_load_b32 v76, v76 offset:24
	s_wait_dscnt 0x0
	v_mul_f32_e32 v75, v75, v76
	ds_store_b32 v5, v75 offset:24
.LBB99_286:
	s_or_b32 exec_lo, exec_lo, s2
	ds_load_b32 v75, v5 offset:20
	v_cmp_lt_u32_e64 s1, 5, v108
	s_wait_dscnt 0x0
	ds_store_b32 v110, v75
	s_wait_dscnt 0x0
	s_barrier_signal -1
	s_barrier_wait -1
	s_and_saveexec_b32 s2, s1
	s_cbranch_execz .LBB99_296
; %bb.287:
	s_and_not1_b32 vcc_lo, exec_lo, s3
	s_cbranch_vccnz .LBB99_289
; %bb.288:
	ds_load_b32 v75, v111
	ds_load_b32 v76, v110
	s_wait_dscnt 0x0
	v_mul_f32_e32 v75, v75, v76
	s_cbranch_execz .LBB99_290
	s_branch .LBB99_291
.LBB99_289:
                                        ; implicit-def: $vgpr75
.LBB99_290:
	ds_load_b32 v75, v110
.LBB99_291:
	s_and_saveexec_b32 s4, s0
	s_cbranch_execz .LBB99_295
; %bb.292:
	s_movk_i32 s0, 0x90
	v_add_nc_u32_e32 v77, -6, v108
	v_mad_u32 v76, v74, s0, 0x138
	s_movk_i32 s5, 0xa8
	s_mov_b32 s0, 0
.LBB99_293:                             ; =>This Inner Loop Header: Depth=1
	s_delay_alu instid0(VALU_DEP_2)
	v_dual_mov_b32 v78, s5 :: v_dual_add_nc_u32 v77, -1, v77
	s_add_co_i32 s5, s5, 4
	ds_load_b32 v79, v76
	ds_load_b32 v78, v78
	v_add_nc_u32_e32 v76, 4, v76
	v_cmp_eq_u32_e32 vcc_lo, 0, v77
	s_or_b32 s0, vcc_lo, s0
	s_wait_dscnt 0x0
	v_fmac_f32_e32 v75, v79, v78
	s_and_not1_b32 exec_lo, exec_lo, s0
	s_cbranch_execnz .LBB99_293
; %bb.294:
	s_or_b32 exec_lo, exec_lo, s0
.LBB99_295:
	s_delay_alu instid0(SALU_CYCLE_1)
	s_or_b32 exec_lo, exec_lo, s4
	v_mov_b32_e32 v76, 0
	ds_load_b32 v76, v76 offset:20
	s_wait_dscnt 0x0
	v_mul_f32_e32 v75, v75, v76
	ds_store_b32 v5, v75 offset:20
.LBB99_296:
	s_or_b32 exec_lo, exec_lo, s2
	ds_load_b32 v75, v5 offset:16
	v_cmp_lt_u32_e64 s0, 4, v108
	s_wait_dscnt 0x0
	ds_store_b32 v110, v75
	s_wait_dscnt 0x0
	s_barrier_signal -1
	s_barrier_wait -1
	s_and_saveexec_b32 s2, s0
	s_cbranch_execz .LBB99_306
; %bb.297:
	s_and_not1_b32 vcc_lo, exec_lo, s3
	s_cbranch_vccnz .LBB99_299
; %bb.298:
	ds_load_b32 v75, v111
	ds_load_b32 v76, v110
	s_wait_dscnt 0x0
	v_mul_f32_e32 v75, v75, v76
	s_cbranch_execz .LBB99_300
	s_branch .LBB99_301
.LBB99_299:
                                        ; implicit-def: $vgpr75
.LBB99_300:
	ds_load_b32 v75, v110
.LBB99_301:
	s_and_saveexec_b32 s4, s1
	s_cbranch_execz .LBB99_305
; %bb.302:
	s_movk_i32 s1, 0x90
	v_add_nc_u32_e32 v77, -5, v108
	v_mad_u32 v76, v74, s1, 0x134
	s_movk_i32 s5, 0xa4
	s_mov_b32 s1, 0
.LBB99_303:                             ; =>This Inner Loop Header: Depth=1
	s_delay_alu instid0(VALU_DEP_2)
	v_dual_mov_b32 v78, s5 :: v_dual_add_nc_u32 v77, -1, v77
	s_add_co_i32 s5, s5, 4
	ds_load_b32 v79, v76
	ds_load_b32 v78, v78
	v_add_nc_u32_e32 v76, 4, v76
	v_cmp_eq_u32_e32 vcc_lo, 0, v77
	s_or_b32 s1, vcc_lo, s1
	s_wait_dscnt 0x0
	v_fmac_f32_e32 v75, v79, v78
	s_and_not1_b32 exec_lo, exec_lo, s1
	s_cbranch_execnz .LBB99_303
; %bb.304:
	s_or_b32 exec_lo, exec_lo, s1
.LBB99_305:
	s_delay_alu instid0(SALU_CYCLE_1)
	s_or_b32 exec_lo, exec_lo, s4
	v_mov_b32_e32 v76, 0
	ds_load_b32 v76, v76 offset:16
	s_wait_dscnt 0x0
	v_mul_f32_e32 v75, v75, v76
	ds_store_b32 v5, v75 offset:16
.LBB99_306:
	s_or_b32 exec_lo, exec_lo, s2
	ds_load_b32 v75, v5 offset:12
	v_cmp_lt_u32_e64 s1, 3, v108
	s_wait_dscnt 0x0
	ds_store_b32 v110, v75
	s_wait_dscnt 0x0
	s_barrier_signal -1
	s_barrier_wait -1
	s_and_saveexec_b32 s2, s1
	s_cbranch_execz .LBB99_316
; %bb.307:
	s_and_not1_b32 vcc_lo, exec_lo, s3
	s_cbranch_vccnz .LBB99_309
; %bb.308:
	ds_load_b32 v75, v111
	ds_load_b32 v76, v110
	s_wait_dscnt 0x0
	v_mul_f32_e32 v75, v75, v76
	s_cbranch_execz .LBB99_310
	s_branch .LBB99_311
.LBB99_309:
                                        ; implicit-def: $vgpr75
.LBB99_310:
	ds_load_b32 v75, v110
.LBB99_311:
	s_and_saveexec_b32 s4, s0
	s_cbranch_execz .LBB99_315
; %bb.312:
	s_movk_i32 s0, 0x90
	v_add_nc_u32_e32 v77, -4, v108
	v_mad_u32 v76, v74, s0, 0x130
	s_movk_i32 s5, 0xa0
	s_mov_b32 s0, 0
.LBB99_313:                             ; =>This Inner Loop Header: Depth=1
	s_delay_alu instid0(VALU_DEP_2)
	v_dual_mov_b32 v78, s5 :: v_dual_add_nc_u32 v77, -1, v77
	s_add_co_i32 s5, s5, 4
	ds_load_b32 v79, v76
	ds_load_b32 v78, v78
	v_add_nc_u32_e32 v76, 4, v76
	v_cmp_eq_u32_e32 vcc_lo, 0, v77
	s_or_b32 s0, vcc_lo, s0
	s_wait_dscnt 0x0
	v_fmac_f32_e32 v75, v79, v78
	s_and_not1_b32 exec_lo, exec_lo, s0
	s_cbranch_execnz .LBB99_313
; %bb.314:
	s_or_b32 exec_lo, exec_lo, s0
.LBB99_315:
	s_delay_alu instid0(SALU_CYCLE_1)
	s_or_b32 exec_lo, exec_lo, s4
	v_mov_b32_e32 v76, 0
	ds_load_b32 v76, v76 offset:12
	s_wait_dscnt 0x0
	v_mul_f32_e32 v75, v75, v76
	ds_store_b32 v5, v75 offset:12
.LBB99_316:
	s_or_b32 exec_lo, exec_lo, s2
	ds_load_b32 v75, v5 offset:8
	v_cmp_lt_u32_e64 s2, 2, v108
	s_wait_dscnt 0x0
	ds_store_b32 v110, v75
	s_wait_dscnt 0x0
	s_barrier_signal -1
	s_barrier_wait -1
	s_and_saveexec_b32 s0, s2
	s_cbranch_execz .LBB99_326
; %bb.317:
	s_and_not1_b32 vcc_lo, exec_lo, s3
	s_cbranch_vccnz .LBB99_319
; %bb.318:
	ds_load_b32 v75, v111
	ds_load_b32 v76, v110
	s_wait_dscnt 0x0
	v_mul_f32_e32 v75, v75, v76
	s_cbranch_execz .LBB99_320
	s_branch .LBB99_321
.LBB99_319:
                                        ; implicit-def: $vgpr75
.LBB99_320:
	ds_load_b32 v75, v110
.LBB99_321:
	s_and_saveexec_b32 s4, s1
	s_cbranch_execz .LBB99_325
; %bb.322:
	s_movk_i32 s1, 0x90
	v_add_nc_u32_e32 v77, -3, v108
	v_mad_u32 v76, v74, s1, 0x12c
	s_movk_i32 s5, 0x9c
	s_mov_b32 s1, 0
.LBB99_323:                             ; =>This Inner Loop Header: Depth=1
	s_delay_alu instid0(VALU_DEP_2)
	v_dual_mov_b32 v78, s5 :: v_dual_add_nc_u32 v77, -1, v77
	s_add_co_i32 s5, s5, 4
	ds_load_b32 v79, v76
	ds_load_b32 v78, v78
	v_add_nc_u32_e32 v76, 4, v76
	v_cmp_eq_u32_e32 vcc_lo, 0, v77
	s_or_b32 s1, vcc_lo, s1
	s_wait_dscnt 0x0
	v_fmac_f32_e32 v75, v79, v78
	s_and_not1_b32 exec_lo, exec_lo, s1
	s_cbranch_execnz .LBB99_323
; %bb.324:
	s_or_b32 exec_lo, exec_lo, s1
.LBB99_325:
	s_delay_alu instid0(SALU_CYCLE_1)
	s_or_b32 exec_lo, exec_lo, s4
	v_mov_b32_e32 v76, 0
	ds_load_b32 v76, v76 offset:8
	s_wait_dscnt 0x0
	v_mul_f32_e32 v75, v75, v76
	ds_store_b32 v5, v75 offset:8
.LBB99_326:
	s_or_b32 exec_lo, exec_lo, s0
	ds_load_b32 v75, v5 offset:4
	v_cmp_lt_u32_e64 s0, 1, v108
	s_wait_dscnt 0x0
	ds_store_b32 v110, v75
	s_wait_dscnt 0x0
	s_barrier_signal -1
	s_barrier_wait -1
	s_and_saveexec_b32 s1, s0
	s_cbranch_execz .LBB99_336
; %bb.327:
	s_and_not1_b32 vcc_lo, exec_lo, s3
	s_cbranch_vccnz .LBB99_329
; %bb.328:
	ds_load_b32 v75, v111
	ds_load_b32 v76, v110
	s_wait_dscnt 0x0
	v_mul_f32_e32 v75, v75, v76
	s_cbranch_execz .LBB99_330
	s_branch .LBB99_331
.LBB99_329:
                                        ; implicit-def: $vgpr75
.LBB99_330:
	ds_load_b32 v75, v110
.LBB99_331:
	s_and_saveexec_b32 s4, s2
	s_cbranch_execz .LBB99_335
; %bb.332:
	s_movk_i32 s2, 0x90
	v_add_nc_u32_e32 v77, -2, v108
	v_mad_u32 v76, v74, s2, 0x128
	s_movk_i32 s5, 0x98
	s_mov_b32 s2, 0
.LBB99_333:                             ; =>This Inner Loop Header: Depth=1
	s_delay_alu instid0(VALU_DEP_2)
	v_dual_mov_b32 v78, s5 :: v_dual_add_nc_u32 v77, -1, v77
	s_add_co_i32 s5, s5, 4
	ds_load_b32 v79, v76
	ds_load_b32 v78, v78
	v_add_nc_u32_e32 v76, 4, v76
	v_cmp_eq_u32_e32 vcc_lo, 0, v77
	s_or_b32 s2, vcc_lo, s2
	s_wait_dscnt 0x0
	v_fmac_f32_e32 v75, v79, v78
	s_and_not1_b32 exec_lo, exec_lo, s2
	s_cbranch_execnz .LBB99_333
; %bb.334:
	s_or_b32 exec_lo, exec_lo, s2
.LBB99_335:
	s_delay_alu instid0(SALU_CYCLE_1)
	s_or_b32 exec_lo, exec_lo, s4
	v_mov_b32_e32 v76, 0
	ds_load_b32 v76, v76 offset:4
	s_wait_dscnt 0x0
	v_mul_f32_e32 v75, v75, v76
	ds_store_b32 v5, v75 offset:4
.LBB99_336:
	s_or_b32 exec_lo, exec_lo, s1
	ds_load_b32 v75, v5
	s_mov_b32 s1, 0
	s_mov_b32 s2, exec_lo
	s_wait_dscnt 0x0
	ds_store_b32 v110, v75
	s_wait_dscnt 0x0
	s_barrier_signal -1
	s_barrier_wait -1
	v_cmpx_ne_u32_e32 0, v108
	s_cbranch_execz .LBB99_346
; %bb.337:
	s_and_not1_b32 vcc_lo, exec_lo, s3
	s_cbranch_vccnz .LBB99_339
; %bb.338:
	ds_load_b32 v75, v111
	ds_load_b32 v76, v110
	s_wait_dscnt 0x0
	v_mul_f32_e32 v75, v75, v76
	s_cbranch_execz .LBB99_340
	s_branch .LBB99_341
.LBB99_339:
                                        ; implicit-def: $vgpr75
.LBB99_340:
	ds_load_b32 v75, v110
.LBB99_341:
	s_and_saveexec_b32 s4, s0
	s_cbranch_execz .LBB99_345
; %bb.342:
	s_movk_i32 s0, 0x90
	v_add_nc_u32_e32 v76, -1, v108
	v_mad_u32 v74, v74, s0, 0x124
	s_movk_i32 s5, 0x94
	s_mov_b32 s0, 0
.LBB99_343:                             ; =>This Inner Loop Header: Depth=1
	s_delay_alu instid0(VALU_DEP_2)
	v_dual_mov_b32 v77, s5 :: v_dual_add_nc_u32 v76, -1, v76
	s_add_co_i32 s5, s5, 4
	ds_load_b32 v78, v74
	ds_load_b32 v77, v77
	v_add_nc_u32_e32 v74, 4, v74
	v_cmp_eq_u32_e32 vcc_lo, 0, v76
	s_or_b32 s0, vcc_lo, s0
	s_wait_dscnt 0x0
	v_fmac_f32_e32 v75, v78, v77
	s_and_not1_b32 exec_lo, exec_lo, s0
	s_cbranch_execnz .LBB99_343
; %bb.344:
	s_or_b32 exec_lo, exec_lo, s0
.LBB99_345:
	s_delay_alu instid0(SALU_CYCLE_1)
	s_or_b32 exec_lo, exec_lo, s4
	v_mov_b32_e32 v74, 0
	ds_load_b32 v74, v74
	s_wait_dscnt 0x0
	v_mul_f32_e32 v74, v75, v74
	ds_store_b32 v5, v74
.LBB99_346:
	s_or_b32 exec_lo, exec_lo, s2
.LBB99_347:
	v_lshl_add_u64 v[106:107], v[6:7], 2, s[6:7]
	v_lshl_add_u64 v[104:105], v[8:9], 2, s[6:7]
	;; [unrolled: 1-line block ×34, first 2 shown]
	s_and_b32 vcc_lo, exec_lo, s1
	s_cbranch_vccz .LBB99_689
; %bb.348:
	ds_load_b32 v40, v5 offset:4
	v_cmp_eq_u32_e64 s0, 0, v108
	s_wait_dscnt 0x0
	ds_store_b32 v110, v40
	s_wait_dscnt 0x0
	s_barrier_signal -1
	s_barrier_wait -1
	s_and_saveexec_b32 s1, s0
	s_cbranch_execz .LBB99_354
; %bb.349:
	s_and_b32 vcc_lo, exec_lo, s3
	s_cbranch_vccz .LBB99_351
; %bb.350:
	ds_load_b32 v40, v111
	ds_load_b32 v41, v110
	s_wait_dscnt 0x0
	v_mul_f32_e32 v40, v40, v41
	s_cbranch_execz .LBB99_352
	s_branch .LBB99_353
.LBB99_351:
                                        ; implicit-def: $vgpr40
.LBB99_352:
	ds_load_b32 v40, v110
.LBB99_353:
	v_mov_b32_e32 v41, 0
	ds_load_b32 v41, v41 offset:4
	s_wait_dscnt 0x0
	v_mul_f32_e32 v40, v40, v41
	ds_store_b32 v5, v40 offset:4
.LBB99_354:
	s_or_b32 exec_lo, exec_lo, s1
	ds_load_b32 v41, v5 offset:8
	v_cndmask_b32_e64 v40, 0, 1, s3
	s_mov_b32 s1, exec_lo
	s_wait_dscnt 0x0
	ds_store_b32 v110, v41
	s_wait_dscnt 0x0
	s_barrier_signal -1
	s_barrier_wait -1
	v_cmpx_gt_u32_e32 2, v108
	s_cbranch_execz .LBB99_360
; %bb.355:
	s_and_not1_b32 vcc_lo, exec_lo, s3
	s_cbranch_vccnz .LBB99_357
; %bb.356:
	ds_load_b32 v41, v111
	ds_load_b32 v42, v110
	s_wait_dscnt 0x0
	v_mul_f32_e32 v41, v41, v42
	s_cbranch_execz .LBB99_358
	s_branch .LBB99_359
.LBB99_357:
                                        ; implicit-def: $vgpr41
.LBB99_358:
	ds_load_b32 v41, v110
.LBB99_359:
	v_mov_b32_e32 v42, 0
	ds_load_b32 v44, v5 offset:4
	ds_load_2addr_b32 v[42:43], v42 offset0:2 offset1:37
	s_wait_dscnt 0x0
	v_fma_f32 v43, v44, v43, v41
	s_delay_alu instid0(VALU_DEP_1) | instskip(NEXT) | instid1(VALU_DEP_1)
	v_cndmask_b32_e64 v41, v41, v43, s0
	v_mul_f32_e32 v41, v41, v42
	ds_store_b32 v5, v41 offset:8
.LBB99_360:
	s_or_b32 exec_lo, exec_lo, s1
	ds_load_b32 v41, v5 offset:12
	s_mov_b32 s1, exec_lo
	s_wait_dscnt 0x0
	ds_store_b32 v110, v41
	s_wait_dscnt 0x0
	s_barrier_signal -1
	s_barrier_wait -1
	v_cmpx_gt_u32_e32 3, v108
	s_cbranch_execz .LBB99_368
; %bb.361:
	v_cmp_ne_u32_e32 vcc_lo, 1, v40
	s_cbranch_vccnz .LBB99_363
; %bb.362:
	ds_load_b32 v41, v111
	ds_load_b32 v42, v110
	s_wait_dscnt 0x0
	v_mul_f32_e32 v41, v41, v42
	s_cbranch_execz .LBB99_364
	s_branch .LBB99_365
.LBB99_363:
                                        ; implicit-def: $vgpr41
.LBB99_364:
	ds_load_b32 v41, v110
.LBB99_365:
	s_mov_b32 s2, exec_lo
	v_cmpx_ne_u32_e32 2, v108
	s_cbranch_execz .LBB99_367
; %bb.366:
	ds_load_b32 v42, v111 offset:4
	ds_load_b32 v43, v110 offset:4
	s_wait_dscnt 0x0
	v_dual_mov_b32 v44, 0 :: v_dual_fmac_f32 v41, v42, v43
	ds_load_b32 v45, v5 offset:8
	ds_load_b32 v44, v44 offset:152
	s_wait_dscnt 0x0
	v_fma_f32 v42, v45, v44, v41
	s_delay_alu instid0(VALU_DEP_1)
	v_cndmask_b32_e64 v41, v41, v42, s0
.LBB99_367:
	s_or_b32 exec_lo, exec_lo, s2
	v_mov_b32_e32 v42, 0
	ds_load_b32 v42, v42 offset:12
	s_wait_dscnt 0x0
	v_mul_f32_e32 v41, v41, v42
	ds_store_b32 v5, v41 offset:12
.LBB99_368:
	s_or_b32 exec_lo, exec_lo, s1
	ds_load_b32 v41, v5 offset:16
	s_mov_b32 s0, exec_lo
	s_wait_dscnt 0x0
	ds_store_b32 v110, v41
	s_wait_dscnt 0x0
	s_barrier_signal -1
	s_barrier_wait -1
	v_cmpx_gt_u32_e32 4, v108
	s_cbranch_execz .LBB99_378
; %bb.369:
	v_cmp_ne_u32_e32 vcc_lo, 1, v40
	s_cbranch_vccnz .LBB99_371
; %bb.370:
	ds_load_b32 v41, v111
	ds_load_b32 v42, v110
	s_wait_dscnt 0x0
	v_mul_f32_e32 v41, v41, v42
	s_cbranch_execz .LBB99_372
	s_branch .LBB99_373
.LBB99_371:
                                        ; implicit-def: $vgpr41
.LBB99_372:
	ds_load_b32 v41, v110
.LBB99_373:
	s_mov_b32 s1, exec_lo
	v_cmpx_ne_u32_e32 3, v108
	s_cbranch_execz .LBB99_377
; %bb.374:
	v_add_nc_u32_e32 v42, 0x94, v4
	v_add3_u32 v43, v109, v4, 0x124
	v_mov_b32_e32 v44, v108
	s_mov_b32 s2, 0
.LBB99_375:                             ; =>This Inner Loop Header: Depth=1
	ds_load_b32 v45, v43
	ds_load_b32 v46, v42
	v_dual_add_nc_u32 v44, 1, v44 :: v_dual_add_nc_u32 v42, 4, v42
	v_add_nc_u32_e32 v43, 4, v43
	s_delay_alu instid0(VALU_DEP_2)
	v_cmp_lt_u32_e32 vcc_lo, 2, v44
	s_or_b32 s2, vcc_lo, s2
	s_wait_dscnt 0x0
	v_fmac_f32_e32 v41, v45, v46
	s_and_not1_b32 exec_lo, exec_lo, s2
	s_cbranch_execnz .LBB99_375
; %bb.376:
	s_or_b32 exec_lo, exec_lo, s2
.LBB99_377:
	s_delay_alu instid0(SALU_CYCLE_1)
	s_or_b32 exec_lo, exec_lo, s1
	v_mov_b32_e32 v42, 0
	ds_load_b32 v42, v42 offset:16
	s_wait_dscnt 0x0
	v_mul_f32_e32 v41, v41, v42
	ds_store_b32 v5, v41 offset:16
.LBB99_378:
	s_or_b32 exec_lo, exec_lo, s0
	ds_load_b32 v41, v5 offset:20
	s_mov_b32 s0, exec_lo
	s_wait_dscnt 0x0
	ds_store_b32 v110, v41
	s_wait_dscnt 0x0
	s_barrier_signal -1
	s_barrier_wait -1
	v_cmpx_gt_u32_e32 5, v108
	s_cbranch_execz .LBB99_388
; %bb.379:
	v_cmp_ne_u32_e32 vcc_lo, 1, v40
	s_cbranch_vccnz .LBB99_381
; %bb.380:
	ds_load_b32 v41, v111
	ds_load_b32 v42, v110
	s_wait_dscnt 0x0
	v_mul_f32_e32 v41, v41, v42
	s_cbranch_execz .LBB99_382
	s_branch .LBB99_383
.LBB99_381:
                                        ; implicit-def: $vgpr41
.LBB99_382:
	ds_load_b32 v41, v110
.LBB99_383:
	s_mov_b32 s1, exec_lo
	v_cmpx_ne_u32_e32 4, v108
	s_cbranch_execz .LBB99_387
; %bb.384:
	v_add_nc_u32_e32 v42, 0x94, v4
	v_add3_u32 v43, v109, v4, 0x124
	v_mov_b32_e32 v44, v108
	s_mov_b32 s2, 0
.LBB99_385:                             ; =>This Inner Loop Header: Depth=1
	ds_load_b32 v45, v43
	ds_load_b32 v46, v42
	v_dual_add_nc_u32 v44, 1, v44 :: v_dual_add_nc_u32 v42, 4, v42
	v_add_nc_u32_e32 v43, 4, v43
	s_delay_alu instid0(VALU_DEP_2)
	v_cmp_lt_u32_e32 vcc_lo, 3, v44
	s_or_b32 s2, vcc_lo, s2
	s_wait_dscnt 0x0
	v_fmac_f32_e32 v41, v45, v46
	s_and_not1_b32 exec_lo, exec_lo, s2
	s_cbranch_execnz .LBB99_385
; %bb.386:
	s_or_b32 exec_lo, exec_lo, s2
.LBB99_387:
	s_delay_alu instid0(SALU_CYCLE_1)
	s_or_b32 exec_lo, exec_lo, s1
	v_mov_b32_e32 v42, 0
	ds_load_b32 v42, v42 offset:20
	s_wait_dscnt 0x0
	v_mul_f32_e32 v41, v41, v42
	ds_store_b32 v5, v41 offset:20
.LBB99_388:
	;; [unrolled: 56-line block ×30, first 2 shown]
	s_or_b32 exec_lo, exec_lo, s0
	ds_load_b32 v41, v5 offset:136
	v_cmp_gt_u32_e64 s0, 34, v108
	s_wait_dscnt 0x0
	ds_store_b32 v110, v41
	s_wait_dscnt 0x0
	s_barrier_signal -1
	s_barrier_wait -1
	s_and_saveexec_b32 s1, s0
	s_cbranch_execz .LBB99_678
; %bb.669:
	v_cmp_ne_u32_e32 vcc_lo, 1, v40
	s_cbranch_vccnz .LBB99_671
; %bb.670:
	ds_load_b32 v41, v111
	ds_load_b32 v42, v110
	s_wait_dscnt 0x0
	v_mul_f32_e32 v41, v41, v42
	s_cbranch_execz .LBB99_672
	s_branch .LBB99_673
.LBB99_671:
                                        ; implicit-def: $vgpr41
.LBB99_672:
	ds_load_b32 v41, v110
.LBB99_673:
	s_mov_b32 s2, exec_lo
	v_cmpx_ne_u32_e32 33, v108
	s_cbranch_execz .LBB99_677
; %bb.674:
	v_add_nc_u32_e32 v42, 0x94, v4
	v_add3_u32 v43, v109, v4, 0x124
	v_mov_b32_e32 v44, v108
	s_mov_b32 s3, 0
.LBB99_675:                             ; =>This Inner Loop Header: Depth=1
	ds_load_b32 v45, v43
	ds_load_b32 v46, v42
	v_dual_add_nc_u32 v44, 1, v44 :: v_dual_add_nc_u32 v42, 4, v42
	v_add_nc_u32_e32 v43, 4, v43
	s_delay_alu instid0(VALU_DEP_2)
	v_cmp_lt_u32_e32 vcc_lo, 32, v44
	s_or_b32 s3, vcc_lo, s3
	s_wait_dscnt 0x0
	v_fmac_f32_e32 v41, v45, v46
	s_and_not1_b32 exec_lo, exec_lo, s3
	s_cbranch_execnz .LBB99_675
; %bb.676:
	s_or_b32 exec_lo, exec_lo, s3
.LBB99_677:
	s_delay_alu instid0(SALU_CYCLE_1)
	s_or_b32 exec_lo, exec_lo, s2
	v_mov_b32_e32 v42, 0
	ds_load_b32 v42, v42 offset:136
	s_wait_dscnt 0x0
	v_mul_f32_e32 v41, v41, v42
	ds_store_b32 v5, v41 offset:136
.LBB99_678:
	s_or_b32 exec_lo, exec_lo, s1
	ds_load_b32 v41, v5 offset:140
	s_mov_b32 s1, exec_lo
	s_wait_dscnt 0x0
	ds_store_b32 v110, v41
	s_wait_dscnt 0x0
	s_barrier_signal -1
	s_barrier_wait -1
	v_cmpx_ne_u32_e32 35, v108
	s_cbranch_execz .LBB99_688
; %bb.679:
	v_cmp_ne_u32_e32 vcc_lo, 1, v40
	s_cbranch_vccnz .LBB99_681
; %bb.680:
	ds_load_b32 v40, v111
	ds_load_b32 v41, v110
	s_wait_dscnt 0x0
	v_mul_f32_e32 v40, v40, v41
	s_cbranch_execz .LBB99_682
	s_branch .LBB99_683
.LBB99_681:
                                        ; implicit-def: $vgpr40
.LBB99_682:
	ds_load_b32 v40, v110
.LBB99_683:
	s_and_saveexec_b32 s2, s0
	s_cbranch_execz .LBB99_687
; %bb.684:
	v_add_nc_u32_e32 v41, 0x94, v4
	v_add3_u32 v4, v109, v4, 0x124
	s_mov_b32 s0, 0
.LBB99_685:                             ; =>This Inner Loop Header: Depth=1
	ds_load_b32 v42, v4
	ds_load_b32 v43, v41
	v_dual_add_nc_u32 v108, 1, v108 :: v_dual_add_nc_u32 v41, 4, v41
	v_add_nc_u32_e32 v4, 4, v4
	s_delay_alu instid0(VALU_DEP_2)
	v_cmp_lt_u32_e32 vcc_lo, 33, v108
	s_or_b32 s0, vcc_lo, s0
	s_wait_dscnt 0x0
	v_fmac_f32_e32 v40, v42, v43
	s_and_not1_b32 exec_lo, exec_lo, s0
	s_cbranch_execnz .LBB99_685
; %bb.686:
	s_or_b32 exec_lo, exec_lo, s0
.LBB99_687:
	s_delay_alu instid0(SALU_CYCLE_1)
	s_or_b32 exec_lo, exec_lo, s2
	v_mov_b32_e32 v4, 0
	ds_load_b32 v4, v4 offset:140
	s_wait_dscnt 0x0
	v_mul_f32_e32 v4, v40, v4
	ds_store_b32 v5, v4 offset:140
.LBB99_688:
	s_or_b32 exec_lo, exec_lo, s1
.LBB99_689:
	ds_load_b32 v4, v5
	s_wait_dscnt 0x0
	flat_store_b32 v[0:1], v4
	s_wait_xcnt 0x0
	ds_load_b32 v0, v5 offset:4
	s_wait_dscnt 0x0
	flat_store_b32 v[2:3], v0
	s_wait_xcnt 0x0
	ds_load_b32 v0, v5 offset:8
	;; [unrolled: 4-line block ×35, first 2 shown]
	s_wait_dscnt 0x0
	flat_store_b32 v[6:7], v0
.LBB99_690:
	s_sendmsg sendmsg(MSG_DEALLOC_VGPRS)
	s_endpgm
	.section	.rodata,"a",@progbits
	.p2align	6, 0x0
	.amdhsa_kernel _ZN9rocsolver6v33100L18trti2_kernel_smallILi36EfPKPfEEv13rocblas_fill_17rocblas_diagonal_T1_iil
		.amdhsa_group_segment_fixed_size 9504
		.amdhsa_private_segment_fixed_size 0
		.amdhsa_kernarg_size 32
		.amdhsa_user_sgpr_count 4
		.amdhsa_user_sgpr_dispatch_ptr 1
		.amdhsa_user_sgpr_queue_ptr 0
		.amdhsa_user_sgpr_kernarg_segment_ptr 1
		.amdhsa_user_sgpr_dispatch_id 0
		.amdhsa_user_sgpr_kernarg_preload_length 0
		.amdhsa_user_sgpr_kernarg_preload_offset 0
		.amdhsa_user_sgpr_private_segment_size 0
		.amdhsa_wavefront_size32 1
		.amdhsa_uses_dynamic_stack 0
		.amdhsa_enable_private_segment 0
		.amdhsa_system_sgpr_workgroup_id_x 1
		.amdhsa_system_sgpr_workgroup_id_y 0
		.amdhsa_system_sgpr_workgroup_id_z 0
		.amdhsa_system_sgpr_workgroup_info 0
		.amdhsa_system_vgpr_workitem_id 2
		.amdhsa_next_free_vgpr 112
		.amdhsa_next_free_sgpr 12
		.amdhsa_named_barrier_count 0
		.amdhsa_reserve_vcc 1
		.amdhsa_float_round_mode_32 0
		.amdhsa_float_round_mode_16_64 0
		.amdhsa_float_denorm_mode_32 3
		.amdhsa_float_denorm_mode_16_64 3
		.amdhsa_fp16_overflow 0
		.amdhsa_memory_ordered 1
		.amdhsa_forward_progress 1
		.amdhsa_inst_pref_size 150
		.amdhsa_round_robin_scheduling 0
		.amdhsa_exception_fp_ieee_invalid_op 0
		.amdhsa_exception_fp_denorm_src 0
		.amdhsa_exception_fp_ieee_div_zero 0
		.amdhsa_exception_fp_ieee_overflow 0
		.amdhsa_exception_fp_ieee_underflow 0
		.amdhsa_exception_fp_ieee_inexact 0
		.amdhsa_exception_int_div_zero 0
	.end_amdhsa_kernel
	.section	.text._ZN9rocsolver6v33100L18trti2_kernel_smallILi36EfPKPfEEv13rocblas_fill_17rocblas_diagonal_T1_iil,"axG",@progbits,_ZN9rocsolver6v33100L18trti2_kernel_smallILi36EfPKPfEEv13rocblas_fill_17rocblas_diagonal_T1_iil,comdat
.Lfunc_end99:
	.size	_ZN9rocsolver6v33100L18trti2_kernel_smallILi36EfPKPfEEv13rocblas_fill_17rocblas_diagonal_T1_iil, .Lfunc_end99-_ZN9rocsolver6v33100L18trti2_kernel_smallILi36EfPKPfEEv13rocblas_fill_17rocblas_diagonal_T1_iil
                                        ; -- End function
	.set _ZN9rocsolver6v33100L18trti2_kernel_smallILi36EfPKPfEEv13rocblas_fill_17rocblas_diagonal_T1_iil.num_vgpr, 112
	.set _ZN9rocsolver6v33100L18trti2_kernel_smallILi36EfPKPfEEv13rocblas_fill_17rocblas_diagonal_T1_iil.num_agpr, 0
	.set _ZN9rocsolver6v33100L18trti2_kernel_smallILi36EfPKPfEEv13rocblas_fill_17rocblas_diagonal_T1_iil.numbered_sgpr, 12
	.set _ZN9rocsolver6v33100L18trti2_kernel_smallILi36EfPKPfEEv13rocblas_fill_17rocblas_diagonal_T1_iil.num_named_barrier, 0
	.set _ZN9rocsolver6v33100L18trti2_kernel_smallILi36EfPKPfEEv13rocblas_fill_17rocblas_diagonal_T1_iil.private_seg_size, 0
	.set _ZN9rocsolver6v33100L18trti2_kernel_smallILi36EfPKPfEEv13rocblas_fill_17rocblas_diagonal_T1_iil.uses_vcc, 1
	.set _ZN9rocsolver6v33100L18trti2_kernel_smallILi36EfPKPfEEv13rocblas_fill_17rocblas_diagonal_T1_iil.uses_flat_scratch, 0
	.set _ZN9rocsolver6v33100L18trti2_kernel_smallILi36EfPKPfEEv13rocblas_fill_17rocblas_diagonal_T1_iil.has_dyn_sized_stack, 0
	.set _ZN9rocsolver6v33100L18trti2_kernel_smallILi36EfPKPfEEv13rocblas_fill_17rocblas_diagonal_T1_iil.has_recursion, 0
	.set _ZN9rocsolver6v33100L18trti2_kernel_smallILi36EfPKPfEEv13rocblas_fill_17rocblas_diagonal_T1_iil.has_indirect_call, 0
	.section	.AMDGPU.csdata,"",@progbits
; Kernel info:
; codeLenInByte = 19148
; TotalNumSgprs: 14
; NumVgprs: 112
; ScratchSize: 0
; MemoryBound: 0
; FloatMode: 240
; IeeeMode: 1
; LDSByteSize: 9504 bytes/workgroup (compile time only)
; SGPRBlocks: 0
; VGPRBlocks: 6
; NumSGPRsForWavesPerEU: 14
; NumVGPRsForWavesPerEU: 112
; NamedBarCnt: 0
; Occupancy: 9
; WaveLimiterHint : 1
; COMPUTE_PGM_RSRC2:SCRATCH_EN: 0
; COMPUTE_PGM_RSRC2:USER_SGPR: 4
; COMPUTE_PGM_RSRC2:TRAP_HANDLER: 0
; COMPUTE_PGM_RSRC2:TGID_X_EN: 1
; COMPUTE_PGM_RSRC2:TGID_Y_EN: 0
; COMPUTE_PGM_RSRC2:TGID_Z_EN: 0
; COMPUTE_PGM_RSRC2:TIDIG_COMP_CNT: 2
	.section	.text._ZN9rocsolver6v33100L18trti2_kernel_smallILi37EfPKPfEEv13rocblas_fill_17rocblas_diagonal_T1_iil,"axG",@progbits,_ZN9rocsolver6v33100L18trti2_kernel_smallILi37EfPKPfEEv13rocblas_fill_17rocblas_diagonal_T1_iil,comdat
	.globl	_ZN9rocsolver6v33100L18trti2_kernel_smallILi37EfPKPfEEv13rocblas_fill_17rocblas_diagonal_T1_iil ; -- Begin function _ZN9rocsolver6v33100L18trti2_kernel_smallILi37EfPKPfEEv13rocblas_fill_17rocblas_diagonal_T1_iil
	.p2align	8
	.type	_ZN9rocsolver6v33100L18trti2_kernel_smallILi37EfPKPfEEv13rocblas_fill_17rocblas_diagonal_T1_iil,@function
_ZN9rocsolver6v33100L18trti2_kernel_smallILi37EfPKPfEEv13rocblas_fill_17rocblas_diagonal_T1_iil: ; @_ZN9rocsolver6v33100L18trti2_kernel_smallILi37EfPKPfEEv13rocblas_fill_17rocblas_diagonal_T1_iil
; %bb.0:
	v_and_b32_e32 v110, 0x3ff, v0
	s_mov_b32 s4, exec_lo
	s_delay_alu instid0(VALU_DEP_1)
	v_cmpx_gt_u32_e32 37, v110
	s_cbranch_execz .LBB100_710
; %bb.1:
	s_load_b64 s[10:11], s[0:1], 0x4
	s_clause 0x1
	s_load_b64 s[8:9], s[2:3], 0x10
	s_load_b128 s[4:7], s[2:3], 0x0
	s_wait_xcnt 0x0
	s_bfe_u32 s0, ttmp6, 0x4000c
	s_and_b32 s2, ttmp6, 15
	s_add_co_i32 s0, s0, 1
	s_getreg_b32 s3, hwreg(HW_REG_IB_STS2, 6, 4)
	s_mul_i32 s0, ttmp9, s0
	v_bfe_u32 v1, v0, 10, 10
	s_add_co_i32 s2, s2, s0
	v_bfe_u32 v0, v0, 20, 10
	v_dual_mov_b32 v5, 0 :: v_dual_lshlrev_b32 v4, 2, v110
	v_mov_b32_e32 v77, -1.0
	s_wait_kmcnt 0x0
	s_lshr_b32 s10, s10, 16
	s_ashr_i32 s1, s8, 31
	s_cmp_eq_u32 s3, 0
	s_mov_b32 s0, s8
	s_cselect_b32 s2, ttmp9, s2
	s_lshl_b64 s[0:1], s[0:1], 2
	s_ashr_i32 s3, s2, 31
	s_mul_i32 s10, s10, s11
	s_lshl_b64 s[2:3], s[2:3], 3
	v_mul_u32_u24_e32 v2, s10, v110
	s_add_nc_u64 s[2:3], s[6:7], s[2:3]
	v_mul_u32_u24_e32 v1, s11, v1
	s_load_b64 s[2:3], s[2:3], 0x0
	s_delay_alu instid0(VALU_DEP_1) | instskip(NEXT) | instid1(VALU_DEP_1)
	v_add3_u32 v76, v2, v1, v0
	v_mul_lo_u32 v111, 0x94, v76
	s_wait_kmcnt 0x0
	s_add_nc_u64 s[2:3], s[2:3], s[0:1]
	s_ashr_i32 s1, s9, 31
	flat_load_b32 v6, v110, s[2:3] scale_offset
	v_add_nc_u64_e32 v[0:1], s[2:3], v[4:5]
	s_mov_b32 s0, s9
	s_cmp_lg_u32 s5, 0x84
	s_cselect_b32 s6, -1, 0
	s_cmp_eq_u32 s5, 0x84
	s_delay_alu instid0(VALU_DEP_1) | instskip(SKIP_4) | instid1(VALU_DEP_1)
	v_lshl_add_u64 v[2:3], s[0:1], 2, v[0:1]
	s_wait_loadcnt_dscnt 0x0
	ds_store_b32 v111, v6 offset:320
	flat_load_b32 v5, v[2:3]
	v_add3_u32 v6, s9, s9, v110
	v_dual_add_nc_u32 v8, s9, v6 :: v_dual_ashrrev_i32 v7, 31, v6
	s_delay_alu instid0(VALU_DEP_1) | instskip(NEXT) | instid1(VALU_DEP_1)
	v_add_nc_u32_e32 v10, s9, v8
	v_add_nc_u32_e32 v12, s9, v10
	s_delay_alu instid0(VALU_DEP_1) | instskip(NEXT) | instid1(VALU_DEP_1)
	v_add_nc_u32_e32 v14, s9, v12
	v_dual_ashrrev_i32 v9, 31, v8 :: v_dual_add_nc_u32 v16, s9, v14
	s_delay_alu instid0(VALU_DEP_1) | instskip(SKIP_1) | instid1(VALU_DEP_1)
	v_dual_ashrrev_i32 v15, 31, v14 :: v_dual_ashrrev_i32 v17, 31, v16
	v_dual_add_nc_u32 v18, s9, v16 :: v_dual_ashrrev_i32 v11, 31, v10
	v_dual_ashrrev_i32 v13, 31, v12 :: v_dual_add_nc_u32 v20, s9, v18
	s_delay_alu instid0(VALU_DEP_1) | instskip(NEXT) | instid1(VALU_DEP_1)
	v_add_nc_u32_e32 v22, s9, v20
	v_add_nc_u32_e32 v24, s9, v22
	s_delay_alu instid0(VALU_DEP_1) | instskip(NEXT) | instid1(VALU_DEP_1)
	v_dual_add_nc_u32 v26, s9, v24 :: v_dual_ashrrev_i32 v19, 31, v18
	v_dual_ashrrev_i32 v21, 31, v20 :: v_dual_add_nc_u32 v28, s9, v26
	s_delay_alu instid0(VALU_DEP_1) | instskip(SKIP_1) | instid1(VALU_DEP_1)
	v_dual_ashrrev_i32 v27, 31, v26 :: v_dual_ashrrev_i32 v29, 31, v28
	v_dual_add_nc_u32 v30, s9, v28 :: v_dual_ashrrev_i32 v23, 31, v22
	v_dual_ashrrev_i32 v25, 31, v24 :: v_dual_add_nc_u32 v32, s9, v30
	s_delay_alu instid0(VALU_DEP_1) | instskip(NEXT) | instid1(VALU_DEP_1)
	v_add_nc_u32_e32 v34, s9, v32
	v_add_nc_u32_e32 v36, s9, v34
	s_delay_alu instid0(VALU_DEP_1) | instskip(NEXT) | instid1(VALU_DEP_1)
	v_dual_add_nc_u32 v38, s9, v36 :: v_dual_ashrrev_i32 v31, 31, v30
	;; [unrolled: 10-line block ×4, first 2 shown]
	v_dual_ashrrev_i32 v57, 31, v56 :: v_dual_add_nc_u32 v64, s9, v62
	s_delay_alu instid0(VALU_DEP_1) | instskip(SKIP_1) | instid1(VALU_DEP_1)
	v_dual_ashrrev_i32 v63, 31, v62 :: v_dual_ashrrev_i32 v65, 31, v64
	v_dual_add_nc_u32 v66, s9, v64 :: v_dual_ashrrev_i32 v59, 31, v58
	v_dual_ashrrev_i32 v61, 31, v60 :: v_dual_add_nc_u32 v68, s9, v66
	s_delay_alu instid0(VALU_DEP_1) | instskip(NEXT) | instid1(VALU_DEP_1)
	v_add_nc_u32_e32 v70, s9, v68
	v_dual_add_nc_u32 v72, s9, v70 :: v_dual_ashrrev_i32 v71, 31, v70
	s_delay_alu instid0(VALU_DEP_1) | instskip(SKIP_1) | instid1(VALU_DEP_2)
	v_dual_ashrrev_i32 v73, 31, v72 :: v_dual_add_nc_u32 v74, s9, v72
	v_dual_ashrrev_i32 v67, 31, v66 :: v_dual_ashrrev_i32 v69, 31, v68
	v_ashrrev_i32_e32 v75, 31, v74
	s_wait_loadcnt_dscnt 0x0
	ds_store_b32 v111, v5 offset:324
	flat_load_b32 v5, v6, s[2:3] scale_offset
	s_wait_loadcnt_dscnt 0x0
	ds_store_b32 v111, v5 offset:328
	flat_load_b32 v5, v8, s[2:3] scale_offset
	;; [unrolled: 3-line block ×35, first 2 shown]
	v_add_nc_u32_e32 v5, 0x140, v111
	s_wait_loadcnt_dscnt 0x0
	ds_store_b32 v111, v78 offset:464
	s_cbranch_scc1 .LBB100_3
; %bb.2:
	v_lshl_add_u32 v78, v110, 2, v5
	ds_load_b32 v77, v78
	s_wait_dscnt 0x0
	v_div_scale_f32 v79, null, v77, v77, 1.0
	s_delay_alu instid0(VALU_DEP_1) | instskip(SKIP_1) | instid1(TRANS32_DEP_1)
	v_rcp_f32_e32 v80, v79
	v_nop
	v_fma_f32 v81, -v79, v80, 1.0
	s_delay_alu instid0(VALU_DEP_1) | instskip(SKIP_1) | instid1(VALU_DEP_1)
	v_fmac_f32_e32 v80, v81, v80
	v_div_scale_f32 v81, vcc_lo, 1.0, v77, 1.0
	v_mul_f32_e32 v82, v81, v80
	s_delay_alu instid0(VALU_DEP_1) | instskip(NEXT) | instid1(VALU_DEP_1)
	v_fma_f32 v83, -v79, v82, v81
	v_fmac_f32_e32 v82, v83, v80
	s_delay_alu instid0(VALU_DEP_1) | instskip(NEXT) | instid1(VALU_DEP_1)
	v_fma_f32 v79, -v79, v82, v81
	v_div_fmas_f32 v79, v79, v80, v82
	s_delay_alu instid0(VALU_DEP_1) | instskip(NEXT) | instid1(VALU_DEP_1)
	v_div_fixup_f32 v79, v79, v77, 1.0
	v_xor_b32_e32 v77, 0x80000000, v79
	ds_store_b32 v78, v79
.LBB100_3:
	v_add_nc_u32_e32 v112, 0xa0, v4
	v_add_nc_u32_e32 v113, v5, v4
	s_cmp_eq_u32 s4, 0x79
	s_mov_b32 s1, -1
	ds_store_b32 v4, v77
	s_cbranch_scc1 .LBB100_357
; %bb.4:
	ds_load_b32 v77, v5 offset:140
	v_cmp_eq_u32_e64 s0, 36, v110
	s_wait_dscnt 0x0
	ds_store_b32 v112, v77
	s_wait_dscnt 0x0
	s_barrier_signal -1
	s_barrier_wait -1
	s_and_saveexec_b32 s1, s0
	s_cbranch_execz .LBB100_10
; %bb.5:
	s_and_b32 vcc_lo, exec_lo, s6
	s_cbranch_vccz .LBB100_7
; %bb.6:
	ds_load_b32 v77, v113
	ds_load_b32 v78, v112
	s_wait_dscnt 0x0
	v_mul_f32_e32 v77, v77, v78
	s_cbranch_execz .LBB100_8
	s_branch .LBB100_9
.LBB100_7:
                                        ; implicit-def: $vgpr77
.LBB100_8:
	ds_load_b32 v77, v112
.LBB100_9:
	v_mov_b32_e32 v78, 0
	ds_load_b32 v78, v78 offset:140
	s_wait_dscnt 0x0
	v_mul_f32_e32 v77, v77, v78
	ds_store_b32 v5, v77 offset:140
.LBB100_10:
	s_or_b32 exec_lo, exec_lo, s1
	ds_load_b32 v77, v5 offset:136
	v_cmp_lt_u32_e64 s1, 34, v110
	s_wait_dscnt 0x0
	ds_store_b32 v112, v77
	s_wait_dscnt 0x0
	s_barrier_signal -1
	s_barrier_wait -1
	s_and_saveexec_b32 s4, s1
	s_cbranch_execz .LBB100_16
; %bb.11:
	s_and_not1_b32 vcc_lo, exec_lo, s6
	s_cbranch_vccnz .LBB100_13
; %bb.12:
	ds_load_b32 v77, v113
	ds_load_b32 v78, v112
	s_wait_dscnt 0x0
	v_mul_f32_e32 v77, v77, v78
	s_cbranch_execz .LBB100_14
	s_branch .LBB100_15
.LBB100_13:
                                        ; implicit-def: $vgpr77
.LBB100_14:
	ds_load_b32 v77, v112
.LBB100_15:
	v_mov_b32_e32 v78, 0
	ds_load_b32 v80, v5 offset:140
	ds_load_2addr_b32 v[78:79], v78 offset0:34 offset1:75
	s_wait_dscnt 0x0
	v_fma_f32 v79, v80, v79, v77
	s_delay_alu instid0(VALU_DEP_1) | instskip(NEXT) | instid1(VALU_DEP_1)
	v_cndmask_b32_e64 v77, v77, v79, s0
	v_mul_f32_e32 v77, v77, v78
	ds_store_b32 v5, v77 offset:136
.LBB100_16:
	s_or_b32 exec_lo, exec_lo, s4
	ds_load_b32 v77, v5 offset:132
	v_cmp_lt_u32_e64 s0, 33, v110
	s_wait_dscnt 0x0
	ds_store_b32 v112, v77
	s_wait_dscnt 0x0
	s_barrier_signal -1
	s_barrier_wait -1
	s_and_saveexec_b32 s4, s0
	s_cbranch_execz .LBB100_26
; %bb.17:
	s_and_not1_b32 vcc_lo, exec_lo, s6
	s_cbranch_vccnz .LBB100_19
; %bb.18:
	ds_load_b32 v77, v113
	ds_load_b32 v78, v112
	s_wait_dscnt 0x0
	v_mul_f32_e32 v77, v77, v78
	s_cbranch_execz .LBB100_20
	s_branch .LBB100_21
.LBB100_19:
                                        ; implicit-def: $vgpr77
.LBB100_20:
	ds_load_b32 v77, v112
.LBB100_21:
	s_and_saveexec_b32 s5, s1
	s_cbranch_execz .LBB100_25
; %bb.22:
	s_movk_i32 s1, 0x94
	v_subrev_nc_u32_e32 v79, 34, v110
	v_mad_u32 v78, v76, s1, 0x1c8
	s_movk_i32 s7, 0x128
	s_mov_b32 s1, 0
.LBB100_23:                             ; =>This Inner Loop Header: Depth=1
	s_delay_alu instid0(VALU_DEP_2)
	v_dual_mov_b32 v80, s7 :: v_dual_add_nc_u32 v79, -1, v79
	s_add_co_i32 s7, s7, 4
	ds_load_b32 v81, v78
	ds_load_b32 v80, v80
	v_add_nc_u32_e32 v78, 4, v78
	v_cmp_eq_u32_e32 vcc_lo, 0, v79
	s_or_b32 s1, vcc_lo, s1
	s_wait_dscnt 0x0
	v_fmac_f32_e32 v77, v81, v80
	s_and_not1_b32 exec_lo, exec_lo, s1
	s_cbranch_execnz .LBB100_23
; %bb.24:
	s_or_b32 exec_lo, exec_lo, s1
.LBB100_25:
	s_delay_alu instid0(SALU_CYCLE_1)
	s_or_b32 exec_lo, exec_lo, s5
	v_mov_b32_e32 v78, 0
	ds_load_b32 v78, v78 offset:132
	s_wait_dscnt 0x0
	v_mul_f32_e32 v77, v77, v78
	ds_store_b32 v5, v77 offset:132
.LBB100_26:
	s_or_b32 exec_lo, exec_lo, s4
	ds_load_b32 v77, v5 offset:128
	v_cmp_lt_u32_e64 s1, 32, v110
	s_wait_dscnt 0x0
	ds_store_b32 v112, v77
	s_wait_dscnt 0x0
	s_barrier_signal -1
	s_barrier_wait -1
	s_and_saveexec_b32 s4, s1
	s_cbranch_execz .LBB100_36
; %bb.27:
	s_and_not1_b32 vcc_lo, exec_lo, s6
	s_cbranch_vccnz .LBB100_29
; %bb.28:
	ds_load_b32 v77, v113
	ds_load_b32 v78, v112
	s_wait_dscnt 0x0
	v_mul_f32_e32 v77, v77, v78
	s_cbranch_execz .LBB100_30
	s_branch .LBB100_31
.LBB100_29:
                                        ; implicit-def: $vgpr77
.LBB100_30:
	ds_load_b32 v77, v112
.LBB100_31:
	s_and_saveexec_b32 s5, s0
	s_cbranch_execz .LBB100_35
; %bb.32:
	s_movk_i32 s0, 0x94
	v_subrev_nc_u32_e32 v79, 33, v110
	v_mad_u32 v78, v76, s0, 0x1c4
	s_movk_i32 s7, 0x124
	s_mov_b32 s0, 0
.LBB100_33:                             ; =>This Inner Loop Header: Depth=1
	s_delay_alu instid0(VALU_DEP_2)
	v_dual_mov_b32 v80, s7 :: v_dual_add_nc_u32 v79, -1, v79
	s_add_co_i32 s7, s7, 4
	ds_load_b32 v81, v78
	ds_load_b32 v80, v80
	v_add_nc_u32_e32 v78, 4, v78
	v_cmp_eq_u32_e32 vcc_lo, 0, v79
	s_or_b32 s0, vcc_lo, s0
	s_wait_dscnt 0x0
	v_fmac_f32_e32 v77, v81, v80
	s_and_not1_b32 exec_lo, exec_lo, s0
	s_cbranch_execnz .LBB100_33
; %bb.34:
	s_or_b32 exec_lo, exec_lo, s0
.LBB100_35:
	s_delay_alu instid0(SALU_CYCLE_1)
	s_or_b32 exec_lo, exec_lo, s5
	v_mov_b32_e32 v78, 0
	ds_load_b32 v78, v78 offset:128
	s_wait_dscnt 0x0
	v_mul_f32_e32 v77, v77, v78
	ds_store_b32 v5, v77 offset:128
.LBB100_36:
	;; [unrolled: 57-line block ×8, first 2 shown]
	s_or_b32 exec_lo, exec_lo, s4
	ds_load_b32 v77, v5 offset:100
	v_cmp_lt_u32_e64 s0, 25, v110
	s_wait_dscnt 0x0
	ds_store_b32 v112, v77
	s_wait_dscnt 0x0
	s_barrier_signal -1
	s_barrier_wait -1
	s_and_saveexec_b32 s4, s0
	s_cbranch_execz .LBB100_106
; %bb.97:
	s_and_not1_b32 vcc_lo, exec_lo, s6
	s_cbranch_vccnz .LBB100_99
; %bb.98:
	ds_load_b32 v77, v113
	ds_load_b32 v78, v112
	s_wait_dscnt 0x0
	v_mul_f32_e32 v77, v77, v78
	s_cbranch_execz .LBB100_100
	s_branch .LBB100_101
.LBB100_99:
                                        ; implicit-def: $vgpr77
.LBB100_100:
	ds_load_b32 v77, v112
.LBB100_101:
	s_and_saveexec_b32 s5, s1
	s_cbranch_execz .LBB100_105
; %bb.102:
	s_movk_i32 s1, 0x94
	v_subrev_nc_u32_e32 v79, 26, v110
	v_mad_u32 v78, v76, s1, 0x1a8
	s_movk_i32 s7, 0x108
	s_mov_b32 s1, 0
.LBB100_103:                            ; =>This Inner Loop Header: Depth=1
	s_delay_alu instid0(VALU_DEP_2)
	v_dual_mov_b32 v80, s7 :: v_dual_add_nc_u32 v79, -1, v79
	s_add_co_i32 s7, s7, 4
	ds_load_b32 v81, v78
	ds_load_b32 v80, v80
	v_add_nc_u32_e32 v78, 4, v78
	v_cmp_eq_u32_e32 vcc_lo, 0, v79
	s_or_b32 s1, vcc_lo, s1
	s_wait_dscnt 0x0
	v_fmac_f32_e32 v77, v81, v80
	s_and_not1_b32 exec_lo, exec_lo, s1
	s_cbranch_execnz .LBB100_103
; %bb.104:
	s_or_b32 exec_lo, exec_lo, s1
.LBB100_105:
	s_delay_alu instid0(SALU_CYCLE_1)
	s_or_b32 exec_lo, exec_lo, s5
	v_mov_b32_e32 v78, 0
	ds_load_b32 v78, v78 offset:100
	s_wait_dscnt 0x0
	v_mul_f32_e32 v77, v77, v78
	ds_store_b32 v5, v77 offset:100
.LBB100_106:
	s_or_b32 exec_lo, exec_lo, s4
	ds_load_b32 v77, v5 offset:96
	v_cmp_lt_u32_e64 s1, 24, v110
	s_wait_dscnt 0x0
	ds_store_b32 v112, v77
	s_wait_dscnt 0x0
	s_barrier_signal -1
	s_barrier_wait -1
	s_and_saveexec_b32 s4, s1
	s_cbranch_execz .LBB100_116
; %bb.107:
	s_and_not1_b32 vcc_lo, exec_lo, s6
	s_cbranch_vccnz .LBB100_109
; %bb.108:
	ds_load_b32 v77, v113
	ds_load_b32 v78, v112
	s_wait_dscnt 0x0
	v_mul_f32_e32 v77, v77, v78
	s_cbranch_execz .LBB100_110
	s_branch .LBB100_111
.LBB100_109:
                                        ; implicit-def: $vgpr77
.LBB100_110:
	ds_load_b32 v77, v112
.LBB100_111:
	s_and_saveexec_b32 s5, s0
	s_cbranch_execz .LBB100_115
; %bb.112:
	s_movk_i32 s0, 0x94
	v_subrev_nc_u32_e32 v79, 25, v110
	v_mad_u32 v78, v76, s0, 0x1a4
	s_movk_i32 s7, 0x104
	s_mov_b32 s0, 0
.LBB100_113:                            ; =>This Inner Loop Header: Depth=1
	s_delay_alu instid0(VALU_DEP_2)
	v_dual_mov_b32 v80, s7 :: v_dual_add_nc_u32 v79, -1, v79
	s_add_co_i32 s7, s7, 4
	ds_load_b32 v81, v78
	ds_load_b32 v80, v80
	v_add_nc_u32_e32 v78, 4, v78
	v_cmp_eq_u32_e32 vcc_lo, 0, v79
	s_or_b32 s0, vcc_lo, s0
	s_wait_dscnt 0x0
	v_fmac_f32_e32 v77, v81, v80
	s_and_not1_b32 exec_lo, exec_lo, s0
	s_cbranch_execnz .LBB100_113
; %bb.114:
	s_or_b32 exec_lo, exec_lo, s0
.LBB100_115:
	s_delay_alu instid0(SALU_CYCLE_1)
	s_or_b32 exec_lo, exec_lo, s5
	v_mov_b32_e32 v78, 0
	ds_load_b32 v78, v78 offset:96
	s_wait_dscnt 0x0
	v_mul_f32_e32 v77, v77, v78
	ds_store_b32 v5, v77 offset:96
.LBB100_116:
	;; [unrolled: 57-line block ×10, first 2 shown]
	s_or_b32 exec_lo, exec_lo, s4
	ds_load_b32 v77, v5 offset:60
	v_cmp_lt_u32_e64 s0, 15, v110
	s_wait_dscnt 0x0
	ds_store_b32 v112, v77
	s_wait_dscnt 0x0
	s_barrier_signal -1
	s_barrier_wait -1
	s_and_saveexec_b32 s4, s0
	s_cbranch_execz .LBB100_206
; %bb.197:
	s_and_not1_b32 vcc_lo, exec_lo, s6
	s_cbranch_vccnz .LBB100_199
; %bb.198:
	ds_load_b32 v77, v113
	ds_load_b32 v78, v112
	s_wait_dscnt 0x0
	v_mul_f32_e32 v77, v77, v78
	s_cbranch_execz .LBB100_200
	s_branch .LBB100_201
.LBB100_199:
                                        ; implicit-def: $vgpr77
.LBB100_200:
	ds_load_b32 v77, v112
.LBB100_201:
	s_and_saveexec_b32 s5, s1
	s_cbranch_execz .LBB100_205
; %bb.202:
	s_movk_i32 s1, 0x94
	v_add_nc_u32_e32 v79, -16, v110
	v_mad_u32 v78, v76, s1, 0x180
	s_movk_i32 s7, 0xe0
	s_mov_b32 s1, 0
.LBB100_203:                            ; =>This Inner Loop Header: Depth=1
	s_delay_alu instid0(VALU_DEP_2)
	v_dual_mov_b32 v80, s7 :: v_dual_add_nc_u32 v79, -1, v79
	s_add_co_i32 s7, s7, 4
	ds_load_b32 v81, v78
	ds_load_b32 v80, v80
	v_add_nc_u32_e32 v78, 4, v78
	v_cmp_eq_u32_e32 vcc_lo, 0, v79
	s_or_b32 s1, vcc_lo, s1
	s_wait_dscnt 0x0
	v_fmac_f32_e32 v77, v81, v80
	s_and_not1_b32 exec_lo, exec_lo, s1
	s_cbranch_execnz .LBB100_203
; %bb.204:
	s_or_b32 exec_lo, exec_lo, s1
.LBB100_205:
	s_delay_alu instid0(SALU_CYCLE_1)
	s_or_b32 exec_lo, exec_lo, s5
	v_mov_b32_e32 v78, 0
	ds_load_b32 v78, v78 offset:60
	s_wait_dscnt 0x0
	v_mul_f32_e32 v77, v77, v78
	ds_store_b32 v5, v77 offset:60
.LBB100_206:
	s_or_b32 exec_lo, exec_lo, s4
	ds_load_b32 v77, v5 offset:56
	v_cmp_lt_u32_e64 s1, 14, v110
	s_wait_dscnt 0x0
	ds_store_b32 v112, v77
	s_wait_dscnt 0x0
	s_barrier_signal -1
	s_barrier_wait -1
	s_and_saveexec_b32 s4, s1
	s_cbranch_execz .LBB100_216
; %bb.207:
	s_and_not1_b32 vcc_lo, exec_lo, s6
	s_cbranch_vccnz .LBB100_209
; %bb.208:
	ds_load_b32 v77, v113
	ds_load_b32 v78, v112
	s_wait_dscnt 0x0
	v_mul_f32_e32 v77, v77, v78
	s_cbranch_execz .LBB100_210
	s_branch .LBB100_211
.LBB100_209:
                                        ; implicit-def: $vgpr77
.LBB100_210:
	ds_load_b32 v77, v112
.LBB100_211:
	s_and_saveexec_b32 s5, s0
	s_cbranch_execz .LBB100_215
; %bb.212:
	s_movk_i32 s0, 0x94
	v_add_nc_u32_e32 v79, -15, v110
	v_mad_u32 v78, v76, s0, 0x17c
	s_movk_i32 s7, 0xdc
	s_mov_b32 s0, 0
.LBB100_213:                            ; =>This Inner Loop Header: Depth=1
	s_delay_alu instid0(VALU_DEP_2)
	v_dual_mov_b32 v80, s7 :: v_dual_add_nc_u32 v79, -1, v79
	s_add_co_i32 s7, s7, 4
	ds_load_b32 v81, v78
	ds_load_b32 v80, v80
	v_add_nc_u32_e32 v78, 4, v78
	v_cmp_eq_u32_e32 vcc_lo, 0, v79
	s_or_b32 s0, vcc_lo, s0
	s_wait_dscnt 0x0
	v_fmac_f32_e32 v77, v81, v80
	s_and_not1_b32 exec_lo, exec_lo, s0
	s_cbranch_execnz .LBB100_213
; %bb.214:
	s_or_b32 exec_lo, exec_lo, s0
.LBB100_215:
	s_delay_alu instid0(SALU_CYCLE_1)
	s_or_b32 exec_lo, exec_lo, s5
	v_mov_b32_e32 v78, 0
	ds_load_b32 v78, v78 offset:56
	s_wait_dscnt 0x0
	v_mul_f32_e32 v77, v77, v78
	ds_store_b32 v5, v77 offset:56
.LBB100_216:
	;; [unrolled: 57-line block ×15, first 2 shown]
	s_or_b32 exec_lo, exec_lo, s4
	ds_load_b32 v77, v5
	s_mov_b32 s1, 0
	s_mov_b32 s4, exec_lo
	s_wait_dscnt 0x0
	ds_store_b32 v112, v77
	s_wait_dscnt 0x0
	s_barrier_signal -1
	s_barrier_wait -1
	v_cmpx_ne_u32_e32 0, v110
	s_cbranch_execz .LBB100_356
; %bb.347:
	s_and_not1_b32 vcc_lo, exec_lo, s6
	s_cbranch_vccnz .LBB100_349
; %bb.348:
	ds_load_b32 v77, v113
	ds_load_b32 v78, v112
	s_wait_dscnt 0x0
	v_mul_f32_e32 v77, v77, v78
	s_cbranch_execz .LBB100_350
	s_branch .LBB100_351
.LBB100_349:
                                        ; implicit-def: $vgpr77
.LBB100_350:
	ds_load_b32 v77, v112
.LBB100_351:
	s_and_saveexec_b32 s5, s0
	s_cbranch_execz .LBB100_355
; %bb.352:
	s_movk_i32 s0, 0x94
	v_add_nc_u32_e32 v78, -1, v110
	v_mad_u32 v76, v76, s0, 0x144
	s_movk_i32 s7, 0xa4
	s_mov_b32 s0, 0
.LBB100_353:                            ; =>This Inner Loop Header: Depth=1
	s_delay_alu instid0(VALU_DEP_2)
	v_dual_mov_b32 v79, s7 :: v_dual_add_nc_u32 v78, -1, v78
	s_add_co_i32 s7, s7, 4
	ds_load_b32 v80, v76
	ds_load_b32 v79, v79
	v_add_nc_u32_e32 v76, 4, v76
	v_cmp_eq_u32_e32 vcc_lo, 0, v78
	s_or_b32 s0, vcc_lo, s0
	s_wait_dscnt 0x0
	v_fmac_f32_e32 v77, v80, v79
	s_and_not1_b32 exec_lo, exec_lo, s0
	s_cbranch_execnz .LBB100_353
; %bb.354:
	s_or_b32 exec_lo, exec_lo, s0
.LBB100_355:
	s_delay_alu instid0(SALU_CYCLE_1)
	s_or_b32 exec_lo, exec_lo, s5
	v_mov_b32_e32 v76, 0
	ds_load_b32 v76, v76
	s_wait_dscnt 0x0
	v_mul_f32_e32 v76, v77, v76
	ds_store_b32 v5, v76
.LBB100_356:
	s_or_b32 exec_lo, exec_lo, s4
.LBB100_357:
	v_lshl_add_u64 v[108:109], v[6:7], 2, s[2:3]
	v_lshl_add_u64 v[106:107], v[8:9], 2, s[2:3]
	;; [unrolled: 1-line block ×35, first 2 shown]
	s_and_b32 vcc_lo, exec_lo, s1
	s_cbranch_vccz .LBB100_709
; %bb.358:
	ds_load_b32 v42, v5 offset:4
	v_cmp_eq_u32_e64 s0, 0, v110
	s_wait_dscnt 0x0
	ds_store_b32 v112, v42
	s_wait_dscnt 0x0
	s_barrier_signal -1
	s_barrier_wait -1
	s_and_saveexec_b32 s1, s0
	s_cbranch_execz .LBB100_364
; %bb.359:
	s_and_b32 vcc_lo, exec_lo, s6
	s_cbranch_vccz .LBB100_361
; %bb.360:
	ds_load_b32 v42, v113
	ds_load_b32 v43, v112
	s_wait_dscnt 0x0
	v_mul_f32_e32 v42, v42, v43
	s_cbranch_execz .LBB100_362
	s_branch .LBB100_363
.LBB100_361:
                                        ; implicit-def: $vgpr42
.LBB100_362:
	ds_load_b32 v42, v112
.LBB100_363:
	v_mov_b32_e32 v43, 0
	ds_load_b32 v43, v43 offset:4
	s_wait_dscnt 0x0
	v_mul_f32_e32 v42, v42, v43
	ds_store_b32 v5, v42 offset:4
.LBB100_364:
	s_or_b32 exec_lo, exec_lo, s1
	ds_load_b32 v43, v5 offset:8
	v_cndmask_b32_e64 v42, 0, 1, s6
	s_mov_b32 s1, exec_lo
	s_wait_dscnt 0x0
	ds_store_b32 v112, v43
	s_wait_dscnt 0x0
	s_barrier_signal -1
	s_barrier_wait -1
	v_cmpx_gt_u32_e32 2, v110
	s_cbranch_execz .LBB100_370
; %bb.365:
	s_and_not1_b32 vcc_lo, exec_lo, s6
	s_cbranch_vccnz .LBB100_367
; %bb.366:
	ds_load_b32 v43, v113
	ds_load_b32 v44, v112
	s_wait_dscnt 0x0
	v_mul_f32_e32 v43, v43, v44
	s_cbranch_execz .LBB100_368
	s_branch .LBB100_369
.LBB100_367:
                                        ; implicit-def: $vgpr43
.LBB100_368:
	ds_load_b32 v43, v112
.LBB100_369:
	v_mov_b32_e32 v44, 0
	ds_load_b32 v46, v5 offset:4
	ds_load_2addr_b32 v[44:45], v44 offset0:2 offset1:41
	s_wait_dscnt 0x0
	v_fma_f32 v45, v46, v45, v43
	s_delay_alu instid0(VALU_DEP_1) | instskip(NEXT) | instid1(VALU_DEP_1)
	v_cndmask_b32_e64 v43, v43, v45, s0
	v_mul_f32_e32 v43, v43, v44
	ds_store_b32 v5, v43 offset:8
.LBB100_370:
	s_or_b32 exec_lo, exec_lo, s1
	ds_load_b32 v43, v5 offset:12
	s_mov_b32 s1, exec_lo
	s_wait_dscnt 0x0
	ds_store_b32 v112, v43
	s_wait_dscnt 0x0
	s_barrier_signal -1
	s_barrier_wait -1
	v_cmpx_gt_u32_e32 3, v110
	s_cbranch_execz .LBB100_378
; %bb.371:
	v_cmp_ne_u32_e32 vcc_lo, 1, v42
	s_cbranch_vccnz .LBB100_373
; %bb.372:
	ds_load_b32 v43, v113
	ds_load_b32 v44, v112
	s_wait_dscnt 0x0
	v_mul_f32_e32 v43, v43, v44
	s_cbranch_execz .LBB100_374
	s_branch .LBB100_375
.LBB100_373:
                                        ; implicit-def: $vgpr43
.LBB100_374:
	ds_load_b32 v43, v112
.LBB100_375:
	s_mov_b32 s2, exec_lo
	v_cmpx_ne_u32_e32 2, v110
	s_cbranch_execz .LBB100_377
; %bb.376:
	ds_load_b32 v44, v113 offset:4
	ds_load_b32 v45, v112 offset:4
	s_wait_dscnt 0x0
	v_dual_mov_b32 v46, 0 :: v_dual_fmac_f32 v43, v44, v45
	ds_load_b32 v47, v5 offset:8
	ds_load_b32 v46, v46 offset:168
	s_wait_dscnt 0x0
	v_fma_f32 v44, v47, v46, v43
	s_delay_alu instid0(VALU_DEP_1)
	v_cndmask_b32_e64 v43, v43, v44, s0
.LBB100_377:
	s_or_b32 exec_lo, exec_lo, s2
	v_mov_b32_e32 v44, 0
	ds_load_b32 v44, v44 offset:12
	s_wait_dscnt 0x0
	v_mul_f32_e32 v43, v43, v44
	ds_store_b32 v5, v43 offset:12
.LBB100_378:
	s_or_b32 exec_lo, exec_lo, s1
	ds_load_b32 v43, v5 offset:16
	s_mov_b32 s0, exec_lo
	s_wait_dscnt 0x0
	ds_store_b32 v112, v43
	s_wait_dscnt 0x0
	s_barrier_signal -1
	s_barrier_wait -1
	v_cmpx_gt_u32_e32 4, v110
	s_cbranch_execz .LBB100_388
; %bb.379:
	v_cmp_ne_u32_e32 vcc_lo, 1, v42
	s_cbranch_vccnz .LBB100_381
; %bb.380:
	ds_load_b32 v43, v113
	ds_load_b32 v44, v112
	s_wait_dscnt 0x0
	v_mul_f32_e32 v43, v43, v44
	s_cbranch_execz .LBB100_382
	s_branch .LBB100_383
.LBB100_381:
                                        ; implicit-def: $vgpr43
.LBB100_382:
	ds_load_b32 v43, v112
.LBB100_383:
	s_mov_b32 s1, exec_lo
	v_cmpx_ne_u32_e32 3, v110
	s_cbranch_execz .LBB100_387
; %bb.384:
	v_add_nc_u32_e32 v44, 0xa4, v4
	v_add3_u32 v45, v111, v4, 0x144
	v_mov_b32_e32 v46, v110
	s_mov_b32 s2, 0
.LBB100_385:                            ; =>This Inner Loop Header: Depth=1
	ds_load_b32 v47, v45
	ds_load_b32 v48, v44
	v_dual_add_nc_u32 v46, 1, v46 :: v_dual_add_nc_u32 v44, 4, v44
	v_add_nc_u32_e32 v45, 4, v45
	s_delay_alu instid0(VALU_DEP_2)
	v_cmp_lt_u32_e32 vcc_lo, 2, v46
	s_or_b32 s2, vcc_lo, s2
	s_wait_dscnt 0x0
	v_fmac_f32_e32 v43, v47, v48
	s_and_not1_b32 exec_lo, exec_lo, s2
	s_cbranch_execnz .LBB100_385
; %bb.386:
	s_or_b32 exec_lo, exec_lo, s2
.LBB100_387:
	s_delay_alu instid0(SALU_CYCLE_1)
	s_or_b32 exec_lo, exec_lo, s1
	v_mov_b32_e32 v44, 0
	ds_load_b32 v44, v44 offset:16
	s_wait_dscnt 0x0
	v_mul_f32_e32 v43, v43, v44
	ds_store_b32 v5, v43 offset:16
.LBB100_388:
	s_or_b32 exec_lo, exec_lo, s0
	ds_load_b32 v43, v5 offset:20
	s_mov_b32 s0, exec_lo
	s_wait_dscnt 0x0
	ds_store_b32 v112, v43
	s_wait_dscnt 0x0
	s_barrier_signal -1
	s_barrier_wait -1
	v_cmpx_gt_u32_e32 5, v110
	s_cbranch_execz .LBB100_398
; %bb.389:
	v_cmp_ne_u32_e32 vcc_lo, 1, v42
	s_cbranch_vccnz .LBB100_391
; %bb.390:
	ds_load_b32 v43, v113
	ds_load_b32 v44, v112
	s_wait_dscnt 0x0
	v_mul_f32_e32 v43, v43, v44
	s_cbranch_execz .LBB100_392
	s_branch .LBB100_393
.LBB100_391:
                                        ; implicit-def: $vgpr43
.LBB100_392:
	ds_load_b32 v43, v112
.LBB100_393:
	s_mov_b32 s1, exec_lo
	v_cmpx_ne_u32_e32 4, v110
	s_cbranch_execz .LBB100_397
; %bb.394:
	v_add_nc_u32_e32 v44, 0xa4, v4
	v_add3_u32 v45, v111, v4, 0x144
	v_mov_b32_e32 v46, v110
	s_mov_b32 s2, 0
.LBB100_395:                            ; =>This Inner Loop Header: Depth=1
	ds_load_b32 v47, v45
	ds_load_b32 v48, v44
	v_dual_add_nc_u32 v46, 1, v46 :: v_dual_add_nc_u32 v44, 4, v44
	v_add_nc_u32_e32 v45, 4, v45
	s_delay_alu instid0(VALU_DEP_2)
	v_cmp_lt_u32_e32 vcc_lo, 3, v46
	s_or_b32 s2, vcc_lo, s2
	s_wait_dscnt 0x0
	v_fmac_f32_e32 v43, v47, v48
	s_and_not1_b32 exec_lo, exec_lo, s2
	s_cbranch_execnz .LBB100_395
; %bb.396:
	s_or_b32 exec_lo, exec_lo, s2
.LBB100_397:
	s_delay_alu instid0(SALU_CYCLE_1)
	s_or_b32 exec_lo, exec_lo, s1
	v_mov_b32_e32 v44, 0
	ds_load_b32 v44, v44 offset:20
	s_wait_dscnt 0x0
	v_mul_f32_e32 v43, v43, v44
	ds_store_b32 v5, v43 offset:20
.LBB100_398:
	;; [unrolled: 56-line block ×31, first 2 shown]
	s_or_b32 exec_lo, exec_lo, s0
	ds_load_b32 v43, v5 offset:140
	v_cmp_gt_u32_e64 s0, 35, v110
	s_wait_dscnt 0x0
	ds_store_b32 v112, v43
	s_wait_dscnt 0x0
	s_barrier_signal -1
	s_barrier_wait -1
	s_and_saveexec_b32 s1, s0
	s_cbranch_execz .LBB100_698
; %bb.689:
	v_cmp_ne_u32_e32 vcc_lo, 1, v42
	s_cbranch_vccnz .LBB100_691
; %bb.690:
	ds_load_b32 v43, v113
	ds_load_b32 v44, v112
	s_wait_dscnt 0x0
	v_mul_f32_e32 v43, v43, v44
	s_cbranch_execz .LBB100_692
	s_branch .LBB100_693
.LBB100_691:
                                        ; implicit-def: $vgpr43
.LBB100_692:
	ds_load_b32 v43, v112
.LBB100_693:
	s_mov_b32 s2, exec_lo
	v_cmpx_ne_u32_e32 34, v110
	s_cbranch_execz .LBB100_697
; %bb.694:
	v_add_nc_u32_e32 v44, 0xa4, v4
	v_add3_u32 v45, v111, v4, 0x144
	v_mov_b32_e32 v46, v110
	s_mov_b32 s3, 0
.LBB100_695:                            ; =>This Inner Loop Header: Depth=1
	ds_load_b32 v47, v45
	ds_load_b32 v48, v44
	v_dual_add_nc_u32 v46, 1, v46 :: v_dual_add_nc_u32 v44, 4, v44
	v_add_nc_u32_e32 v45, 4, v45
	s_delay_alu instid0(VALU_DEP_2)
	v_cmp_lt_u32_e32 vcc_lo, 33, v46
	s_or_b32 s3, vcc_lo, s3
	s_wait_dscnt 0x0
	v_fmac_f32_e32 v43, v47, v48
	s_and_not1_b32 exec_lo, exec_lo, s3
	s_cbranch_execnz .LBB100_695
; %bb.696:
	s_or_b32 exec_lo, exec_lo, s3
.LBB100_697:
	s_delay_alu instid0(SALU_CYCLE_1)
	s_or_b32 exec_lo, exec_lo, s2
	v_mov_b32_e32 v44, 0
	ds_load_b32 v44, v44 offset:140
	s_wait_dscnt 0x0
	v_mul_f32_e32 v43, v43, v44
	ds_store_b32 v5, v43 offset:140
.LBB100_698:
	s_or_b32 exec_lo, exec_lo, s1
	ds_load_b32 v43, v5 offset:144
	s_mov_b32 s1, exec_lo
	s_wait_dscnt 0x0
	ds_store_b32 v112, v43
	s_wait_dscnt 0x0
	s_barrier_signal -1
	s_barrier_wait -1
	v_cmpx_ne_u32_e32 36, v110
	s_cbranch_execz .LBB100_708
; %bb.699:
	v_cmp_ne_u32_e32 vcc_lo, 1, v42
	s_cbranch_vccnz .LBB100_701
; %bb.700:
	ds_load_b32 v42, v113
	ds_load_b32 v43, v112
	s_wait_dscnt 0x0
	v_mul_f32_e32 v42, v42, v43
	s_cbranch_execz .LBB100_702
	s_branch .LBB100_703
.LBB100_701:
                                        ; implicit-def: $vgpr42
.LBB100_702:
	ds_load_b32 v42, v112
.LBB100_703:
	s_and_saveexec_b32 s2, s0
	s_cbranch_execz .LBB100_707
; %bb.704:
	v_add_nc_u32_e32 v43, 0xa4, v4
	v_add3_u32 v4, v111, v4, 0x144
	s_mov_b32 s0, 0
.LBB100_705:                            ; =>This Inner Loop Header: Depth=1
	ds_load_b32 v44, v4
	ds_load_b32 v45, v43
	v_dual_add_nc_u32 v110, 1, v110 :: v_dual_add_nc_u32 v43, 4, v43
	v_add_nc_u32_e32 v4, 4, v4
	s_delay_alu instid0(VALU_DEP_2)
	v_cmp_lt_u32_e32 vcc_lo, 34, v110
	s_or_b32 s0, vcc_lo, s0
	s_wait_dscnt 0x0
	v_fmac_f32_e32 v42, v44, v45
	s_and_not1_b32 exec_lo, exec_lo, s0
	s_cbranch_execnz .LBB100_705
; %bb.706:
	s_or_b32 exec_lo, exec_lo, s0
.LBB100_707:
	s_delay_alu instid0(SALU_CYCLE_1)
	s_or_b32 exec_lo, exec_lo, s2
	v_mov_b32_e32 v4, 0
	ds_load_b32 v4, v4 offset:144
	s_wait_dscnt 0x0
	v_mul_f32_e32 v4, v42, v4
	ds_store_b32 v5, v4 offset:144
.LBB100_708:
	s_or_b32 exec_lo, exec_lo, s1
.LBB100_709:
	ds_load_b32 v4, v5
	s_wait_dscnt 0x0
	flat_store_b32 v[0:1], v4
	s_wait_xcnt 0x0
	ds_load_b32 v0, v5 offset:4
	s_wait_dscnt 0x0
	flat_store_b32 v[2:3], v0
	s_wait_xcnt 0x0
	ds_load_b32 v0, v5 offset:8
	;; [unrolled: 4-line block ×36, first 2 shown]
	s_wait_dscnt 0x0
	flat_store_b32 v[6:7], v0
.LBB100_710:
	s_sendmsg sendmsg(MSG_DEALLOC_VGPRS)
	s_endpgm
	.section	.rodata,"a",@progbits
	.p2align	6, 0x0
	.amdhsa_kernel _ZN9rocsolver6v33100L18trti2_kernel_smallILi37EfPKPfEEv13rocblas_fill_17rocblas_diagonal_T1_iil
		.amdhsa_group_segment_fixed_size 9792
		.amdhsa_private_segment_fixed_size 0
		.amdhsa_kernarg_size 32
		.amdhsa_user_sgpr_count 4
		.amdhsa_user_sgpr_dispatch_ptr 1
		.amdhsa_user_sgpr_queue_ptr 0
		.amdhsa_user_sgpr_kernarg_segment_ptr 1
		.amdhsa_user_sgpr_dispatch_id 0
		.amdhsa_user_sgpr_kernarg_preload_length 0
		.amdhsa_user_sgpr_kernarg_preload_offset 0
		.amdhsa_user_sgpr_private_segment_size 0
		.amdhsa_wavefront_size32 1
		.amdhsa_uses_dynamic_stack 0
		.amdhsa_enable_private_segment 0
		.amdhsa_system_sgpr_workgroup_id_x 1
		.amdhsa_system_sgpr_workgroup_id_y 0
		.amdhsa_system_sgpr_workgroup_id_z 0
		.amdhsa_system_sgpr_workgroup_info 0
		.amdhsa_system_vgpr_workitem_id 2
		.amdhsa_next_free_vgpr 114
		.amdhsa_next_free_sgpr 12
		.amdhsa_named_barrier_count 0
		.amdhsa_reserve_vcc 1
		.amdhsa_float_round_mode_32 0
		.amdhsa_float_round_mode_16_64 0
		.amdhsa_float_denorm_mode_32 3
		.amdhsa_float_denorm_mode_16_64 3
		.amdhsa_fp16_overflow 0
		.amdhsa_memory_ordered 1
		.amdhsa_forward_progress 1
		.amdhsa_inst_pref_size 154
		.amdhsa_round_robin_scheduling 0
		.amdhsa_exception_fp_ieee_invalid_op 0
		.amdhsa_exception_fp_denorm_src 0
		.amdhsa_exception_fp_ieee_div_zero 0
		.amdhsa_exception_fp_ieee_overflow 0
		.amdhsa_exception_fp_ieee_underflow 0
		.amdhsa_exception_fp_ieee_inexact 0
		.amdhsa_exception_int_div_zero 0
	.end_amdhsa_kernel
	.section	.text._ZN9rocsolver6v33100L18trti2_kernel_smallILi37EfPKPfEEv13rocblas_fill_17rocblas_diagonal_T1_iil,"axG",@progbits,_ZN9rocsolver6v33100L18trti2_kernel_smallILi37EfPKPfEEv13rocblas_fill_17rocblas_diagonal_T1_iil,comdat
.Lfunc_end100:
	.size	_ZN9rocsolver6v33100L18trti2_kernel_smallILi37EfPKPfEEv13rocblas_fill_17rocblas_diagonal_T1_iil, .Lfunc_end100-_ZN9rocsolver6v33100L18trti2_kernel_smallILi37EfPKPfEEv13rocblas_fill_17rocblas_diagonal_T1_iil
                                        ; -- End function
	.set _ZN9rocsolver6v33100L18trti2_kernel_smallILi37EfPKPfEEv13rocblas_fill_17rocblas_diagonal_T1_iil.num_vgpr, 114
	.set _ZN9rocsolver6v33100L18trti2_kernel_smallILi37EfPKPfEEv13rocblas_fill_17rocblas_diagonal_T1_iil.num_agpr, 0
	.set _ZN9rocsolver6v33100L18trti2_kernel_smallILi37EfPKPfEEv13rocblas_fill_17rocblas_diagonal_T1_iil.numbered_sgpr, 12
	.set _ZN9rocsolver6v33100L18trti2_kernel_smallILi37EfPKPfEEv13rocblas_fill_17rocblas_diagonal_T1_iil.num_named_barrier, 0
	.set _ZN9rocsolver6v33100L18trti2_kernel_smallILi37EfPKPfEEv13rocblas_fill_17rocblas_diagonal_T1_iil.private_seg_size, 0
	.set _ZN9rocsolver6v33100L18trti2_kernel_smallILi37EfPKPfEEv13rocblas_fill_17rocblas_diagonal_T1_iil.uses_vcc, 1
	.set _ZN9rocsolver6v33100L18trti2_kernel_smallILi37EfPKPfEEv13rocblas_fill_17rocblas_diagonal_T1_iil.uses_flat_scratch, 0
	.set _ZN9rocsolver6v33100L18trti2_kernel_smallILi37EfPKPfEEv13rocblas_fill_17rocblas_diagonal_T1_iil.has_dyn_sized_stack, 0
	.set _ZN9rocsolver6v33100L18trti2_kernel_smallILi37EfPKPfEEv13rocblas_fill_17rocblas_diagonal_T1_iil.has_recursion, 0
	.set _ZN9rocsolver6v33100L18trti2_kernel_smallILi37EfPKPfEEv13rocblas_fill_17rocblas_diagonal_T1_iil.has_indirect_call, 0
	.section	.AMDGPU.csdata,"",@progbits
; Kernel info:
; codeLenInByte = 19696
; TotalNumSgprs: 14
; NumVgprs: 114
; ScratchSize: 0
; MemoryBound: 0
; FloatMode: 240
; IeeeMode: 1
; LDSByteSize: 9792 bytes/workgroup (compile time only)
; SGPRBlocks: 0
; VGPRBlocks: 7
; NumSGPRsForWavesPerEU: 14
; NumVGPRsForWavesPerEU: 114
; NamedBarCnt: 0
; Occupancy: 8
; WaveLimiterHint : 1
; COMPUTE_PGM_RSRC2:SCRATCH_EN: 0
; COMPUTE_PGM_RSRC2:USER_SGPR: 4
; COMPUTE_PGM_RSRC2:TRAP_HANDLER: 0
; COMPUTE_PGM_RSRC2:TGID_X_EN: 1
; COMPUTE_PGM_RSRC2:TGID_Y_EN: 0
; COMPUTE_PGM_RSRC2:TGID_Z_EN: 0
; COMPUTE_PGM_RSRC2:TIDIG_COMP_CNT: 2
	.section	.text._ZN9rocsolver6v33100L18trti2_kernel_smallILi38EfPKPfEEv13rocblas_fill_17rocblas_diagonal_T1_iil,"axG",@progbits,_ZN9rocsolver6v33100L18trti2_kernel_smallILi38EfPKPfEEv13rocblas_fill_17rocblas_diagonal_T1_iil,comdat
	.globl	_ZN9rocsolver6v33100L18trti2_kernel_smallILi38EfPKPfEEv13rocblas_fill_17rocblas_diagonal_T1_iil ; -- Begin function _ZN9rocsolver6v33100L18trti2_kernel_smallILi38EfPKPfEEv13rocblas_fill_17rocblas_diagonal_T1_iil
	.p2align	8
	.type	_ZN9rocsolver6v33100L18trti2_kernel_smallILi38EfPKPfEEv13rocblas_fill_17rocblas_diagonal_T1_iil,@function
_ZN9rocsolver6v33100L18trti2_kernel_smallILi38EfPKPfEEv13rocblas_fill_17rocblas_diagonal_T1_iil: ; @_ZN9rocsolver6v33100L18trti2_kernel_smallILi38EfPKPfEEv13rocblas_fill_17rocblas_diagonal_T1_iil
; %bb.0:
	v_and_b32_e32 v114, 0x3ff, v0
	s_mov_b32 s4, exec_lo
	s_delay_alu instid0(VALU_DEP_1)
	v_cmpx_gt_u32_e32 38, v114
	s_cbranch_execz .LBB101_730
; %bb.1:
	s_load_b64 s[10:11], s[0:1], 0x4
	s_clause 0x1
	s_load_b64 s[8:9], s[2:3], 0x10
	s_load_b128 s[4:7], s[2:3], 0x0
	s_wait_xcnt 0x0
	s_bfe_u32 s0, ttmp6, 0x4000c
	s_and_b32 s2, ttmp6, 15
	s_add_co_i32 s0, s0, 1
	s_getreg_b32 s3, hwreg(HW_REG_IB_STS2, 6, 4)
	s_mul_i32 s0, ttmp9, s0
	v_bfe_u32 v1, v0, 10, 10
	s_add_co_i32 s2, s2, s0
	v_bfe_u32 v0, v0, 20, 10
	v_dual_mov_b32 v5, 0 :: v_dual_lshlrev_b32 v4, 2, v114
	v_mov_b32_e32 v79, -1.0
	s_wait_kmcnt 0x0
	s_lshr_b32 s10, s10, 16
	s_ashr_i32 s1, s8, 31
	s_cmp_eq_u32 s3, 0
	s_mov_b32 s0, s8
	s_cselect_b32 s2, ttmp9, s2
	s_lshl_b64 s[0:1], s[0:1], 2
	s_ashr_i32 s3, s2, 31
	s_mul_i32 s10, s10, s11
	s_lshl_b64 s[2:3], s[2:3], 3
	v_mul_u32_u24_e32 v2, s10, v114
	s_add_nc_u64 s[2:3], s[6:7], s[2:3]
	v_mul_u32_u24_e32 v1, s11, v1
	s_load_b64 s[2:3], s[2:3], 0x0
	s_delay_alu instid0(VALU_DEP_1) | instskip(NEXT) | instid1(VALU_DEP_1)
	v_add3_u32 v78, v2, v1, v0
	v_mul_lo_u32 v115, 0x98, v78
	s_wait_kmcnt 0x0
	s_add_nc_u64 s[6:7], s[2:3], s[0:1]
	s_ashr_i32 s1, s9, 31
	flat_load_b32 v6, v114, s[6:7] scale_offset
	v_add_nc_u64_e32 v[0:1], s[6:7], v[4:5]
	s_mov_b32 s0, s9
	s_cmp_lg_u32 s5, 0x84
	s_cselect_b32 s3, -1, 0
	s_cmp_eq_u32 s5, 0x84
	s_delay_alu instid0(VALU_DEP_1) | instskip(SKIP_4) | instid1(VALU_DEP_1)
	v_lshl_add_u64 v[2:3], s[0:1], 2, v[0:1]
	s_wait_loadcnt_dscnt 0x0
	ds_store_b32 v115, v6 offset:320
	flat_load_b32 v5, v[2:3]
	v_add3_u32 v6, s9, s9, v114
	v_add_nc_u32_e32 v8, s9, v6
	s_delay_alu instid0(VALU_DEP_1) | instskip(NEXT) | instid1(VALU_DEP_1)
	v_add_nc_u32_e32 v10, s9, v8
	v_add_nc_u32_e32 v12, s9, v10
	s_delay_alu instid0(VALU_DEP_1) | instskip(NEXT) | instid1(VALU_DEP_1)
	v_add_nc_u32_e32 v14, s9, v12
	v_dual_ashrrev_i32 v9, 31, v8 :: v_dual_add_nc_u32 v16, s9, v14
	s_delay_alu instid0(VALU_DEP_1) | instskip(SKIP_1) | instid1(VALU_DEP_1)
	v_dual_ashrrev_i32 v11, 31, v10 :: v_dual_ashrrev_i32 v17, 31, v16
	v_dual_add_nc_u32 v18, s9, v16 :: v_dual_ashrrev_i32 v7, 31, v6
	v_dual_ashrrev_i32 v13, 31, v12 :: v_dual_add_nc_u32 v20, s9, v18
	s_delay_alu instid0(VALU_DEP_1) | instskip(NEXT) | instid1(VALU_DEP_1)
	v_add_nc_u32_e32 v22, s9, v20
	v_add_nc_u32_e32 v24, s9, v22
	s_delay_alu instid0(VALU_DEP_1) | instskip(NEXT) | instid1(VALU_DEP_1)
	v_dual_add_nc_u32 v26, s9, v24 :: v_dual_ashrrev_i32 v15, 31, v14
	v_dual_ashrrev_i32 v21, 31, v20 :: v_dual_add_nc_u32 v28, s9, v26
	s_delay_alu instid0(VALU_DEP_1) | instskip(SKIP_1) | instid1(VALU_DEP_1)
	v_dual_ashrrev_i32 v23, 31, v22 :: v_dual_ashrrev_i32 v29, 31, v28
	v_dual_add_nc_u32 v30, s9, v28 :: v_dual_ashrrev_i32 v19, 31, v18
	v_dual_ashrrev_i32 v25, 31, v24 :: v_dual_add_nc_u32 v32, s9, v30
	s_delay_alu instid0(VALU_DEP_1) | instskip(NEXT) | instid1(VALU_DEP_1)
	v_add_nc_u32_e32 v34, s9, v32
	v_add_nc_u32_e32 v36, s9, v34
	s_delay_alu instid0(VALU_DEP_1) | instskip(NEXT) | instid1(VALU_DEP_1)
	v_dual_add_nc_u32 v38, s9, v36 :: v_dual_ashrrev_i32 v27, 31, v26
	;; [unrolled: 10-line block ×4, first 2 shown]
	v_dual_ashrrev_i32 v57, 31, v56 :: v_dual_add_nc_u32 v64, s9, v62
	s_delay_alu instid0(VALU_DEP_1) | instskip(SKIP_1) | instid1(VALU_DEP_1)
	v_dual_ashrrev_i32 v59, 31, v58 :: v_dual_ashrrev_i32 v65, 31, v64
	v_dual_add_nc_u32 v66, s9, v64 :: v_dual_ashrrev_i32 v55, 31, v54
	v_dual_ashrrev_i32 v61, 31, v60 :: v_dual_add_nc_u32 v68, s9, v66
	s_delay_alu instid0(VALU_DEP_1) | instskip(NEXT) | instid1(VALU_DEP_1)
	v_add_nc_u32_e32 v70, s9, v68
	v_add_nc_u32_e32 v72, s9, v70
	s_delay_alu instid0(VALU_DEP_1) | instskip(SKIP_1) | instid1(VALU_DEP_1)
	v_dual_ashrrev_i32 v67, 31, v66 :: v_dual_ashrrev_i32 v73, 31, v72
	v_dual_add_nc_u32 v74, s9, v72 :: v_dual_ashrrev_i32 v63, 31, v62
	v_dual_ashrrev_i32 v69, 31, v68 :: v_dual_add_nc_u32 v76, s9, v74
	v_ashrrev_i32_e32 v71, 31, v70
	s_delay_alu instid0(VALU_DEP_2)
	v_dual_ashrrev_i32 v75, 31, v74 :: v_dual_ashrrev_i32 v77, 31, v76
	s_wait_loadcnt_dscnt 0x0
	ds_store_b32 v115, v5 offset:324
	flat_load_b32 v5, v6, s[6:7] scale_offset
	s_wait_loadcnt_dscnt 0x0
	ds_store_b32 v115, v5 offset:328
	flat_load_b32 v5, v8, s[6:7] scale_offset
	;; [unrolled: 3-line block ×36, first 2 shown]
	v_add_nc_u32_e32 v5, 0x140, v115
	s_wait_loadcnt_dscnt 0x0
	ds_store_b32 v115, v80 offset:468
	s_cbranch_scc1 .LBB101_3
; %bb.2:
	v_lshl_add_u32 v80, v114, 2, v5
	ds_load_b32 v79, v80
	s_wait_dscnt 0x0
	v_div_scale_f32 v81, null, v79, v79, 1.0
	s_delay_alu instid0(VALU_DEP_1) | instskip(SKIP_1) | instid1(TRANS32_DEP_1)
	v_rcp_f32_e32 v82, v81
	v_nop
	v_fma_f32 v83, -v81, v82, 1.0
	s_delay_alu instid0(VALU_DEP_1) | instskip(SKIP_1) | instid1(VALU_DEP_1)
	v_fmac_f32_e32 v82, v83, v82
	v_div_scale_f32 v83, vcc_lo, 1.0, v79, 1.0
	v_mul_f32_e32 v84, v83, v82
	s_delay_alu instid0(VALU_DEP_1) | instskip(NEXT) | instid1(VALU_DEP_1)
	v_fma_f32 v85, -v81, v84, v83
	v_fmac_f32_e32 v84, v85, v82
	s_delay_alu instid0(VALU_DEP_1) | instskip(NEXT) | instid1(VALU_DEP_1)
	v_fma_f32 v81, -v81, v84, v83
	v_div_fmas_f32 v81, v81, v82, v84
	s_delay_alu instid0(VALU_DEP_1) | instskip(NEXT) | instid1(VALU_DEP_1)
	v_div_fixup_f32 v81, v81, v79, 1.0
	v_xor_b32_e32 v79, 0x80000000, v81
	ds_store_b32 v80, v81
.LBB101_3:
	v_add_nc_u32_e32 v116, 0xa0, v4
	v_add_nc_u32_e32 v117, v5, v4
	s_cmp_eq_u32 s4, 0x79
	s_mov_b32 s1, -1
	ds_store_b32 v4, v79
	s_cbranch_scc1 .LBB101_367
; %bb.4:
	ds_load_b32 v79, v5 offset:144
	v_cmp_eq_u32_e64 s0, 37, v114
	s_wait_dscnt 0x0
	ds_store_b32 v116, v79
	s_wait_dscnt 0x0
	s_barrier_signal -1
	s_barrier_wait -1
	s_and_saveexec_b32 s1, s0
	s_cbranch_execz .LBB101_10
; %bb.5:
	s_and_b32 vcc_lo, exec_lo, s3
	s_cbranch_vccz .LBB101_7
; %bb.6:
	ds_load_b32 v79, v117
	ds_load_b32 v80, v116
	s_wait_dscnt 0x0
	v_mul_f32_e32 v79, v79, v80
	s_cbranch_execz .LBB101_8
	s_branch .LBB101_9
.LBB101_7:
                                        ; implicit-def: $vgpr79
.LBB101_8:
	ds_load_b32 v79, v116
.LBB101_9:
	v_mov_b32_e32 v80, 0
	ds_load_b32 v80, v80 offset:144
	s_wait_dscnt 0x0
	v_mul_f32_e32 v79, v79, v80
	ds_store_b32 v5, v79 offset:144
.LBB101_10:
	s_or_b32 exec_lo, exec_lo, s1
	ds_load_b32 v79, v5 offset:140
	v_cmp_lt_u32_e64 s1, 35, v114
	s_wait_dscnt 0x0
	ds_store_b32 v116, v79
	s_wait_dscnt 0x0
	s_barrier_signal -1
	s_barrier_wait -1
	s_and_saveexec_b32 s2, s1
	s_cbranch_execz .LBB101_16
; %bb.11:
	s_and_not1_b32 vcc_lo, exec_lo, s3
	s_cbranch_vccnz .LBB101_13
; %bb.12:
	ds_load_b32 v79, v117
	ds_load_b32 v80, v116
	s_wait_dscnt 0x0
	v_mul_f32_e32 v79, v79, v80
	s_cbranch_execz .LBB101_14
	s_branch .LBB101_15
.LBB101_13:
                                        ; implicit-def: $vgpr79
.LBB101_14:
	ds_load_b32 v79, v116
.LBB101_15:
	v_mov_b32_e32 v80, 0
	ds_load_b32 v82, v5 offset:144
	ds_load_2addr_b32 v[80:81], v80 offset0:35 offset1:76
	s_wait_dscnt 0x0
	v_fma_f32 v81, v82, v81, v79
	s_delay_alu instid0(VALU_DEP_1) | instskip(NEXT) | instid1(VALU_DEP_1)
	v_cndmask_b32_e64 v79, v79, v81, s0
	v_mul_f32_e32 v79, v79, v80
	ds_store_b32 v5, v79 offset:140
.LBB101_16:
	s_or_b32 exec_lo, exec_lo, s2
	ds_load_b32 v79, v5 offset:136
	v_cmp_lt_u32_e64 s0, 34, v114
	s_wait_dscnt 0x0
	ds_store_b32 v116, v79
	s_wait_dscnt 0x0
	s_barrier_signal -1
	s_barrier_wait -1
	s_and_saveexec_b32 s2, s0
	s_cbranch_execz .LBB101_26
; %bb.17:
	s_and_not1_b32 vcc_lo, exec_lo, s3
	s_cbranch_vccnz .LBB101_19
; %bb.18:
	ds_load_b32 v79, v117
	ds_load_b32 v80, v116
	s_wait_dscnt 0x0
	v_mul_f32_e32 v79, v79, v80
	s_cbranch_execz .LBB101_20
	s_branch .LBB101_21
.LBB101_19:
                                        ; implicit-def: $vgpr79
.LBB101_20:
	ds_load_b32 v79, v116
.LBB101_21:
	s_and_saveexec_b32 s4, s1
	s_cbranch_execz .LBB101_25
; %bb.22:
	s_movk_i32 s1, 0x98
	v_subrev_nc_u32_e32 v81, 35, v114
	v_mad_u32 v80, v78, s1, 0x1cc
	s_movk_i32 s5, 0x12c
	s_mov_b32 s1, 0
.LBB101_23:                             ; =>This Inner Loop Header: Depth=1
	s_delay_alu instid0(VALU_DEP_2)
	v_dual_mov_b32 v82, s5 :: v_dual_add_nc_u32 v81, -1, v81
	s_add_co_i32 s5, s5, 4
	ds_load_b32 v83, v80
	ds_load_b32 v82, v82
	v_add_nc_u32_e32 v80, 4, v80
	v_cmp_eq_u32_e32 vcc_lo, 0, v81
	s_or_b32 s1, vcc_lo, s1
	s_wait_dscnt 0x0
	v_fmac_f32_e32 v79, v83, v82
	s_and_not1_b32 exec_lo, exec_lo, s1
	s_cbranch_execnz .LBB101_23
; %bb.24:
	s_or_b32 exec_lo, exec_lo, s1
.LBB101_25:
	s_delay_alu instid0(SALU_CYCLE_1)
	s_or_b32 exec_lo, exec_lo, s4
	v_mov_b32_e32 v80, 0
	ds_load_b32 v80, v80 offset:136
	s_wait_dscnt 0x0
	v_mul_f32_e32 v79, v79, v80
	ds_store_b32 v5, v79 offset:136
.LBB101_26:
	s_or_b32 exec_lo, exec_lo, s2
	ds_load_b32 v79, v5 offset:132
	v_cmp_lt_u32_e64 s1, 33, v114
	s_wait_dscnt 0x0
	ds_store_b32 v116, v79
	s_wait_dscnt 0x0
	s_barrier_signal -1
	s_barrier_wait -1
	s_and_saveexec_b32 s2, s1
	s_cbranch_execz .LBB101_36
; %bb.27:
	s_and_not1_b32 vcc_lo, exec_lo, s3
	s_cbranch_vccnz .LBB101_29
; %bb.28:
	ds_load_b32 v79, v117
	ds_load_b32 v80, v116
	s_wait_dscnt 0x0
	v_mul_f32_e32 v79, v79, v80
	s_cbranch_execz .LBB101_30
	s_branch .LBB101_31
.LBB101_29:
                                        ; implicit-def: $vgpr79
.LBB101_30:
	ds_load_b32 v79, v116
.LBB101_31:
	s_and_saveexec_b32 s4, s0
	s_cbranch_execz .LBB101_35
; %bb.32:
	s_movk_i32 s0, 0x98
	v_subrev_nc_u32_e32 v81, 34, v114
	v_mad_u32 v80, v78, s0, 0x1c8
	s_movk_i32 s5, 0x128
	s_mov_b32 s0, 0
.LBB101_33:                             ; =>This Inner Loop Header: Depth=1
	s_delay_alu instid0(VALU_DEP_2)
	v_dual_mov_b32 v82, s5 :: v_dual_add_nc_u32 v81, -1, v81
	s_add_co_i32 s5, s5, 4
	ds_load_b32 v83, v80
	ds_load_b32 v82, v82
	v_add_nc_u32_e32 v80, 4, v80
	v_cmp_eq_u32_e32 vcc_lo, 0, v81
	s_or_b32 s0, vcc_lo, s0
	s_wait_dscnt 0x0
	v_fmac_f32_e32 v79, v83, v82
	s_and_not1_b32 exec_lo, exec_lo, s0
	s_cbranch_execnz .LBB101_33
; %bb.34:
	s_or_b32 exec_lo, exec_lo, s0
.LBB101_35:
	s_delay_alu instid0(SALU_CYCLE_1)
	s_or_b32 exec_lo, exec_lo, s4
	v_mov_b32_e32 v80, 0
	ds_load_b32 v80, v80 offset:132
	s_wait_dscnt 0x0
	v_mul_f32_e32 v79, v79, v80
	ds_store_b32 v5, v79 offset:132
.LBB101_36:
	;; [unrolled: 57-line block ×8, first 2 shown]
	s_or_b32 exec_lo, exec_lo, s2
	ds_load_b32 v79, v5 offset:104
	v_cmp_lt_u32_e64 s0, 26, v114
	s_wait_dscnt 0x0
	ds_store_b32 v116, v79
	s_wait_dscnt 0x0
	s_barrier_signal -1
	s_barrier_wait -1
	s_and_saveexec_b32 s2, s0
	s_cbranch_execz .LBB101_106
; %bb.97:
	s_and_not1_b32 vcc_lo, exec_lo, s3
	s_cbranch_vccnz .LBB101_99
; %bb.98:
	ds_load_b32 v79, v117
	ds_load_b32 v80, v116
	s_wait_dscnt 0x0
	v_mul_f32_e32 v79, v79, v80
	s_cbranch_execz .LBB101_100
	s_branch .LBB101_101
.LBB101_99:
                                        ; implicit-def: $vgpr79
.LBB101_100:
	ds_load_b32 v79, v116
.LBB101_101:
	s_and_saveexec_b32 s4, s1
	s_cbranch_execz .LBB101_105
; %bb.102:
	s_movk_i32 s1, 0x98
	v_subrev_nc_u32_e32 v81, 27, v114
	v_mad_u32 v80, v78, s1, 0x1ac
	s_movk_i32 s5, 0x10c
	s_mov_b32 s1, 0
.LBB101_103:                            ; =>This Inner Loop Header: Depth=1
	s_delay_alu instid0(VALU_DEP_2)
	v_dual_mov_b32 v82, s5 :: v_dual_add_nc_u32 v81, -1, v81
	s_add_co_i32 s5, s5, 4
	ds_load_b32 v83, v80
	ds_load_b32 v82, v82
	v_add_nc_u32_e32 v80, 4, v80
	v_cmp_eq_u32_e32 vcc_lo, 0, v81
	s_or_b32 s1, vcc_lo, s1
	s_wait_dscnt 0x0
	v_fmac_f32_e32 v79, v83, v82
	s_and_not1_b32 exec_lo, exec_lo, s1
	s_cbranch_execnz .LBB101_103
; %bb.104:
	s_or_b32 exec_lo, exec_lo, s1
.LBB101_105:
	s_delay_alu instid0(SALU_CYCLE_1)
	s_or_b32 exec_lo, exec_lo, s4
	v_mov_b32_e32 v80, 0
	ds_load_b32 v80, v80 offset:104
	s_wait_dscnt 0x0
	v_mul_f32_e32 v79, v79, v80
	ds_store_b32 v5, v79 offset:104
.LBB101_106:
	s_or_b32 exec_lo, exec_lo, s2
	ds_load_b32 v79, v5 offset:100
	v_cmp_lt_u32_e64 s1, 25, v114
	s_wait_dscnt 0x0
	ds_store_b32 v116, v79
	s_wait_dscnt 0x0
	s_barrier_signal -1
	s_barrier_wait -1
	s_and_saveexec_b32 s2, s1
	s_cbranch_execz .LBB101_116
; %bb.107:
	s_and_not1_b32 vcc_lo, exec_lo, s3
	s_cbranch_vccnz .LBB101_109
; %bb.108:
	ds_load_b32 v79, v117
	ds_load_b32 v80, v116
	s_wait_dscnt 0x0
	v_mul_f32_e32 v79, v79, v80
	s_cbranch_execz .LBB101_110
	s_branch .LBB101_111
.LBB101_109:
                                        ; implicit-def: $vgpr79
.LBB101_110:
	ds_load_b32 v79, v116
.LBB101_111:
	s_and_saveexec_b32 s4, s0
	s_cbranch_execz .LBB101_115
; %bb.112:
	s_movk_i32 s0, 0x98
	v_subrev_nc_u32_e32 v81, 26, v114
	v_mad_u32 v80, v78, s0, 0x1a8
	s_movk_i32 s5, 0x108
	s_mov_b32 s0, 0
.LBB101_113:                            ; =>This Inner Loop Header: Depth=1
	s_delay_alu instid0(VALU_DEP_2)
	v_dual_mov_b32 v82, s5 :: v_dual_add_nc_u32 v81, -1, v81
	s_add_co_i32 s5, s5, 4
	ds_load_b32 v83, v80
	ds_load_b32 v82, v82
	v_add_nc_u32_e32 v80, 4, v80
	v_cmp_eq_u32_e32 vcc_lo, 0, v81
	s_or_b32 s0, vcc_lo, s0
	s_wait_dscnt 0x0
	v_fmac_f32_e32 v79, v83, v82
	s_and_not1_b32 exec_lo, exec_lo, s0
	s_cbranch_execnz .LBB101_113
; %bb.114:
	s_or_b32 exec_lo, exec_lo, s0
.LBB101_115:
	s_delay_alu instid0(SALU_CYCLE_1)
	s_or_b32 exec_lo, exec_lo, s4
	v_mov_b32_e32 v80, 0
	ds_load_b32 v80, v80 offset:100
	s_wait_dscnt 0x0
	v_mul_f32_e32 v79, v79, v80
	ds_store_b32 v5, v79 offset:100
.LBB101_116:
	;; [unrolled: 57-line block ×11, first 2 shown]
	s_or_b32 exec_lo, exec_lo, s2
	ds_load_b32 v79, v5 offset:60
	v_cmp_lt_u32_e64 s1, 15, v114
	s_wait_dscnt 0x0
	ds_store_b32 v116, v79
	s_wait_dscnt 0x0
	s_barrier_signal -1
	s_barrier_wait -1
	s_and_saveexec_b32 s2, s1
	s_cbranch_execz .LBB101_216
; %bb.207:
	s_and_not1_b32 vcc_lo, exec_lo, s3
	s_cbranch_vccnz .LBB101_209
; %bb.208:
	ds_load_b32 v79, v117
	ds_load_b32 v80, v116
	s_wait_dscnt 0x0
	v_mul_f32_e32 v79, v79, v80
	s_cbranch_execz .LBB101_210
	s_branch .LBB101_211
.LBB101_209:
                                        ; implicit-def: $vgpr79
.LBB101_210:
	ds_load_b32 v79, v116
.LBB101_211:
	s_and_saveexec_b32 s4, s0
	s_cbranch_execz .LBB101_215
; %bb.212:
	s_movk_i32 s0, 0x98
	v_add_nc_u32_e32 v81, -16, v114
	v_mad_u32 v80, v78, s0, 0x180
	s_movk_i32 s5, 0xe0
	s_mov_b32 s0, 0
.LBB101_213:                            ; =>This Inner Loop Header: Depth=1
	s_delay_alu instid0(VALU_DEP_2)
	v_dual_mov_b32 v82, s5 :: v_dual_add_nc_u32 v81, -1, v81
	s_add_co_i32 s5, s5, 4
	ds_load_b32 v83, v80
	ds_load_b32 v82, v82
	v_add_nc_u32_e32 v80, 4, v80
	v_cmp_eq_u32_e32 vcc_lo, 0, v81
	s_or_b32 s0, vcc_lo, s0
	s_wait_dscnt 0x0
	v_fmac_f32_e32 v79, v83, v82
	s_and_not1_b32 exec_lo, exec_lo, s0
	s_cbranch_execnz .LBB101_213
; %bb.214:
	s_or_b32 exec_lo, exec_lo, s0
.LBB101_215:
	s_delay_alu instid0(SALU_CYCLE_1)
	s_or_b32 exec_lo, exec_lo, s4
	v_mov_b32_e32 v80, 0
	ds_load_b32 v80, v80 offset:60
	s_wait_dscnt 0x0
	v_mul_f32_e32 v79, v79, v80
	ds_store_b32 v5, v79 offset:60
.LBB101_216:
	s_or_b32 exec_lo, exec_lo, s2
	ds_load_b32 v79, v5 offset:56
	v_cmp_lt_u32_e64 s0, 14, v114
	s_wait_dscnt 0x0
	ds_store_b32 v116, v79
	s_wait_dscnt 0x0
	s_barrier_signal -1
	s_barrier_wait -1
	s_and_saveexec_b32 s2, s0
	s_cbranch_execz .LBB101_226
; %bb.217:
	s_and_not1_b32 vcc_lo, exec_lo, s3
	s_cbranch_vccnz .LBB101_219
; %bb.218:
	ds_load_b32 v79, v117
	ds_load_b32 v80, v116
	s_wait_dscnt 0x0
	v_mul_f32_e32 v79, v79, v80
	s_cbranch_execz .LBB101_220
	s_branch .LBB101_221
.LBB101_219:
                                        ; implicit-def: $vgpr79
.LBB101_220:
	ds_load_b32 v79, v116
.LBB101_221:
	s_and_saveexec_b32 s4, s1
	s_cbranch_execz .LBB101_225
; %bb.222:
	s_movk_i32 s1, 0x98
	v_add_nc_u32_e32 v81, -15, v114
	v_mad_u32 v80, v78, s1, 0x17c
	s_movk_i32 s5, 0xdc
	s_mov_b32 s1, 0
.LBB101_223:                            ; =>This Inner Loop Header: Depth=1
	s_delay_alu instid0(VALU_DEP_2)
	v_dual_mov_b32 v82, s5 :: v_dual_add_nc_u32 v81, -1, v81
	s_add_co_i32 s5, s5, 4
	ds_load_b32 v83, v80
	ds_load_b32 v82, v82
	v_add_nc_u32_e32 v80, 4, v80
	v_cmp_eq_u32_e32 vcc_lo, 0, v81
	s_or_b32 s1, vcc_lo, s1
	s_wait_dscnt 0x0
	v_fmac_f32_e32 v79, v83, v82
	s_and_not1_b32 exec_lo, exec_lo, s1
	s_cbranch_execnz .LBB101_223
; %bb.224:
	s_or_b32 exec_lo, exec_lo, s1
.LBB101_225:
	s_delay_alu instid0(SALU_CYCLE_1)
	s_or_b32 exec_lo, exec_lo, s4
	v_mov_b32_e32 v80, 0
	ds_load_b32 v80, v80 offset:56
	s_wait_dscnt 0x0
	v_mul_f32_e32 v79, v79, v80
	ds_store_b32 v5, v79 offset:56
.LBB101_226:
	;; [unrolled: 57-line block ×15, first 2 shown]
	s_or_b32 exec_lo, exec_lo, s1
	ds_load_b32 v79, v5
	s_mov_b32 s1, 0
	s_mov_b32 s2, exec_lo
	s_wait_dscnt 0x0
	ds_store_b32 v116, v79
	s_wait_dscnt 0x0
	s_barrier_signal -1
	s_barrier_wait -1
	v_cmpx_ne_u32_e32 0, v114
	s_cbranch_execz .LBB101_366
; %bb.357:
	s_and_not1_b32 vcc_lo, exec_lo, s3
	s_cbranch_vccnz .LBB101_359
; %bb.358:
	ds_load_b32 v79, v117
	ds_load_b32 v80, v116
	s_wait_dscnt 0x0
	v_mul_f32_e32 v79, v79, v80
	s_cbranch_execz .LBB101_360
	s_branch .LBB101_361
.LBB101_359:
                                        ; implicit-def: $vgpr79
.LBB101_360:
	ds_load_b32 v79, v116
.LBB101_361:
	s_and_saveexec_b32 s4, s0
	s_cbranch_execz .LBB101_365
; %bb.362:
	s_movk_i32 s0, 0x98
	v_add_nc_u32_e32 v80, -1, v114
	v_mad_u32 v78, v78, s0, 0x144
	s_movk_i32 s5, 0xa4
	s_mov_b32 s0, 0
.LBB101_363:                            ; =>This Inner Loop Header: Depth=1
	s_delay_alu instid0(VALU_DEP_2)
	v_dual_mov_b32 v81, s5 :: v_dual_add_nc_u32 v80, -1, v80
	s_add_co_i32 s5, s5, 4
	ds_load_b32 v82, v78
	ds_load_b32 v81, v81
	v_add_nc_u32_e32 v78, 4, v78
	v_cmp_eq_u32_e32 vcc_lo, 0, v80
	s_or_b32 s0, vcc_lo, s0
	s_wait_dscnt 0x0
	v_fmac_f32_e32 v79, v82, v81
	s_and_not1_b32 exec_lo, exec_lo, s0
	s_cbranch_execnz .LBB101_363
; %bb.364:
	s_or_b32 exec_lo, exec_lo, s0
.LBB101_365:
	s_delay_alu instid0(SALU_CYCLE_1)
	s_or_b32 exec_lo, exec_lo, s4
	v_mov_b32_e32 v78, 0
	ds_load_b32 v78, v78
	s_wait_dscnt 0x0
	v_mul_f32_e32 v78, v79, v78
	ds_store_b32 v5, v78
.LBB101_366:
	s_or_b32 exec_lo, exec_lo, s2
.LBB101_367:
	v_lshl_add_u64 v[112:113], v[6:7], 2, s[6:7]
	v_lshl_add_u64 v[110:111], v[8:9], 2, s[6:7]
	;; [unrolled: 1-line block ×36, first 2 shown]
	s_and_b32 vcc_lo, exec_lo, s1
	s_cbranch_vccz .LBB101_729
; %bb.368:
	ds_load_b32 v42, v5 offset:4
	v_cmp_eq_u32_e64 s0, 0, v114
	s_wait_dscnt 0x0
	ds_store_b32 v116, v42
	s_wait_dscnt 0x0
	s_barrier_signal -1
	s_barrier_wait -1
	s_and_saveexec_b32 s1, s0
	s_cbranch_execz .LBB101_374
; %bb.369:
	s_and_b32 vcc_lo, exec_lo, s3
	s_cbranch_vccz .LBB101_371
; %bb.370:
	ds_load_b32 v42, v117
	ds_load_b32 v43, v116
	s_wait_dscnt 0x0
	v_mul_f32_e32 v42, v42, v43
	s_cbranch_execz .LBB101_372
	s_branch .LBB101_373
.LBB101_371:
                                        ; implicit-def: $vgpr42
.LBB101_372:
	ds_load_b32 v42, v116
.LBB101_373:
	v_mov_b32_e32 v43, 0
	ds_load_b32 v43, v43 offset:4
	s_wait_dscnt 0x0
	v_mul_f32_e32 v42, v42, v43
	ds_store_b32 v5, v42 offset:4
.LBB101_374:
	s_or_b32 exec_lo, exec_lo, s1
	ds_load_b32 v43, v5 offset:8
	v_cndmask_b32_e64 v42, 0, 1, s3
	s_mov_b32 s1, exec_lo
	s_wait_dscnt 0x0
	ds_store_b32 v116, v43
	s_wait_dscnt 0x0
	s_barrier_signal -1
	s_barrier_wait -1
	v_cmpx_gt_u32_e32 2, v114
	s_cbranch_execz .LBB101_380
; %bb.375:
	s_and_not1_b32 vcc_lo, exec_lo, s3
	s_cbranch_vccnz .LBB101_377
; %bb.376:
	ds_load_b32 v43, v117
	ds_load_b32 v44, v116
	s_wait_dscnt 0x0
	v_mul_f32_e32 v43, v43, v44
	s_cbranch_execz .LBB101_378
	s_branch .LBB101_379
.LBB101_377:
                                        ; implicit-def: $vgpr43
.LBB101_378:
	ds_load_b32 v43, v116
.LBB101_379:
	v_mov_b32_e32 v44, 0
	ds_load_b32 v46, v5 offset:4
	ds_load_2addr_b32 v[44:45], v44 offset0:2 offset1:41
	s_wait_dscnt 0x0
	v_fma_f32 v45, v46, v45, v43
	s_delay_alu instid0(VALU_DEP_1) | instskip(NEXT) | instid1(VALU_DEP_1)
	v_cndmask_b32_e64 v43, v43, v45, s0
	v_mul_f32_e32 v43, v43, v44
	ds_store_b32 v5, v43 offset:8
.LBB101_380:
	s_or_b32 exec_lo, exec_lo, s1
	ds_load_b32 v43, v5 offset:12
	s_mov_b32 s1, exec_lo
	s_wait_dscnt 0x0
	ds_store_b32 v116, v43
	s_wait_dscnt 0x0
	s_barrier_signal -1
	s_barrier_wait -1
	v_cmpx_gt_u32_e32 3, v114
	s_cbranch_execz .LBB101_388
; %bb.381:
	v_cmp_ne_u32_e32 vcc_lo, 1, v42
	s_cbranch_vccnz .LBB101_383
; %bb.382:
	ds_load_b32 v43, v117
	ds_load_b32 v44, v116
	s_wait_dscnt 0x0
	v_mul_f32_e32 v43, v43, v44
	s_cbranch_execz .LBB101_384
	s_branch .LBB101_385
.LBB101_383:
                                        ; implicit-def: $vgpr43
.LBB101_384:
	ds_load_b32 v43, v116
.LBB101_385:
	s_mov_b32 s2, exec_lo
	v_cmpx_ne_u32_e32 2, v114
	s_cbranch_execz .LBB101_387
; %bb.386:
	ds_load_b32 v44, v117 offset:4
	ds_load_b32 v45, v116 offset:4
	s_wait_dscnt 0x0
	v_dual_mov_b32 v46, 0 :: v_dual_fmac_f32 v43, v44, v45
	ds_load_b32 v47, v5 offset:8
	ds_load_b32 v46, v46 offset:168
	s_wait_dscnt 0x0
	v_fma_f32 v44, v47, v46, v43
	s_delay_alu instid0(VALU_DEP_1)
	v_cndmask_b32_e64 v43, v43, v44, s0
.LBB101_387:
	s_or_b32 exec_lo, exec_lo, s2
	v_mov_b32_e32 v44, 0
	ds_load_b32 v44, v44 offset:12
	s_wait_dscnt 0x0
	v_mul_f32_e32 v43, v43, v44
	ds_store_b32 v5, v43 offset:12
.LBB101_388:
	s_or_b32 exec_lo, exec_lo, s1
	ds_load_b32 v43, v5 offset:16
	s_mov_b32 s0, exec_lo
	s_wait_dscnt 0x0
	ds_store_b32 v116, v43
	s_wait_dscnt 0x0
	s_barrier_signal -1
	s_barrier_wait -1
	v_cmpx_gt_u32_e32 4, v114
	s_cbranch_execz .LBB101_398
; %bb.389:
	v_cmp_ne_u32_e32 vcc_lo, 1, v42
	s_cbranch_vccnz .LBB101_391
; %bb.390:
	ds_load_b32 v43, v117
	ds_load_b32 v44, v116
	s_wait_dscnt 0x0
	v_mul_f32_e32 v43, v43, v44
	s_cbranch_execz .LBB101_392
	s_branch .LBB101_393
.LBB101_391:
                                        ; implicit-def: $vgpr43
.LBB101_392:
	ds_load_b32 v43, v116
.LBB101_393:
	s_mov_b32 s1, exec_lo
	v_cmpx_ne_u32_e32 3, v114
	s_cbranch_execz .LBB101_397
; %bb.394:
	v_add_nc_u32_e32 v44, 0xa4, v4
	v_add3_u32 v45, v115, v4, 0x144
	v_mov_b32_e32 v46, v114
	s_mov_b32 s2, 0
.LBB101_395:                            ; =>This Inner Loop Header: Depth=1
	ds_load_b32 v47, v45
	ds_load_b32 v48, v44
	v_dual_add_nc_u32 v46, 1, v46 :: v_dual_add_nc_u32 v44, 4, v44
	v_add_nc_u32_e32 v45, 4, v45
	s_delay_alu instid0(VALU_DEP_2)
	v_cmp_lt_u32_e32 vcc_lo, 2, v46
	s_or_b32 s2, vcc_lo, s2
	s_wait_dscnt 0x0
	v_fmac_f32_e32 v43, v47, v48
	s_and_not1_b32 exec_lo, exec_lo, s2
	s_cbranch_execnz .LBB101_395
; %bb.396:
	s_or_b32 exec_lo, exec_lo, s2
.LBB101_397:
	s_delay_alu instid0(SALU_CYCLE_1)
	s_or_b32 exec_lo, exec_lo, s1
	v_mov_b32_e32 v44, 0
	ds_load_b32 v44, v44 offset:16
	s_wait_dscnt 0x0
	v_mul_f32_e32 v43, v43, v44
	ds_store_b32 v5, v43 offset:16
.LBB101_398:
	s_or_b32 exec_lo, exec_lo, s0
	ds_load_b32 v43, v5 offset:20
	s_mov_b32 s0, exec_lo
	s_wait_dscnt 0x0
	ds_store_b32 v116, v43
	s_wait_dscnt 0x0
	s_barrier_signal -1
	s_barrier_wait -1
	v_cmpx_gt_u32_e32 5, v114
	s_cbranch_execz .LBB101_408
; %bb.399:
	v_cmp_ne_u32_e32 vcc_lo, 1, v42
	s_cbranch_vccnz .LBB101_401
; %bb.400:
	ds_load_b32 v43, v117
	ds_load_b32 v44, v116
	s_wait_dscnt 0x0
	v_mul_f32_e32 v43, v43, v44
	s_cbranch_execz .LBB101_402
	s_branch .LBB101_403
.LBB101_401:
                                        ; implicit-def: $vgpr43
.LBB101_402:
	ds_load_b32 v43, v116
.LBB101_403:
	s_mov_b32 s1, exec_lo
	v_cmpx_ne_u32_e32 4, v114
	s_cbranch_execz .LBB101_407
; %bb.404:
	v_add_nc_u32_e32 v44, 0xa4, v4
	v_add3_u32 v45, v115, v4, 0x144
	v_mov_b32_e32 v46, v114
	s_mov_b32 s2, 0
.LBB101_405:                            ; =>This Inner Loop Header: Depth=1
	ds_load_b32 v47, v45
	ds_load_b32 v48, v44
	v_dual_add_nc_u32 v46, 1, v46 :: v_dual_add_nc_u32 v44, 4, v44
	v_add_nc_u32_e32 v45, 4, v45
	s_delay_alu instid0(VALU_DEP_2)
	v_cmp_lt_u32_e32 vcc_lo, 3, v46
	s_or_b32 s2, vcc_lo, s2
	s_wait_dscnt 0x0
	v_fmac_f32_e32 v43, v47, v48
	s_and_not1_b32 exec_lo, exec_lo, s2
	s_cbranch_execnz .LBB101_405
; %bb.406:
	s_or_b32 exec_lo, exec_lo, s2
.LBB101_407:
	s_delay_alu instid0(SALU_CYCLE_1)
	s_or_b32 exec_lo, exec_lo, s1
	v_mov_b32_e32 v44, 0
	ds_load_b32 v44, v44 offset:20
	s_wait_dscnt 0x0
	v_mul_f32_e32 v43, v43, v44
	ds_store_b32 v5, v43 offset:20
.LBB101_408:
	;; [unrolled: 56-line block ×32, first 2 shown]
	s_or_b32 exec_lo, exec_lo, s0
	ds_load_b32 v43, v5 offset:144
	v_cmp_gt_u32_e64 s0, 36, v114
	s_wait_dscnt 0x0
	ds_store_b32 v116, v43
	s_wait_dscnt 0x0
	s_barrier_signal -1
	s_barrier_wait -1
	s_and_saveexec_b32 s1, s0
	s_cbranch_execz .LBB101_718
; %bb.709:
	v_cmp_ne_u32_e32 vcc_lo, 1, v42
	s_cbranch_vccnz .LBB101_711
; %bb.710:
	ds_load_b32 v43, v117
	ds_load_b32 v44, v116
	s_wait_dscnt 0x0
	v_mul_f32_e32 v43, v43, v44
	s_cbranch_execz .LBB101_712
	s_branch .LBB101_713
.LBB101_711:
                                        ; implicit-def: $vgpr43
.LBB101_712:
	ds_load_b32 v43, v116
.LBB101_713:
	s_mov_b32 s2, exec_lo
	v_cmpx_ne_u32_e32 35, v114
	s_cbranch_execz .LBB101_717
; %bb.714:
	v_add_nc_u32_e32 v44, 0xa4, v4
	v_add3_u32 v45, v115, v4, 0x144
	v_mov_b32_e32 v46, v114
	s_mov_b32 s3, 0
.LBB101_715:                            ; =>This Inner Loop Header: Depth=1
	ds_load_b32 v47, v45
	ds_load_b32 v48, v44
	v_dual_add_nc_u32 v46, 1, v46 :: v_dual_add_nc_u32 v44, 4, v44
	v_add_nc_u32_e32 v45, 4, v45
	s_delay_alu instid0(VALU_DEP_2)
	v_cmp_lt_u32_e32 vcc_lo, 34, v46
	s_or_b32 s3, vcc_lo, s3
	s_wait_dscnt 0x0
	v_fmac_f32_e32 v43, v47, v48
	s_and_not1_b32 exec_lo, exec_lo, s3
	s_cbranch_execnz .LBB101_715
; %bb.716:
	s_or_b32 exec_lo, exec_lo, s3
.LBB101_717:
	s_delay_alu instid0(SALU_CYCLE_1)
	s_or_b32 exec_lo, exec_lo, s2
	v_mov_b32_e32 v44, 0
	ds_load_b32 v44, v44 offset:144
	s_wait_dscnt 0x0
	v_mul_f32_e32 v43, v43, v44
	ds_store_b32 v5, v43 offset:144
.LBB101_718:
	s_or_b32 exec_lo, exec_lo, s1
	ds_load_b32 v43, v5 offset:148
	s_mov_b32 s1, exec_lo
	s_wait_dscnt 0x0
	ds_store_b32 v116, v43
	s_wait_dscnt 0x0
	s_barrier_signal -1
	s_barrier_wait -1
	v_cmpx_ne_u32_e32 37, v114
	s_cbranch_execz .LBB101_728
; %bb.719:
	v_cmp_ne_u32_e32 vcc_lo, 1, v42
	s_cbranch_vccnz .LBB101_721
; %bb.720:
	ds_load_b32 v42, v117
	ds_load_b32 v43, v116
	s_wait_dscnt 0x0
	v_mul_f32_e32 v42, v42, v43
	s_cbranch_execz .LBB101_722
	s_branch .LBB101_723
.LBB101_721:
                                        ; implicit-def: $vgpr42
.LBB101_722:
	ds_load_b32 v42, v116
.LBB101_723:
	s_and_saveexec_b32 s2, s0
	s_cbranch_execz .LBB101_727
; %bb.724:
	v_add_nc_u32_e32 v43, 0xa4, v4
	v_add3_u32 v4, v115, v4, 0x144
	s_mov_b32 s0, 0
.LBB101_725:                            ; =>This Inner Loop Header: Depth=1
	ds_load_b32 v44, v4
	ds_load_b32 v45, v43
	v_dual_add_nc_u32 v114, 1, v114 :: v_dual_add_nc_u32 v43, 4, v43
	v_add_nc_u32_e32 v4, 4, v4
	s_delay_alu instid0(VALU_DEP_2)
	v_cmp_lt_u32_e32 vcc_lo, 35, v114
	s_or_b32 s0, vcc_lo, s0
	s_wait_dscnt 0x0
	v_fmac_f32_e32 v42, v44, v45
	s_and_not1_b32 exec_lo, exec_lo, s0
	s_cbranch_execnz .LBB101_725
; %bb.726:
	s_or_b32 exec_lo, exec_lo, s0
.LBB101_727:
	s_delay_alu instid0(SALU_CYCLE_1)
	s_or_b32 exec_lo, exec_lo, s2
	v_mov_b32_e32 v4, 0
	ds_load_b32 v4, v4 offset:148
	s_wait_dscnt 0x0
	v_mul_f32_e32 v4, v42, v4
	ds_store_b32 v5, v4 offset:148
.LBB101_728:
	s_or_b32 exec_lo, exec_lo, s1
.LBB101_729:
	ds_load_b32 v4, v5
	s_wait_dscnt 0x0
	flat_store_b32 v[0:1], v4
	s_wait_xcnt 0x0
	ds_load_b32 v0, v5 offset:4
	s_wait_dscnt 0x0
	flat_store_b32 v[2:3], v0
	s_wait_xcnt 0x0
	ds_load_b32 v0, v5 offset:8
	;; [unrolled: 4-line block ×37, first 2 shown]
	s_wait_dscnt 0x0
	flat_store_b32 v[6:7], v0
.LBB101_730:
	s_sendmsg sendmsg(MSG_DEALLOC_VGPRS)
	s_endpgm
	.section	.rodata,"a",@progbits
	.p2align	6, 0x0
	.amdhsa_kernel _ZN9rocsolver6v33100L18trti2_kernel_smallILi38EfPKPfEEv13rocblas_fill_17rocblas_diagonal_T1_iil
		.amdhsa_group_segment_fixed_size 10048
		.amdhsa_private_segment_fixed_size 0
		.amdhsa_kernarg_size 32
		.amdhsa_user_sgpr_count 4
		.amdhsa_user_sgpr_dispatch_ptr 1
		.amdhsa_user_sgpr_queue_ptr 0
		.amdhsa_user_sgpr_kernarg_segment_ptr 1
		.amdhsa_user_sgpr_dispatch_id 0
		.amdhsa_user_sgpr_kernarg_preload_length 0
		.amdhsa_user_sgpr_kernarg_preload_offset 0
		.amdhsa_user_sgpr_private_segment_size 0
		.amdhsa_wavefront_size32 1
		.amdhsa_uses_dynamic_stack 0
		.amdhsa_enable_private_segment 0
		.amdhsa_system_sgpr_workgroup_id_x 1
		.amdhsa_system_sgpr_workgroup_id_y 0
		.amdhsa_system_sgpr_workgroup_id_z 0
		.amdhsa_system_sgpr_workgroup_info 0
		.amdhsa_system_vgpr_workitem_id 2
		.amdhsa_next_free_vgpr 118
		.amdhsa_next_free_sgpr 12
		.amdhsa_named_barrier_count 0
		.amdhsa_reserve_vcc 1
		.amdhsa_float_round_mode_32 0
		.amdhsa_float_round_mode_16_64 0
		.amdhsa_float_denorm_mode_32 3
		.amdhsa_float_denorm_mode_16_64 3
		.amdhsa_fp16_overflow 0
		.amdhsa_memory_ordered 1
		.amdhsa_forward_progress 1
		.amdhsa_inst_pref_size 159
		.amdhsa_round_robin_scheduling 0
		.amdhsa_exception_fp_ieee_invalid_op 0
		.amdhsa_exception_fp_denorm_src 0
		.amdhsa_exception_fp_ieee_div_zero 0
		.amdhsa_exception_fp_ieee_overflow 0
		.amdhsa_exception_fp_ieee_underflow 0
		.amdhsa_exception_fp_ieee_inexact 0
		.amdhsa_exception_int_div_zero 0
	.end_amdhsa_kernel
	.section	.text._ZN9rocsolver6v33100L18trti2_kernel_smallILi38EfPKPfEEv13rocblas_fill_17rocblas_diagonal_T1_iil,"axG",@progbits,_ZN9rocsolver6v33100L18trti2_kernel_smallILi38EfPKPfEEv13rocblas_fill_17rocblas_diagonal_T1_iil,comdat
.Lfunc_end101:
	.size	_ZN9rocsolver6v33100L18trti2_kernel_smallILi38EfPKPfEEv13rocblas_fill_17rocblas_diagonal_T1_iil, .Lfunc_end101-_ZN9rocsolver6v33100L18trti2_kernel_smallILi38EfPKPfEEv13rocblas_fill_17rocblas_diagonal_T1_iil
                                        ; -- End function
	.set _ZN9rocsolver6v33100L18trti2_kernel_smallILi38EfPKPfEEv13rocblas_fill_17rocblas_diagonal_T1_iil.num_vgpr, 118
	.set _ZN9rocsolver6v33100L18trti2_kernel_smallILi38EfPKPfEEv13rocblas_fill_17rocblas_diagonal_T1_iil.num_agpr, 0
	.set _ZN9rocsolver6v33100L18trti2_kernel_smallILi38EfPKPfEEv13rocblas_fill_17rocblas_diagonal_T1_iil.numbered_sgpr, 12
	.set _ZN9rocsolver6v33100L18trti2_kernel_smallILi38EfPKPfEEv13rocblas_fill_17rocblas_diagonal_T1_iil.num_named_barrier, 0
	.set _ZN9rocsolver6v33100L18trti2_kernel_smallILi38EfPKPfEEv13rocblas_fill_17rocblas_diagonal_T1_iil.private_seg_size, 0
	.set _ZN9rocsolver6v33100L18trti2_kernel_smallILi38EfPKPfEEv13rocblas_fill_17rocblas_diagonal_T1_iil.uses_vcc, 1
	.set _ZN9rocsolver6v33100L18trti2_kernel_smallILi38EfPKPfEEv13rocblas_fill_17rocblas_diagonal_T1_iil.uses_flat_scratch, 0
	.set _ZN9rocsolver6v33100L18trti2_kernel_smallILi38EfPKPfEEv13rocblas_fill_17rocblas_diagonal_T1_iil.has_dyn_sized_stack, 0
	.set _ZN9rocsolver6v33100L18trti2_kernel_smallILi38EfPKPfEEv13rocblas_fill_17rocblas_diagonal_T1_iil.has_recursion, 0
	.set _ZN9rocsolver6v33100L18trti2_kernel_smallILi38EfPKPfEEv13rocblas_fill_17rocblas_diagonal_T1_iil.has_indirect_call, 0
	.section	.AMDGPU.csdata,"",@progbits
; Kernel info:
; codeLenInByte = 20240
; TotalNumSgprs: 14
; NumVgprs: 118
; ScratchSize: 0
; MemoryBound: 0
; FloatMode: 240
; IeeeMode: 1
; LDSByteSize: 10048 bytes/workgroup (compile time only)
; SGPRBlocks: 0
; VGPRBlocks: 7
; NumSGPRsForWavesPerEU: 14
; NumVGPRsForWavesPerEU: 118
; NamedBarCnt: 0
; Occupancy: 8
; WaveLimiterHint : 1
; COMPUTE_PGM_RSRC2:SCRATCH_EN: 0
; COMPUTE_PGM_RSRC2:USER_SGPR: 4
; COMPUTE_PGM_RSRC2:TRAP_HANDLER: 0
; COMPUTE_PGM_RSRC2:TGID_X_EN: 1
; COMPUTE_PGM_RSRC2:TGID_Y_EN: 0
; COMPUTE_PGM_RSRC2:TGID_Z_EN: 0
; COMPUTE_PGM_RSRC2:TIDIG_COMP_CNT: 2
	.section	.text._ZN9rocsolver6v33100L18trti2_kernel_smallILi39EfPKPfEEv13rocblas_fill_17rocblas_diagonal_T1_iil,"axG",@progbits,_ZN9rocsolver6v33100L18trti2_kernel_smallILi39EfPKPfEEv13rocblas_fill_17rocblas_diagonal_T1_iil,comdat
	.globl	_ZN9rocsolver6v33100L18trti2_kernel_smallILi39EfPKPfEEv13rocblas_fill_17rocblas_diagonal_T1_iil ; -- Begin function _ZN9rocsolver6v33100L18trti2_kernel_smallILi39EfPKPfEEv13rocblas_fill_17rocblas_diagonal_T1_iil
	.p2align	8
	.type	_ZN9rocsolver6v33100L18trti2_kernel_smallILi39EfPKPfEEv13rocblas_fill_17rocblas_diagonal_T1_iil,@function
_ZN9rocsolver6v33100L18trti2_kernel_smallILi39EfPKPfEEv13rocblas_fill_17rocblas_diagonal_T1_iil: ; @_ZN9rocsolver6v33100L18trti2_kernel_smallILi39EfPKPfEEv13rocblas_fill_17rocblas_diagonal_T1_iil
; %bb.0:
	s_mov_b32 s2, exec_lo
	v_cmpx_gt_u32_e32 39, v0
	s_cbranch_execz .LBB102_750
; %bb.1:
	s_clause 0x1
	s_load_b64 s[8:9], s[0:1], 0x10
	s_load_b128 s[4:7], s[0:1], 0x0
	s_wait_xcnt 0x0
	s_bfe_u32 s0, ttmp6, 0x4000c
	s_and_b32 s1, ttmp6, 15
	s_add_co_i32 s0, s0, 1
	s_getreg_b32 s2, hwreg(HW_REG_IB_STS2, 6, 4)
	s_mul_i32 s0, ttmp9, s0
	v_dual_mov_b32 v7, 0 :: v_dual_lshlrev_b32 v6, 2, v0
	s_add_co_i32 s0, s1, s0
	v_mov_b32_e32 v82, -1.0
	s_wait_kmcnt 0x0
	s_ashr_i32 s1, s8, 31
	s_cmp_eq_u32 s2, 0
	v_add3_u32 v8, s9, s9, v0
	s_cselect_b32 s2, ttmp9, s0
	s_mov_b32 s0, s8
	s_ashr_i32 s3, s2, 31
	s_lshl_b64 s[0:1], s[0:1], 2
	s_lshl_b64 s[2:3], s[2:3], 3
	v_add_nc_u32_e32 v10, s9, v8
	s_add_nc_u64 s[2:3], s[6:7], s[2:3]
	s_load_b64 s[2:3], s[2:3], 0x0
	s_delay_alu instid0(VALU_DEP_1) | instskip(NEXT) | instid1(VALU_DEP_1)
	v_add_nc_u32_e32 v12, s9, v10
	v_add_nc_u32_e32 v14, s9, v12
	s_delay_alu instid0(VALU_DEP_1) | instskip(NEXT) | instid1(VALU_DEP_1)
	v_dual_add_nc_u32 v16, s9, v14 :: v_dual_ashrrev_i32 v9, 31, v8
	v_dual_ashrrev_i32 v11, 31, v10 :: v_dual_add_nc_u32 v18, s9, v16
	v_ashrrev_i32_e32 v17, 31, v16
	s_wait_kmcnt 0x0
	s_add_nc_u64 s[2:3], s[2:3], s[0:1]
	s_mov_b32 s0, s9
	flat_load_b32 v1, v0, s[2:3] scale_offset
	v_add_nc_u64_e32 v[2:3], s[2:3], v[6:7]
	s_ashr_i32 s1, s9, 31
	v_dual_add_nc_u32 v20, s9, v18 :: v_dual_ashrrev_i32 v13, 31, v12
	v_ashrrev_i32_e32 v15, 31, v14
	v_ashrrev_i32_e32 v19, 31, v18
	s_cmp_lg_u32 s5, 0x84
	s_delay_alu instid0(VALU_DEP_4) | instskip(SKIP_4) | instid1(VALU_DEP_1)
	v_lshl_add_u64 v[4:5], s[0:1], 2, v[2:3]
	v_add_nc_u32_e32 v22, s9, v20
	s_cselect_b32 s6, -1, 0
	s_cmp_eq_u32 s5, 0x84
	s_movk_i32 s1, 0x84
	v_add_nc_u32_e32 v24, s9, v22
	s_delay_alu instid0(VALU_DEP_1) | instskip(NEXT) | instid1(VALU_DEP_1)
	v_add_nc_u32_e32 v26, s9, v24
	v_dual_add_nc_u32 v28, s9, v26 :: v_dual_ashrrev_i32 v21, 31, v20
	s_delay_alu instid0(VALU_DEP_1) | instskip(NEXT) | instid1(VALU_DEP_1)
	v_dual_ashrrev_i32 v23, 31, v22 :: v_dual_add_nc_u32 v30, s9, v28
	v_dual_ashrrev_i32 v29, 31, v28 :: v_dual_ashrrev_i32 v31, 31, v30
	v_dual_add_nc_u32 v32, s9, v30 :: v_dual_ashrrev_i32 v25, 31, v24
	s_delay_alu instid0(VALU_DEP_1) | instskip(NEXT) | instid1(VALU_DEP_1)
	v_dual_ashrrev_i32 v27, 31, v26 :: v_dual_add_nc_u32 v34, s9, v32
	v_add_nc_u32_e32 v36, s9, v34
	s_delay_alu instid0(VALU_DEP_1) | instskip(NEXT) | instid1(VALU_DEP_1)
	v_add_nc_u32_e32 v38, s9, v36
	v_dual_add_nc_u32 v40, s9, v38 :: v_dual_ashrrev_i32 v33, 31, v32
	s_delay_alu instid0(VALU_DEP_1) | instskip(NEXT) | instid1(VALU_DEP_1)
	v_dual_ashrrev_i32 v35, 31, v34 :: v_dual_add_nc_u32 v42, s9, v40
	v_dual_ashrrev_i32 v41, 31, v40 :: v_dual_ashrrev_i32 v43, 31, v42
	v_dual_add_nc_u32 v44, s9, v42 :: v_dual_ashrrev_i32 v37, 31, v36
	s_delay_alu instid0(VALU_DEP_1) | instskip(NEXT) | instid1(VALU_DEP_1)
	v_dual_ashrrev_i32 v39, 31, v38 :: v_dual_add_nc_u32 v46, s9, v44
	;; [unrolled: 10-line block ×4, first 2 shown]
	v_add_nc_u32_e32 v72, s9, v70
	s_delay_alu instid0(VALU_DEP_1) | instskip(NEXT) | instid1(VALU_DEP_1)
	v_add_nc_u32_e32 v74, s9, v72
	v_dual_add_nc_u32 v76, s9, v74 :: v_dual_ashrrev_i32 v69, 31, v68
	s_delay_alu instid0(VALU_DEP_1) | instskip(NEXT) | instid1(VALU_DEP_1)
	v_dual_ashrrev_i32 v71, 31, v70 :: v_dual_add_nc_u32 v78, s9, v76
	v_dual_ashrrev_i32 v77, 31, v76 :: v_dual_ashrrev_i32 v79, 31, v78
	v_dual_add_nc_u32 v80, s9, v78 :: v_dual_ashrrev_i32 v73, 31, v72
	s_delay_alu instid0(VALU_DEP_1)
	v_dual_ashrrev_i32 v75, 31, v74 :: v_dual_ashrrev_i32 v81, 31, v80
	s_wait_loadcnt_dscnt 0x0
	scratch_store_b32 off, v1, off
	flat_load_b32 v1, v[4:5]
	s_wait_loadcnt_dscnt 0x0
	scratch_store_b32 off, v1, off offset:4
	flat_load_b32 v1, v8, s[2:3] scale_offset
	s_wait_loadcnt_dscnt 0x0
	scratch_store_b32 off, v1, off offset:8
	flat_load_b32 v1, v10, s[2:3] scale_offset
	s_wait_loadcnt_dscnt 0x0
	scratch_store_b32 off, v1, off offset:12
	flat_load_b32 v1, v12, s[2:3] scale_offset
	s_wait_loadcnt_dscnt 0x0
	scratch_store_b32 off, v1, off offset:16
	flat_load_b32 v1, v14, s[2:3] scale_offset
	s_wait_loadcnt_dscnt 0x0
	scratch_store_b32 off, v1, off offset:20
	flat_load_b32 v1, v16, s[2:3] scale_offset
	s_wait_loadcnt_dscnt 0x0
	scratch_store_b32 off, v1, off offset:24
	flat_load_b32 v1, v18, s[2:3] scale_offset
	s_wait_loadcnt_dscnt 0x0
	scratch_store_b32 off, v1, off offset:28
	flat_load_b32 v1, v20, s[2:3] scale_offset
	s_wait_loadcnt_dscnt 0x0
	scratch_store_b32 off, v1, off offset:32
	flat_load_b32 v1, v22, s[2:3] scale_offset
	s_wait_loadcnt_dscnt 0x0
	scratch_store_b32 off, v1, off offset:36
	flat_load_b32 v1, v24, s[2:3] scale_offset
	s_wait_loadcnt_dscnt 0x0
	scratch_store_b32 off, v1, off offset:40
	flat_load_b32 v1, v26, s[2:3] scale_offset
	s_wait_loadcnt_dscnt 0x0
	scratch_store_b32 off, v1, off offset:44
	flat_load_b32 v1, v28, s[2:3] scale_offset
	s_wait_loadcnt_dscnt 0x0
	scratch_store_b32 off, v1, off offset:48
	flat_load_b32 v1, v30, s[2:3] scale_offset
	s_wait_loadcnt_dscnt 0x0
	scratch_store_b32 off, v1, off offset:52
	flat_load_b32 v1, v32, s[2:3] scale_offset
	s_wait_loadcnt_dscnt 0x0
	scratch_store_b32 off, v1, off offset:56
	flat_load_b32 v1, v34, s[2:3] scale_offset
	s_wait_loadcnt_dscnt 0x0
	scratch_store_b32 off, v1, off offset:60
	flat_load_b32 v1, v36, s[2:3] scale_offset
	s_wait_loadcnt_dscnt 0x0
	scratch_store_b32 off, v1, off offset:64
	flat_load_b32 v1, v38, s[2:3] scale_offset
	s_wait_loadcnt_dscnt 0x0
	scratch_store_b32 off, v1, off offset:68
	flat_load_b32 v1, v40, s[2:3] scale_offset
	s_wait_loadcnt_dscnt 0x0
	scratch_store_b32 off, v1, off offset:72
	flat_load_b32 v1, v42, s[2:3] scale_offset
	s_wait_loadcnt_dscnt 0x0
	scratch_store_b32 off, v1, off offset:76
	flat_load_b32 v1, v44, s[2:3] scale_offset
	s_wait_loadcnt_dscnt 0x0
	scratch_store_b32 off, v1, off offset:80
	flat_load_b32 v1, v46, s[2:3] scale_offset
	s_wait_loadcnt_dscnt 0x0
	scratch_store_b32 off, v1, off offset:84
	flat_load_b32 v1, v48, s[2:3] scale_offset
	s_wait_loadcnt_dscnt 0x0
	scratch_store_b32 off, v1, off offset:88
	flat_load_b32 v1, v50, s[2:3] scale_offset
	s_wait_loadcnt_dscnt 0x0
	scratch_store_b32 off, v1, off offset:92
	flat_load_b32 v1, v52, s[2:3] scale_offset
	s_wait_loadcnt_dscnt 0x0
	scratch_store_b32 off, v1, off offset:96
	flat_load_b32 v1, v54, s[2:3] scale_offset
	s_wait_loadcnt_dscnt 0x0
	scratch_store_b32 off, v1, off offset:100
	flat_load_b32 v1, v56, s[2:3] scale_offset
	s_wait_loadcnt_dscnt 0x0
	scratch_store_b32 off, v1, off offset:104
	flat_load_b32 v1, v58, s[2:3] scale_offset
	s_wait_loadcnt_dscnt 0x0
	scratch_store_b32 off, v1, off offset:108
	flat_load_b32 v1, v60, s[2:3] scale_offset
	s_wait_loadcnt_dscnt 0x0
	scratch_store_b32 off, v1, off offset:112
	flat_load_b32 v1, v62, s[2:3] scale_offset
	s_wait_loadcnt_dscnt 0x0
	scratch_store_b32 off, v1, off offset:116
	flat_load_b32 v1, v64, s[2:3] scale_offset
	s_wait_loadcnt_dscnt 0x0
	scratch_store_b32 off, v1, off offset:120
	flat_load_b32 v1, v66, s[2:3] scale_offset
	s_wait_loadcnt_dscnt 0x0
	scratch_store_b32 off, v1, off offset:124
	flat_load_b32 v1, v68, s[2:3] scale_offset
	s_wait_loadcnt_dscnt 0x0
	scratch_store_b32 off, v1, off offset:128
	flat_load_b32 v1, v70, s[2:3] scale_offset
	s_wait_loadcnt_dscnt 0x0
	scratch_store_b32 off, v1, off offset:132
	flat_load_b32 v1, v72, s[2:3] scale_offset
	s_wait_loadcnt_dscnt 0x0
	scratch_store_b32 off, v1, off offset:136
	flat_load_b32 v1, v74, s[2:3] scale_offset
	s_wait_loadcnt_dscnt 0x0
	scratch_store_b32 off, v1, off offset:140
	flat_load_b32 v1, v76, s[2:3] scale_offset
	s_wait_loadcnt_dscnt 0x0
	scratch_store_b32 off, v1, off offset:144
	flat_load_b32 v1, v78, s[2:3] scale_offset
	s_wait_loadcnt_dscnt 0x0
	scratch_store_b32 off, v1, off offset:148
	flat_load_b32 v1, v80, s[2:3] scale_offset
	s_wait_loadcnt_dscnt 0x0
	scratch_store_b32 off, v1, off offset:152
	s_cbranch_scc1 .LBB102_3
; %bb.2:
	scratch_load_b32 v1, v0, off scale_offset
	s_wait_loadcnt 0x0
	v_div_scale_f32 v7, null, v1, v1, 1.0
	s_delay_alu instid0(VALU_DEP_1) | instskip(SKIP_1) | instid1(TRANS32_DEP_1)
	v_rcp_f32_e32 v82, v7
	v_nop
	v_fma_f32 v83, -v7, v82, 1.0
	s_delay_alu instid0(VALU_DEP_1) | instskip(SKIP_1) | instid1(VALU_DEP_1)
	v_fmac_f32_e32 v82, v83, v82
	v_div_scale_f32 v83, vcc_lo, 1.0, v1, 1.0
	v_mul_f32_e32 v84, v83, v82
	s_delay_alu instid0(VALU_DEP_1) | instskip(NEXT) | instid1(VALU_DEP_1)
	v_fma_f32 v85, -v7, v84, v83
	v_fmac_f32_e32 v84, v85, v82
	s_delay_alu instid0(VALU_DEP_1) | instskip(NEXT) | instid1(VALU_DEP_1)
	v_fma_f32 v7, -v7, v84, v83
	v_div_fmas_f32 v7, v7, v82, v84
	s_delay_alu instid0(VALU_DEP_1) | instskip(NEXT) | instid1(VALU_DEP_1)
	v_div_fixup_f32 v1, v7, v1, 1.0
	v_xor_b32_e32 v82, 0x80000000, v1
	scratch_store_b32 v0, v1, off scale_offset
.LBB102_3:
	s_wait_xcnt 0x0
	v_add_nc_u32_e32 v1, 0xa0, v6
	v_mov_b32_e32 v7, v6
	s_cmp_eq_u32 s4, 0x79
	s_mov_b32 s5, -1
	ds_store_b32 v6, v82
	s_cbranch_scc1 .LBB102_377
; %bb.4:
	scratch_load_b32 v82, off, off offset:148
	v_cmp_eq_u32_e64 s0, 38, v0
	s_movk_i32 s21, 0x44
	s_movk_i32 s22, 0x48
	;; [unrolled: 1-line block ×19, first 2 shown]
	s_wait_loadcnt 0x0
	ds_store_b32 v1, v82
	s_wait_storecnt_dscnt 0x0
	s_barrier_signal -1
	s_barrier_wait -1
	s_wait_xcnt 0x0
	s_and_saveexec_b32 s4, s0
	s_cbranch_execz .LBB102_10
; %bb.5:
	s_and_b32 vcc_lo, exec_lo, s6
	s_cbranch_vccz .LBB102_7
; %bb.6:
	scratch_load_b32 v82, v7, off
	ds_load_b32 v83, v1
	s_wait_loadcnt_dscnt 0x0
	v_mul_f32_e32 v82, v82, v83
	s_cbranch_execz .LBB102_8
	s_branch .LBB102_9
.LBB102_7:
                                        ; implicit-def: $vgpr82
	s_and_not1_b32 vcc_lo, exec_lo, s5
	s_cbranch_vccnz .LBB102_9
.LBB102_8:
	ds_load_b32 v82, v1
.LBB102_9:
	v_mov_b32_e32 v83, 0
	ds_load_b32 v83, v83 offset:148
	s_wait_dscnt 0x0
	v_mul_f32_e32 v82, v82, v83
	scratch_store_b32 off, v82, off offset:148
.LBB102_10:
	s_wait_xcnt 0x0
	s_or_b32 exec_lo, exec_lo, s4
	scratch_load_b32 v82, off, off offset:144
	s_mov_b32 s38, s1
	v_cmp_lt_u32_e64 s1, 36, v0
	s_or_b32 s4, 0, 4
	s_or_b32 s5, 0, 8
	;; [unrolled: 1-line block ×3, first 2 shown]
	s_mov_b32 s8, 16
	s_mov_b32 s9, 20
	;; [unrolled: 1-line block ×13, first 2 shown]
	s_wait_loadcnt 0x0
	ds_store_b32 v1, v82
	s_wait_storecnt_dscnt 0x0
	s_barrier_signal -1
	s_barrier_wait -1
	s_wait_xcnt 0x0
	s_and_saveexec_b32 s42, s1
	s_cbranch_execz .LBB102_16
; %bb.11:
	s_and_not1_b32 vcc_lo, exec_lo, s6
	s_cbranch_vccnz .LBB102_13
; %bb.12:
	scratch_load_b32 v82, v7, off
	ds_load_b32 v83, v1
	s_wait_loadcnt_dscnt 0x0
	v_mul_f32_e32 v82, v82, v83
	s_cbranch_execz .LBB102_14
	s_branch .LBB102_15
.LBB102_13:
                                        ; implicit-def: $vgpr82
.LBB102_14:
	ds_load_b32 v82, v1
.LBB102_15:
	scratch_load_b32 v83, off, off offset:148
	v_mov_b32_e32 v84, 0
	ds_load_2addr_b32 v[84:85], v84 offset0:36 offset1:77
	s_wait_loadcnt_dscnt 0x0
	v_fma_f32 v83, v83, v85, v82
	s_delay_alu instid0(VALU_DEP_1) | instskip(NEXT) | instid1(VALU_DEP_1)
	v_cndmask_b32_e64 v82, v82, v83, s0
	v_mul_f32_e32 v82, v82, v84
	scratch_store_b32 off, v82, off offset:144
.LBB102_16:
	s_wait_xcnt 0x0
	s_or_b32 exec_lo, exec_lo, s42
	scratch_load_b32 v82, off, off offset:140
	v_cmp_lt_u32_e64 s0, 35, v0
	s_wait_loadcnt 0x0
	ds_store_b32 v1, v82
	s_wait_storecnt_dscnt 0x0
	s_barrier_signal -1
	s_barrier_wait -1
	s_wait_xcnt 0x0
	s_and_saveexec_b32 s42, s0
	s_cbranch_execz .LBB102_26
; %bb.17:
	s_and_not1_b32 vcc_lo, exec_lo, s6
	s_cbranch_vccnz .LBB102_19
; %bb.18:
	scratch_load_b32 v82, v7, off
	ds_load_b32 v83, v1
	s_wait_loadcnt_dscnt 0x0
	v_mul_f32_e32 v82, v82, v83
	s_cbranch_execz .LBB102_20
	s_branch .LBB102_21
.LBB102_19:
                                        ; implicit-def: $vgpr82
.LBB102_20:
	ds_load_b32 v82, v1
.LBB102_21:
	s_and_saveexec_b32 s43, s1
	s_cbranch_execz .LBB102_25
; %bb.22:
	v_subrev_nc_u32_e32 v83, 36, v0
	s_movk_i32 s44, 0x130
	s_mov_b32 s1, 0
.LBB102_23:                             ; =>This Inner Loop Header: Depth=1
	scratch_load_b32 v84, off, s41
	v_dual_mov_b32 v85, s44 :: v_dual_add_nc_u32 v83, -1, v83
	s_add_co_i32 s44, s44, 4
	s_wait_xcnt 0x0
	s_add_co_i32 s41, s41, 4
	ds_load_b32 v85, v85
	v_cmp_eq_u32_e32 vcc_lo, 0, v83
	s_or_b32 s1, vcc_lo, s1
	s_wait_loadcnt_dscnt 0x0
	v_fmac_f32_e32 v82, v84, v85
	s_and_not1_b32 exec_lo, exec_lo, s1
	s_cbranch_execnz .LBB102_23
; %bb.24:
	s_or_b32 exec_lo, exec_lo, s1
.LBB102_25:
	s_delay_alu instid0(SALU_CYCLE_1)
	s_or_b32 exec_lo, exec_lo, s43
	v_mov_b32_e32 v83, 0
	ds_load_b32 v83, v83 offset:140
	s_wait_dscnt 0x0
	v_mul_f32_e32 v82, v82, v83
	scratch_store_b32 off, v82, off offset:140
.LBB102_26:
	s_wait_xcnt 0x0
	s_or_b32 exec_lo, exec_lo, s42
	scratch_load_b32 v82, off, off offset:136
	v_cmp_lt_u32_e64 s1, 34, v0
	s_wait_loadcnt 0x0
	ds_store_b32 v1, v82
	s_wait_storecnt_dscnt 0x0
	s_barrier_signal -1
	s_barrier_wait -1
	s_wait_xcnt 0x0
	s_and_saveexec_b32 s41, s1
	s_cbranch_execz .LBB102_36
; %bb.27:
	s_and_not1_b32 vcc_lo, exec_lo, s6
	s_cbranch_vccnz .LBB102_29
; %bb.28:
	scratch_load_b32 v82, v7, off
	ds_load_b32 v83, v1
	s_wait_loadcnt_dscnt 0x0
	v_mul_f32_e32 v82, v82, v83
	s_cbranch_execz .LBB102_30
	s_branch .LBB102_31
.LBB102_29:
                                        ; implicit-def: $vgpr82
.LBB102_30:
	ds_load_b32 v82, v1
.LBB102_31:
	s_and_saveexec_b32 s42, s0
	s_cbranch_execz .LBB102_35
; %bb.32:
	v_subrev_nc_u32_e32 v83, 35, v0
	s_movk_i32 s43, 0x12c
	s_mov_b32 s0, 0
.LBB102_33:                             ; =>This Inner Loop Header: Depth=1
	scratch_load_b32 v84, off, s40
	v_dual_mov_b32 v85, s43 :: v_dual_add_nc_u32 v83, -1, v83
	s_add_co_i32 s43, s43, 4
	s_wait_xcnt 0x0
	s_add_co_i32 s40, s40, 4
	ds_load_b32 v85, v85
	v_cmp_eq_u32_e32 vcc_lo, 0, v83
	s_or_b32 s0, vcc_lo, s0
	s_wait_loadcnt_dscnt 0x0
	v_fmac_f32_e32 v82, v84, v85
	s_and_not1_b32 exec_lo, exec_lo, s0
	s_cbranch_execnz .LBB102_33
; %bb.34:
	s_or_b32 exec_lo, exec_lo, s0
.LBB102_35:
	s_delay_alu instid0(SALU_CYCLE_1)
	s_or_b32 exec_lo, exec_lo, s42
	v_mov_b32_e32 v83, 0
	ds_load_b32 v83, v83 offset:136
	s_wait_dscnt 0x0
	v_mul_f32_e32 v82, v82, v83
	scratch_store_b32 off, v82, off offset:136
.LBB102_36:
	;; [unrolled: 57-line block ×8, first 2 shown]
	s_wait_xcnt 0x0
	s_or_b32 exec_lo, exec_lo, s35
	scratch_load_b32 v82, off, off offset:108
	v_cmp_lt_u32_e64 s0, 27, v0
	s_wait_loadcnt 0x0
	ds_store_b32 v1, v82
	s_wait_storecnt_dscnt 0x0
	s_barrier_signal -1
	s_barrier_wait -1
	s_wait_xcnt 0x0
	s_and_saveexec_b32 s34, s0
	s_cbranch_execz .LBB102_106
; %bb.97:
	s_and_not1_b32 vcc_lo, exec_lo, s6
	s_cbranch_vccnz .LBB102_99
; %bb.98:
	scratch_load_b32 v82, v7, off
	ds_load_b32 v83, v1
	s_wait_loadcnt_dscnt 0x0
	v_mul_f32_e32 v82, v82, v83
	s_cbranch_execz .LBB102_100
	s_branch .LBB102_101
.LBB102_99:
                                        ; implicit-def: $vgpr82
.LBB102_100:
	ds_load_b32 v82, v1
.LBB102_101:
	s_and_saveexec_b32 s35, s1
	s_cbranch_execz .LBB102_105
; %bb.102:
	v_subrev_nc_u32_e32 v83, 28, v0
	s_movk_i32 s36, 0x110
	s_mov_b32 s1, 0
.LBB102_103:                            ; =>This Inner Loop Header: Depth=1
	scratch_load_b32 v84, off, s33
	v_dual_mov_b32 v85, s36 :: v_dual_add_nc_u32 v83, -1, v83
	s_add_co_i32 s36, s36, 4
	s_wait_xcnt 0x0
	s_add_co_i32 s33, s33, 4
	ds_load_b32 v85, v85
	v_cmp_eq_u32_e32 vcc_lo, 0, v83
	s_or_b32 s1, vcc_lo, s1
	s_wait_loadcnt_dscnt 0x0
	v_fmac_f32_e32 v82, v84, v85
	s_and_not1_b32 exec_lo, exec_lo, s1
	s_cbranch_execnz .LBB102_103
; %bb.104:
	s_or_b32 exec_lo, exec_lo, s1
.LBB102_105:
	s_delay_alu instid0(SALU_CYCLE_1)
	s_or_b32 exec_lo, exec_lo, s35
	v_mov_b32_e32 v83, 0
	ds_load_b32 v83, v83 offset:108
	s_wait_dscnt 0x0
	v_mul_f32_e32 v82, v82, v83
	scratch_store_b32 off, v82, off offset:108
.LBB102_106:
	s_wait_xcnt 0x0
	s_or_b32 exec_lo, exec_lo, s34
	scratch_load_b32 v82, off, off offset:104
	v_cmp_lt_u32_e64 s1, 26, v0
	s_wait_loadcnt 0x0
	ds_store_b32 v1, v82
	s_wait_storecnt_dscnt 0x0
	s_barrier_signal -1
	s_barrier_wait -1
	s_wait_xcnt 0x0
	s_and_saveexec_b32 s33, s1
	s_cbranch_execz .LBB102_116
; %bb.107:
	s_and_not1_b32 vcc_lo, exec_lo, s6
	s_cbranch_vccnz .LBB102_109
; %bb.108:
	scratch_load_b32 v82, v7, off
	ds_load_b32 v83, v1
	s_wait_loadcnt_dscnt 0x0
	v_mul_f32_e32 v82, v82, v83
	s_cbranch_execz .LBB102_110
	s_branch .LBB102_111
.LBB102_109:
                                        ; implicit-def: $vgpr82
.LBB102_110:
	ds_load_b32 v82, v1
.LBB102_111:
	s_and_saveexec_b32 s34, s0
	s_cbranch_execz .LBB102_115
; %bb.112:
	v_subrev_nc_u32_e32 v83, 27, v0
	s_movk_i32 s35, 0x10c
	s_mov_b32 s0, 0
.LBB102_113:                            ; =>This Inner Loop Header: Depth=1
	scratch_load_b32 v84, off, s31
	v_dual_mov_b32 v85, s35 :: v_dual_add_nc_u32 v83, -1, v83
	s_add_co_i32 s35, s35, 4
	s_wait_xcnt 0x0
	s_add_co_i32 s31, s31, 4
	ds_load_b32 v85, v85
	v_cmp_eq_u32_e32 vcc_lo, 0, v83
	s_or_b32 s0, vcc_lo, s0
	s_wait_loadcnt_dscnt 0x0
	v_fmac_f32_e32 v82, v84, v85
	s_and_not1_b32 exec_lo, exec_lo, s0
	s_cbranch_execnz .LBB102_113
; %bb.114:
	s_or_b32 exec_lo, exec_lo, s0
.LBB102_115:
	s_delay_alu instid0(SALU_CYCLE_1)
	s_or_b32 exec_lo, exec_lo, s34
	v_mov_b32_e32 v83, 0
	ds_load_b32 v83, v83 offset:104
	s_wait_dscnt 0x0
	v_mul_f32_e32 v82, v82, v83
	scratch_store_b32 off, v82, off offset:104
.LBB102_116:
	;; [unrolled: 57-line block ×12, first 2 shown]
	s_wait_xcnt 0x0
	s_or_b32 exec_lo, exec_lo, s22
	scratch_load_b32 v82, off, off offset:60
	v_cmp_lt_u32_e64 s0, 15, v0
	s_wait_loadcnt 0x0
	ds_store_b32 v1, v82
	s_wait_storecnt_dscnt 0x0
	s_barrier_signal -1
	s_barrier_wait -1
	s_wait_xcnt 0x0
	s_and_saveexec_b32 s21, s0
	s_cbranch_execz .LBB102_226
; %bb.217:
	s_and_not1_b32 vcc_lo, exec_lo, s6
	s_cbranch_vccnz .LBB102_219
; %bb.218:
	scratch_load_b32 v82, v7, off
	ds_load_b32 v83, v1
	s_wait_loadcnt_dscnt 0x0
	v_mul_f32_e32 v82, v82, v83
	s_cbranch_execz .LBB102_220
	s_branch .LBB102_221
.LBB102_219:
                                        ; implicit-def: $vgpr82
.LBB102_220:
	ds_load_b32 v82, v1
.LBB102_221:
	s_and_saveexec_b32 s22, s1
	s_cbranch_execz .LBB102_225
; %bb.222:
	v_add_nc_u32_e32 v83, -16, v0
	s_movk_i32 s23, 0xe0
	s_mov_b32 s1, 0
.LBB102_223:                            ; =>This Inner Loop Header: Depth=1
	scratch_load_b32 v84, off, s20
	v_dual_mov_b32 v85, s23 :: v_dual_add_nc_u32 v83, -1, v83
	s_add_co_i32 s23, s23, 4
	s_wait_xcnt 0x0
	s_add_co_i32 s20, s20, 4
	ds_load_b32 v85, v85
	v_cmp_eq_u32_e32 vcc_lo, 0, v83
	s_or_b32 s1, vcc_lo, s1
	s_wait_loadcnt_dscnt 0x0
	v_fmac_f32_e32 v82, v84, v85
	s_and_not1_b32 exec_lo, exec_lo, s1
	s_cbranch_execnz .LBB102_223
; %bb.224:
	s_or_b32 exec_lo, exec_lo, s1
.LBB102_225:
	s_delay_alu instid0(SALU_CYCLE_1)
	s_or_b32 exec_lo, exec_lo, s22
	v_mov_b32_e32 v83, 0
	ds_load_b32 v83, v83 offset:60
	s_wait_dscnt 0x0
	v_mul_f32_e32 v82, v82, v83
	scratch_store_b32 off, v82, off offset:60
.LBB102_226:
	s_wait_xcnt 0x0
	s_or_b32 exec_lo, exec_lo, s21
	scratch_load_b32 v82, off, off offset:56
	v_cmp_lt_u32_e64 s1, 14, v0
	s_wait_loadcnt 0x0
	ds_store_b32 v1, v82
	s_wait_storecnt_dscnt 0x0
	s_barrier_signal -1
	s_barrier_wait -1
	s_wait_xcnt 0x0
	s_and_saveexec_b32 s20, s1
	s_cbranch_execz .LBB102_236
; %bb.227:
	s_and_not1_b32 vcc_lo, exec_lo, s6
	s_cbranch_vccnz .LBB102_229
; %bb.228:
	scratch_load_b32 v82, v7, off
	ds_load_b32 v83, v1
	s_wait_loadcnt_dscnt 0x0
	v_mul_f32_e32 v82, v82, v83
	s_cbranch_execz .LBB102_230
	s_branch .LBB102_231
.LBB102_229:
                                        ; implicit-def: $vgpr82
.LBB102_230:
	ds_load_b32 v82, v1
.LBB102_231:
	s_and_saveexec_b32 s21, s0
	s_cbranch_execz .LBB102_235
; %bb.232:
	v_add_nc_u32_e32 v83, -15, v0
	s_movk_i32 s22, 0xdc
	s_mov_b32 s0, 0
.LBB102_233:                            ; =>This Inner Loop Header: Depth=1
	scratch_load_b32 v84, off, s19
	v_dual_mov_b32 v85, s22 :: v_dual_add_nc_u32 v83, -1, v83
	s_add_co_i32 s22, s22, 4
	s_wait_xcnt 0x0
	s_add_co_i32 s19, s19, 4
	ds_load_b32 v85, v85
	v_cmp_eq_u32_e32 vcc_lo, 0, v83
	s_or_b32 s0, vcc_lo, s0
	s_wait_loadcnt_dscnt 0x0
	v_fmac_f32_e32 v82, v84, v85
	s_and_not1_b32 exec_lo, exec_lo, s0
	s_cbranch_execnz .LBB102_233
; %bb.234:
	s_or_b32 exec_lo, exec_lo, s0
.LBB102_235:
	s_delay_alu instid0(SALU_CYCLE_1)
	s_or_b32 exec_lo, exec_lo, s21
	v_mov_b32_e32 v83, 0
	ds_load_b32 v83, v83 offset:56
	s_wait_dscnt 0x0
	v_mul_f32_e32 v82, v82, v83
	scratch_store_b32 off, v82, off offset:56
.LBB102_236:
	;; [unrolled: 57-line block ×15, first 2 shown]
	s_wait_xcnt 0x0
	s_or_b32 exec_lo, exec_lo, s7
	scratch_load_b32 v82, off, off
	s_mov_b32 s5, 0
	s_mov_b32 s1, exec_lo
	s_wait_loadcnt 0x0
	ds_store_b32 v1, v82
	s_wait_storecnt_dscnt 0x0
	s_barrier_signal -1
	s_barrier_wait -1
	s_wait_xcnt 0x0
	v_cmpx_ne_u32_e32 0, v0
	s_cbranch_execz .LBB102_376
; %bb.367:
	s_and_not1_b32 vcc_lo, exec_lo, s6
	s_cbranch_vccnz .LBB102_369
; %bb.368:
	scratch_load_b32 v82, v7, off
	ds_load_b32 v83, v1
	s_wait_loadcnt_dscnt 0x0
	v_mul_f32_e32 v82, v82, v83
	s_cbranch_execz .LBB102_370
	s_branch .LBB102_371
.LBB102_369:
                                        ; implicit-def: $vgpr82
.LBB102_370:
	ds_load_b32 v82, v1
.LBB102_371:
	s_and_saveexec_b32 s7, s0
	s_cbranch_execz .LBB102_375
; %bb.372:
	v_add_nc_u32_e32 v83, -1, v0
	s_movk_i32 s8, 0xa4
	s_mov_b32 s0, 0
.LBB102_373:                            ; =>This Inner Loop Header: Depth=1
	scratch_load_b32 v84, off, s4
	v_dual_mov_b32 v85, s8 :: v_dual_add_nc_u32 v83, -1, v83
	s_add_co_i32 s8, s8, 4
	s_wait_xcnt 0x0
	s_add_co_i32 s4, s4, 4
	ds_load_b32 v85, v85
	v_cmp_eq_u32_e32 vcc_lo, 0, v83
	s_or_b32 s0, vcc_lo, s0
	s_wait_loadcnt_dscnt 0x0
	v_fmac_f32_e32 v82, v84, v85
	s_and_not1_b32 exec_lo, exec_lo, s0
	s_cbranch_execnz .LBB102_373
; %bb.374:
	s_or_b32 exec_lo, exec_lo, s0
.LBB102_375:
	s_delay_alu instid0(SALU_CYCLE_1)
	s_or_b32 exec_lo, exec_lo, s7
	v_mov_b32_e32 v83, 0
	ds_load_b32 v83, v83
	s_wait_dscnt 0x0
	v_mul_f32_e32 v82, v82, v83
	scratch_store_b32 off, v82, off
.LBB102_376:
	s_wait_xcnt 0x0
	s_or_b32 exec_lo, exec_lo, s1
.LBB102_377:
	v_lshl_add_u64 v[116:117], v[8:9], 2, s[2:3]
	v_lshl_add_u64 v[114:115], v[10:11], 2, s[2:3]
	;; [unrolled: 1-line block ×37, first 2 shown]
	s_and_b32 vcc_lo, exec_lo, s5
	s_cbranch_vccz .LBB102_749
; %bb.378:
	scratch_load_b32 v46, off, off offset:4
	v_cmp_eq_u32_e64 s0, 0, v0
	s_wait_loadcnt 0x0
	ds_store_b32 v1, v46
	s_wait_storecnt_dscnt 0x0
	s_barrier_signal -1
	s_barrier_wait -1
	s_wait_xcnt 0x0
	s_and_saveexec_b32 s1, s0
	s_cbranch_execz .LBB102_384
; %bb.379:
	s_and_b32 vcc_lo, exec_lo, s6
	s_cbranch_vccz .LBB102_381
; %bb.380:
	scratch_load_b32 v46, v7, off
	ds_load_b32 v47, v1
	s_wait_loadcnt_dscnt 0x0
	v_mul_f32_e32 v46, v46, v47
	s_cbranch_execz .LBB102_382
	s_branch .LBB102_383
.LBB102_381:
                                        ; implicit-def: $vgpr46
.LBB102_382:
	ds_load_b32 v46, v1
.LBB102_383:
	v_mov_b32_e32 v47, 0
	ds_load_b32 v47, v47 offset:4
	s_wait_dscnt 0x0
	v_mul_f32_e32 v46, v46, v47
	scratch_store_b32 off, v46, off offset:4
.LBB102_384:
	s_wait_xcnt 0x0
	s_or_b32 exec_lo, exec_lo, s1
	scratch_load_b32 v47, off, off offset:8
	v_cndmask_b32_e64 v46, 0, 1, s6
	s_mov_b32 s1, exec_lo
	s_wait_loadcnt 0x0
	ds_store_b32 v1, v47
	s_wait_storecnt_dscnt 0x0
	s_barrier_signal -1
	s_barrier_wait -1
	s_wait_xcnt 0x0
	v_cmpx_gt_u32_e32 2, v0
	s_cbranch_execz .LBB102_390
; %bb.385:
	s_and_not1_b32 vcc_lo, exec_lo, s6
	s_cbranch_vccnz .LBB102_387
; %bb.386:
	scratch_load_b32 v47, v7, off
	ds_load_b32 v48, v1
	s_wait_loadcnt_dscnt 0x0
	v_mul_f32_e32 v47, v47, v48
	s_cbranch_execz .LBB102_388
	s_branch .LBB102_389
.LBB102_387:
                                        ; implicit-def: $vgpr47
.LBB102_388:
	ds_load_b32 v47, v1
.LBB102_389:
	scratch_load_b32 v50, off, off offset:4
	v_mov_b32_e32 v48, 0
	ds_load_2addr_b32 v[48:49], v48 offset0:2 offset1:41
	s_wait_loadcnt_dscnt 0x0
	v_fma_f32 v49, v50, v49, v47
	s_delay_alu instid0(VALU_DEP_1) | instskip(NEXT) | instid1(VALU_DEP_1)
	v_cndmask_b32_e64 v47, v47, v49, s0
	v_mul_f32_e32 v47, v47, v48
	scratch_store_b32 off, v47, off offset:8
.LBB102_390:
	s_wait_xcnt 0x0
	s_or_b32 exec_lo, exec_lo, s1
	scratch_load_b32 v47, off, off offset:12
	s_mov_b32 s1, exec_lo
	s_wait_loadcnt 0x0
	ds_store_b32 v1, v47
	s_wait_storecnt_dscnt 0x0
	s_barrier_signal -1
	s_barrier_wait -1
	s_wait_xcnt 0x0
	v_cmpx_gt_u32_e32 3, v0
	s_cbranch_execz .LBB102_398
; %bb.391:
	v_cmp_ne_u32_e32 vcc_lo, 1, v46
	s_cbranch_vccnz .LBB102_393
; %bb.392:
	scratch_load_b32 v47, v7, off
	ds_load_b32 v48, v1
	s_wait_loadcnt_dscnt 0x0
	v_mul_f32_e32 v47, v47, v48
	s_cbranch_execz .LBB102_394
	s_branch .LBB102_395
.LBB102_393:
                                        ; implicit-def: $vgpr47
.LBB102_394:
	ds_load_b32 v47, v1
.LBB102_395:
	s_mov_b32 s2, exec_lo
	v_cmpx_ne_u32_e32 2, v0
	s_cbranch_execz .LBB102_397
; %bb.396:
	scratch_load_b32 v48, v7, off offset:4
	scratch_load_b32 v49, off, off offset:8
	ds_load_b32 v50, v1 offset:4
	v_mov_b32_e32 v51, 0
	ds_load_b32 v51, v51 offset:168
	s_wait_loadcnt_dscnt 0x101
	v_fmac_f32_e32 v47, v48, v50
	s_wait_loadcnt_dscnt 0x0
	s_delay_alu instid0(VALU_DEP_1) | instskip(NEXT) | instid1(VALU_DEP_1)
	v_fma_f32 v48, v49, v51, v47
	v_cndmask_b32_e64 v47, v47, v48, s0
.LBB102_397:
	s_or_b32 exec_lo, exec_lo, s2
	v_mov_b32_e32 v48, 0
	ds_load_b32 v48, v48 offset:12
	s_wait_dscnt 0x0
	v_mul_f32_e32 v47, v47, v48
	scratch_store_b32 off, v47, off offset:12
.LBB102_398:
	s_wait_xcnt 0x0
	s_or_b32 exec_lo, exec_lo, s1
	scratch_load_b32 v47, off, off offset:16
	s_mov_b32 s0, exec_lo
	s_wait_loadcnt 0x0
	ds_store_b32 v1, v47
	s_wait_storecnt_dscnt 0x0
	s_barrier_signal -1
	s_barrier_wait -1
	s_wait_xcnt 0x0
	v_cmpx_gt_u32_e32 4, v0
	s_cbranch_execz .LBB102_408
; %bb.399:
	v_cmp_ne_u32_e32 vcc_lo, 1, v46
	s_cbranch_vccnz .LBB102_401
; %bb.400:
	scratch_load_b32 v47, v7, off
	ds_load_b32 v48, v1
	s_wait_loadcnt_dscnt 0x0
	v_mul_f32_e32 v47, v47, v48
	s_cbranch_execz .LBB102_402
	s_branch .LBB102_403
.LBB102_401:
                                        ; implicit-def: $vgpr47
.LBB102_402:
	ds_load_b32 v47, v1
.LBB102_403:
	s_mov_b32 s1, exec_lo
	v_cmpx_ne_u32_e32 3, v0
	s_cbranch_execz .LBB102_407
; %bb.404:
	v_add_nc_u32_e32 v48, 0xa4, v6
	v_add3_u32 v49, 0, v6, 4
	v_mov_b32_e32 v50, v0
	s_mov_b32 s2, 0
.LBB102_405:                            ; =>This Inner Loop Header: Depth=1
	scratch_load_b32 v51, v49, off
	ds_load_b32 v52, v48
	v_dual_add_nc_u32 v50, 1, v50 :: v_dual_add_nc_u32 v48, 4, v48
	s_wait_xcnt 0x0
	v_add_nc_u32_e32 v49, 4, v49
	s_delay_alu instid0(VALU_DEP_2)
	v_cmp_lt_u32_e32 vcc_lo, 2, v50
	s_or_b32 s2, vcc_lo, s2
	s_wait_loadcnt_dscnt 0x0
	v_fmac_f32_e32 v47, v51, v52
	s_and_not1_b32 exec_lo, exec_lo, s2
	s_cbranch_execnz .LBB102_405
; %bb.406:
	s_or_b32 exec_lo, exec_lo, s2
.LBB102_407:
	s_delay_alu instid0(SALU_CYCLE_1)
	s_or_b32 exec_lo, exec_lo, s1
	v_mov_b32_e32 v48, 0
	ds_load_b32 v48, v48 offset:16
	s_wait_dscnt 0x0
	v_mul_f32_e32 v47, v47, v48
	scratch_store_b32 off, v47, off offset:16
.LBB102_408:
	s_wait_xcnt 0x0
	s_or_b32 exec_lo, exec_lo, s0
	scratch_load_b32 v47, off, off offset:20
	s_mov_b32 s0, exec_lo
	s_wait_loadcnt 0x0
	ds_store_b32 v1, v47
	s_wait_storecnt_dscnt 0x0
	s_barrier_signal -1
	s_barrier_wait -1
	s_wait_xcnt 0x0
	v_cmpx_gt_u32_e32 5, v0
	s_cbranch_execz .LBB102_418
; %bb.409:
	v_cmp_ne_u32_e32 vcc_lo, 1, v46
	s_cbranch_vccnz .LBB102_411
; %bb.410:
	scratch_load_b32 v47, v7, off
	ds_load_b32 v48, v1
	s_wait_loadcnt_dscnt 0x0
	v_mul_f32_e32 v47, v47, v48
	s_cbranch_execz .LBB102_412
	s_branch .LBB102_413
.LBB102_411:
                                        ; implicit-def: $vgpr47
.LBB102_412:
	ds_load_b32 v47, v1
.LBB102_413:
	s_mov_b32 s1, exec_lo
	v_cmpx_ne_u32_e32 4, v0
	s_cbranch_execz .LBB102_417
; %bb.414:
	v_add_nc_u32_e32 v48, 0xa4, v6
	v_add3_u32 v49, 0, v6, 4
	v_mov_b32_e32 v50, v0
	s_mov_b32 s2, 0
.LBB102_415:                            ; =>This Inner Loop Header: Depth=1
	scratch_load_b32 v51, v49, off
	ds_load_b32 v52, v48
	v_dual_add_nc_u32 v50, 1, v50 :: v_dual_add_nc_u32 v48, 4, v48
	s_wait_xcnt 0x0
	v_add_nc_u32_e32 v49, 4, v49
	s_delay_alu instid0(VALU_DEP_2)
	v_cmp_lt_u32_e32 vcc_lo, 3, v50
	s_or_b32 s2, vcc_lo, s2
	s_wait_loadcnt_dscnt 0x0
	v_fmac_f32_e32 v47, v51, v52
	s_and_not1_b32 exec_lo, exec_lo, s2
	s_cbranch_execnz .LBB102_415
; %bb.416:
	s_or_b32 exec_lo, exec_lo, s2
.LBB102_417:
	s_delay_alu instid0(SALU_CYCLE_1)
	s_or_b32 exec_lo, exec_lo, s1
	v_mov_b32_e32 v48, 0
	ds_load_b32 v48, v48 offset:20
	s_wait_dscnt 0x0
	v_mul_f32_e32 v47, v47, v48
	scratch_store_b32 off, v47, off offset:20
.LBB102_418:
	;; [unrolled: 59-line block ×33, first 2 shown]
	s_wait_xcnt 0x0
	s_or_b32 exec_lo, exec_lo, s0
	scratch_load_b32 v47, off, off offset:148
	v_cmp_gt_u32_e64 s0, 37, v0
	s_wait_loadcnt 0x0
	ds_store_b32 v1, v47
	s_wait_storecnt_dscnt 0x0
	s_barrier_signal -1
	s_barrier_wait -1
	s_wait_xcnt 0x0
	s_and_saveexec_b32 s1, s0
	s_cbranch_execz .LBB102_738
; %bb.729:
	v_cmp_ne_u32_e32 vcc_lo, 1, v46
	s_cbranch_vccnz .LBB102_731
; %bb.730:
	scratch_load_b32 v47, v7, off
	ds_load_b32 v48, v1
	s_wait_loadcnt_dscnt 0x0
	v_mul_f32_e32 v47, v47, v48
	s_cbranch_execz .LBB102_732
	s_branch .LBB102_733
.LBB102_731:
                                        ; implicit-def: $vgpr47
.LBB102_732:
	ds_load_b32 v47, v1
.LBB102_733:
	s_mov_b32 s2, exec_lo
	v_cmpx_ne_u32_e32 36, v0
	s_cbranch_execz .LBB102_737
; %bb.734:
	v_add_nc_u32_e32 v48, 0xa4, v6
	v_add3_u32 v49, 0, v6, 4
	v_mov_b32_e32 v50, v0
	s_mov_b32 s3, 0
.LBB102_735:                            ; =>This Inner Loop Header: Depth=1
	scratch_load_b32 v51, v49, off
	ds_load_b32 v52, v48
	v_dual_add_nc_u32 v50, 1, v50 :: v_dual_add_nc_u32 v48, 4, v48
	s_wait_xcnt 0x0
	v_add_nc_u32_e32 v49, 4, v49
	s_delay_alu instid0(VALU_DEP_2)
	v_cmp_lt_u32_e32 vcc_lo, 35, v50
	s_or_b32 s3, vcc_lo, s3
	s_wait_loadcnt_dscnt 0x0
	v_fmac_f32_e32 v47, v51, v52
	s_and_not1_b32 exec_lo, exec_lo, s3
	s_cbranch_execnz .LBB102_735
; %bb.736:
	s_or_b32 exec_lo, exec_lo, s3
.LBB102_737:
	s_delay_alu instid0(SALU_CYCLE_1)
	s_or_b32 exec_lo, exec_lo, s2
	v_mov_b32_e32 v48, 0
	ds_load_b32 v48, v48 offset:148
	s_wait_dscnt 0x0
	v_mul_f32_e32 v47, v47, v48
	scratch_store_b32 off, v47, off offset:148
.LBB102_738:
	s_wait_xcnt 0x0
	s_or_b32 exec_lo, exec_lo, s1
	scratch_load_b32 v47, off, off offset:152
	s_mov_b32 s1, exec_lo
	s_wait_loadcnt 0x0
	ds_store_b32 v1, v47
	s_wait_storecnt_dscnt 0x0
	s_barrier_signal -1
	s_barrier_wait -1
	s_wait_xcnt 0x0
	v_cmpx_ne_u32_e32 38, v0
	s_cbranch_execz .LBB102_748
; %bb.739:
	v_cmp_ne_u32_e32 vcc_lo, 1, v46
	s_cbranch_vccnz .LBB102_741
; %bb.740:
	scratch_load_b32 v7, v7, off
	ds_load_b32 v46, v1
	s_wait_loadcnt_dscnt 0x0
	v_mul_f32_e32 v7, v7, v46
	s_cbranch_execz .LBB102_742
	s_branch .LBB102_743
.LBB102_741:
                                        ; implicit-def: $vgpr7
.LBB102_742:
	ds_load_b32 v7, v1
.LBB102_743:
	s_and_saveexec_b32 s2, s0
	s_cbranch_execz .LBB102_747
; %bb.744:
	v_add_nc_u32_e32 v1, 0xa4, v6
	v_add3_u32 v6, 0, v6, 4
	s_mov_b32 s0, 0
.LBB102_745:                            ; =>This Inner Loop Header: Depth=1
	scratch_load_b32 v46, v6, off
	ds_load_b32 v47, v1
	v_dual_add_nc_u32 v0, 1, v0 :: v_dual_add_nc_u32 v1, 4, v1
	s_wait_xcnt 0x0
	v_add_nc_u32_e32 v6, 4, v6
	s_delay_alu instid0(VALU_DEP_2)
	v_cmp_lt_u32_e32 vcc_lo, 36, v0
	s_or_b32 s0, vcc_lo, s0
	s_wait_loadcnt_dscnt 0x0
	v_fmac_f32_e32 v7, v46, v47
	s_and_not1_b32 exec_lo, exec_lo, s0
	s_cbranch_execnz .LBB102_745
; %bb.746:
	s_or_b32 exec_lo, exec_lo, s0
.LBB102_747:
	s_delay_alu instid0(SALU_CYCLE_1)
	s_or_b32 exec_lo, exec_lo, s2
	v_mov_b32_e32 v0, 0
	ds_load_b32 v0, v0 offset:152
	s_wait_dscnt 0x0
	v_mul_f32_e32 v0, v7, v0
	scratch_store_b32 off, v0, off offset:152
.LBB102_748:
	s_wait_xcnt 0x0
	s_or_b32 exec_lo, exec_lo, s1
.LBB102_749:
	scratch_load_b32 v0, off, off
	s_wait_loadcnt 0x0
	flat_store_b32 v[2:3], v0
	scratch_load_b32 v0, off, off offset:4
	s_wait_loadcnt 0x0
	flat_store_b32 v[4:5], v0
	scratch_load_b32 v0, off, off offset:8
	;; [unrolled: 3-line block ×38, first 2 shown]
	s_wait_loadcnt 0x0
	flat_store_b32 v[8:9], v0
.LBB102_750:
	s_sendmsg sendmsg(MSG_DEALLOC_VGPRS)
	s_endpgm
	.section	.rodata,"a",@progbits
	.p2align	6, 0x0
	.amdhsa_kernel _ZN9rocsolver6v33100L18trti2_kernel_smallILi39EfPKPfEEv13rocblas_fill_17rocblas_diagonal_T1_iil
		.amdhsa_group_segment_fixed_size 316
		.amdhsa_private_segment_fixed_size 160
		.amdhsa_kernarg_size 32
		.amdhsa_user_sgpr_count 2
		.amdhsa_user_sgpr_dispatch_ptr 0
		.amdhsa_user_sgpr_queue_ptr 0
		.amdhsa_user_sgpr_kernarg_segment_ptr 1
		.amdhsa_user_sgpr_dispatch_id 0
		.amdhsa_user_sgpr_kernarg_preload_length 0
		.amdhsa_user_sgpr_kernarg_preload_offset 0
		.amdhsa_user_sgpr_private_segment_size 0
		.amdhsa_wavefront_size32 1
		.amdhsa_uses_dynamic_stack 0
		.amdhsa_enable_private_segment 1
		.amdhsa_system_sgpr_workgroup_id_x 1
		.amdhsa_system_sgpr_workgroup_id_y 0
		.amdhsa_system_sgpr_workgroup_id_z 0
		.amdhsa_system_sgpr_workgroup_info 0
		.amdhsa_system_vgpr_workitem_id 0
		.amdhsa_next_free_vgpr 118
		.amdhsa_next_free_sgpr 45
		.amdhsa_named_barrier_count 0
		.amdhsa_reserve_vcc 1
		.amdhsa_float_round_mode_32 0
		.amdhsa_float_round_mode_16_64 0
		.amdhsa_float_denorm_mode_32 3
		.amdhsa_float_denorm_mode_16_64 3
		.amdhsa_fp16_overflow 0
		.amdhsa_memory_ordered 1
		.amdhsa_forward_progress 1
		.amdhsa_inst_pref_size 175
		.amdhsa_round_robin_scheduling 0
		.amdhsa_exception_fp_ieee_invalid_op 0
		.amdhsa_exception_fp_denorm_src 0
		.amdhsa_exception_fp_ieee_div_zero 0
		.amdhsa_exception_fp_ieee_overflow 0
		.amdhsa_exception_fp_ieee_underflow 0
		.amdhsa_exception_fp_ieee_inexact 0
		.amdhsa_exception_int_div_zero 0
	.end_amdhsa_kernel
	.section	.text._ZN9rocsolver6v33100L18trti2_kernel_smallILi39EfPKPfEEv13rocblas_fill_17rocblas_diagonal_T1_iil,"axG",@progbits,_ZN9rocsolver6v33100L18trti2_kernel_smallILi39EfPKPfEEv13rocblas_fill_17rocblas_diagonal_T1_iil,comdat
.Lfunc_end102:
	.size	_ZN9rocsolver6v33100L18trti2_kernel_smallILi39EfPKPfEEv13rocblas_fill_17rocblas_diagonal_T1_iil, .Lfunc_end102-_ZN9rocsolver6v33100L18trti2_kernel_smallILi39EfPKPfEEv13rocblas_fill_17rocblas_diagonal_T1_iil
                                        ; -- End function
	.set _ZN9rocsolver6v33100L18trti2_kernel_smallILi39EfPKPfEEv13rocblas_fill_17rocblas_diagonal_T1_iil.num_vgpr, 118
	.set _ZN9rocsolver6v33100L18trti2_kernel_smallILi39EfPKPfEEv13rocblas_fill_17rocblas_diagonal_T1_iil.num_agpr, 0
	.set _ZN9rocsolver6v33100L18trti2_kernel_smallILi39EfPKPfEEv13rocblas_fill_17rocblas_diagonal_T1_iil.numbered_sgpr, 45
	.set _ZN9rocsolver6v33100L18trti2_kernel_smallILi39EfPKPfEEv13rocblas_fill_17rocblas_diagonal_T1_iil.num_named_barrier, 0
	.set _ZN9rocsolver6v33100L18trti2_kernel_smallILi39EfPKPfEEv13rocblas_fill_17rocblas_diagonal_T1_iil.private_seg_size, 160
	.set _ZN9rocsolver6v33100L18trti2_kernel_smallILi39EfPKPfEEv13rocblas_fill_17rocblas_diagonal_T1_iil.uses_vcc, 1
	.set _ZN9rocsolver6v33100L18trti2_kernel_smallILi39EfPKPfEEv13rocblas_fill_17rocblas_diagonal_T1_iil.uses_flat_scratch, 0
	.set _ZN9rocsolver6v33100L18trti2_kernel_smallILi39EfPKPfEEv13rocblas_fill_17rocblas_diagonal_T1_iil.has_dyn_sized_stack, 0
	.set _ZN9rocsolver6v33100L18trti2_kernel_smallILi39EfPKPfEEv13rocblas_fill_17rocblas_diagonal_T1_iil.has_recursion, 0
	.set _ZN9rocsolver6v33100L18trti2_kernel_smallILi39EfPKPfEEv13rocblas_fill_17rocblas_diagonal_T1_iil.has_indirect_call, 0
	.section	.AMDGPU.csdata,"",@progbits
; Kernel info:
; codeLenInByte = 22400
; TotalNumSgprs: 47
; NumVgprs: 118
; ScratchSize: 160
; MemoryBound: 0
; FloatMode: 240
; IeeeMode: 1
; LDSByteSize: 316 bytes/workgroup (compile time only)
; SGPRBlocks: 0
; VGPRBlocks: 7
; NumSGPRsForWavesPerEU: 47
; NumVGPRsForWavesPerEU: 118
; NamedBarCnt: 0
; Occupancy: 8
; WaveLimiterHint : 1
; COMPUTE_PGM_RSRC2:SCRATCH_EN: 1
; COMPUTE_PGM_RSRC2:USER_SGPR: 2
; COMPUTE_PGM_RSRC2:TRAP_HANDLER: 0
; COMPUTE_PGM_RSRC2:TGID_X_EN: 1
; COMPUTE_PGM_RSRC2:TGID_Y_EN: 0
; COMPUTE_PGM_RSRC2:TGID_Z_EN: 0
; COMPUTE_PGM_RSRC2:TIDIG_COMP_CNT: 0
	.section	.text._ZN9rocsolver6v33100L18trti2_kernel_smallILi40EfPKPfEEv13rocblas_fill_17rocblas_diagonal_T1_iil,"axG",@progbits,_ZN9rocsolver6v33100L18trti2_kernel_smallILi40EfPKPfEEv13rocblas_fill_17rocblas_diagonal_T1_iil,comdat
	.globl	_ZN9rocsolver6v33100L18trti2_kernel_smallILi40EfPKPfEEv13rocblas_fill_17rocblas_diagonal_T1_iil ; -- Begin function _ZN9rocsolver6v33100L18trti2_kernel_smallILi40EfPKPfEEv13rocblas_fill_17rocblas_diagonal_T1_iil
	.p2align	8
	.type	_ZN9rocsolver6v33100L18trti2_kernel_smallILi40EfPKPfEEv13rocblas_fill_17rocblas_diagonal_T1_iil,@function
_ZN9rocsolver6v33100L18trti2_kernel_smallILi40EfPKPfEEv13rocblas_fill_17rocblas_diagonal_T1_iil: ; @_ZN9rocsolver6v33100L18trti2_kernel_smallILi40EfPKPfEEv13rocblas_fill_17rocblas_diagonal_T1_iil
; %bb.0:
	s_mov_b32 s2, exec_lo
	v_cmpx_gt_u32_e32 40, v0
	s_cbranch_execz .LBB103_770
; %bb.1:
	s_clause 0x1
	s_load_b64 s[2:3], s[0:1], 0x10
	s_load_b128 s[4:7], s[0:1], 0x0
	s_wait_xcnt 0x0
	s_bfe_u32 s0, ttmp6, 0x4000c
	s_and_b32 s1, ttmp6, 15
	s_add_co_i32 s0, s0, 1
	s_getreg_b32 s8, hwreg(HW_REG_IB_STS2, 6, 4)
	s_mul_i32 s0, ttmp9, s0
	v_dual_mov_b32 v7, 0 :: v_dual_lshlrev_b32 v6, 2, v0
	s_add_co_i32 s0, s1, s0
	v_mov_b32_e32 v84, -1.0
	s_wait_kmcnt 0x0
	s_ashr_i32 s1, s2, 31
	s_cmp_eq_u32 s8, 0
	v_add3_u32 v8, s3, s3, v0
	s_cselect_b32 s8, ttmp9, s0
	s_mov_b32 s0, s2
	s_ashr_i32 s9, s8, 31
	s_lshl_b64 s[0:1], s[0:1], 2
	s_lshl_b64 s[8:9], s[8:9], 3
	v_add_nc_u32_e32 v10, s3, v8
	s_add_nc_u64 s[6:7], s[6:7], s[8:9]
	s_load_b64 s[6:7], s[6:7], 0x0
	s_delay_alu instid0(VALU_DEP_1) | instskip(NEXT) | instid1(VALU_DEP_1)
	v_add_nc_u32_e32 v12, s3, v10
	v_add_nc_u32_e32 v14, s3, v12
	s_delay_alu instid0(VALU_DEP_1) | instskip(NEXT) | instid1(VALU_DEP_1)
	v_add_nc_u32_e32 v16, s3, v14
	v_dual_ashrrev_i32 v11, 31, v10 :: v_dual_add_nc_u32 v18, s3, v16
	v_ashrrev_i32_e32 v13, 31, v12
	s_wait_kmcnt 0x0
	s_add_nc_u64 s[6:7], s[6:7], s[0:1]
	s_mov_b32 s0, s3
	flat_load_b32 v1, v0, s[6:7] scale_offset
	v_add_nc_u64_e32 v[2:3], s[6:7], v[6:7]
	s_ashr_i32 s1, s3, 31
	v_dual_add_nc_u32 v20, s3, v18 :: v_dual_ashrrev_i32 v9, 31, v8
	v_ashrrev_i32_e32 v15, 31, v14
	v_ashrrev_i32_e32 v19, 31, v18
	s_cmp_lg_u32 s5, 0x84
	s_delay_alu instid0(VALU_DEP_4) | instskip(SKIP_2) | instid1(VALU_DEP_1)
	v_lshl_add_u64 v[4:5], s[0:1], 2, v[2:3]
	v_add_nc_u32_e32 v22, s3, v20
	s_movk_i32 s1, 0x84
	v_add_nc_u32_e32 v24, s3, v22
	s_delay_alu instid0(VALU_DEP_1) | instskip(NEXT) | instid1(VALU_DEP_1)
	v_add_nc_u32_e32 v26, s3, v24
	v_dual_add_nc_u32 v28, s3, v26 :: v_dual_ashrrev_i32 v17, 31, v16
	s_delay_alu instid0(VALU_DEP_1) | instskip(NEXT) | instid1(VALU_DEP_1)
	v_dual_ashrrev_i32 v23, 31, v22 :: v_dual_add_nc_u32 v30, s3, v28
	v_dual_ashrrev_i32 v25, 31, v24 :: v_dual_ashrrev_i32 v31, 31, v30
	v_dual_add_nc_u32 v32, s3, v30 :: v_dual_ashrrev_i32 v21, 31, v20
	s_delay_alu instid0(VALU_DEP_1) | instskip(NEXT) | instid1(VALU_DEP_1)
	v_dual_ashrrev_i32 v27, 31, v26 :: v_dual_add_nc_u32 v34, s3, v32
	v_add_nc_u32_e32 v36, s3, v34
	s_delay_alu instid0(VALU_DEP_1) | instskip(NEXT) | instid1(VALU_DEP_1)
	v_add_nc_u32_e32 v38, s3, v36
	v_dual_add_nc_u32 v40, s3, v38 :: v_dual_ashrrev_i32 v29, 31, v28
	s_delay_alu instid0(VALU_DEP_1) | instskip(NEXT) | instid1(VALU_DEP_1)
	v_dual_ashrrev_i32 v35, 31, v34 :: v_dual_add_nc_u32 v42, s3, v40
	v_dual_ashrrev_i32 v37, 31, v36 :: v_dual_ashrrev_i32 v43, 31, v42
	v_dual_add_nc_u32 v44, s3, v42 :: v_dual_ashrrev_i32 v33, 31, v32
	s_delay_alu instid0(VALU_DEP_1) | instskip(NEXT) | instid1(VALU_DEP_1)
	v_dual_ashrrev_i32 v39, 31, v38 :: v_dual_add_nc_u32 v46, s3, v44
	;; [unrolled: 10-line block ×4, first 2 shown]
	v_add_nc_u32_e32 v72, s3, v70
	s_delay_alu instid0(VALU_DEP_1) | instskip(NEXT) | instid1(VALU_DEP_1)
	v_add_nc_u32_e32 v74, s3, v72
	v_dual_add_nc_u32 v76, s3, v74 :: v_dual_ashrrev_i32 v65, 31, v64
	s_delay_alu instid0(VALU_DEP_1) | instskip(NEXT) | instid1(VALU_DEP_1)
	v_dual_ashrrev_i32 v71, 31, v70 :: v_dual_add_nc_u32 v78, s3, v76
	v_dual_ashrrev_i32 v73, 31, v72 :: v_dual_ashrrev_i32 v79, 31, v78
	v_dual_add_nc_u32 v80, s3, v78 :: v_dual_ashrrev_i32 v69, 31, v68
	s_delay_alu instid0(VALU_DEP_1)
	v_dual_ashrrev_i32 v75, 31, v74 :: v_dual_add_nc_u32 v82, s3, v80
	v_ashrrev_i32_e32 v77, 31, v76
	v_ashrrev_i32_e32 v81, 31, v80
	s_cselect_b32 s3, -1, 0
	s_cmp_eq_u32 s5, 0x84
	v_ashrrev_i32_e32 v83, 31, v82
	s_wait_loadcnt_dscnt 0x0
	scratch_store_b32 off, v1, off
	flat_load_b32 v1, v[4:5]
	s_wait_loadcnt_dscnt 0x0
	scratch_store_b32 off, v1, off offset:4
	flat_load_b32 v1, v8, s[6:7] scale_offset
	s_wait_loadcnt_dscnt 0x0
	scratch_store_b32 off, v1, off offset:8
	flat_load_b32 v1, v10, s[6:7] scale_offset
	;; [unrolled: 3-line block ×38, first 2 shown]
	s_wait_loadcnt_dscnt 0x0
	scratch_store_b32 off, v1, off offset:156
	s_cbranch_scc1 .LBB103_3
; %bb.2:
	scratch_load_b32 v1, v0, off scale_offset
	s_wait_loadcnt 0x0
	v_div_scale_f32 v7, null, v1, v1, 1.0
	s_delay_alu instid0(VALU_DEP_1) | instskip(SKIP_1) | instid1(TRANS32_DEP_1)
	v_rcp_f32_e32 v84, v7
	v_nop
	v_fma_f32 v85, -v7, v84, 1.0
	s_delay_alu instid0(VALU_DEP_1) | instskip(SKIP_1) | instid1(VALU_DEP_1)
	v_fmac_f32_e32 v84, v85, v84
	v_div_scale_f32 v85, vcc_lo, 1.0, v1, 1.0
	v_mul_f32_e32 v86, v85, v84
	s_delay_alu instid0(VALU_DEP_1) | instskip(NEXT) | instid1(VALU_DEP_1)
	v_fma_f32 v87, -v7, v86, v85
	v_fmac_f32_e32 v86, v87, v84
	s_delay_alu instid0(VALU_DEP_1) | instskip(NEXT) | instid1(VALU_DEP_1)
	v_fma_f32 v7, -v7, v86, v85
	v_div_fmas_f32 v7, v7, v84, v86
	s_delay_alu instid0(VALU_DEP_1) | instskip(NEXT) | instid1(VALU_DEP_1)
	v_div_fixup_f32 v1, v7, v1, 1.0
	v_xor_b32_e32 v84, 0x80000000, v1
	scratch_store_b32 v0, v1, off scale_offset
.LBB103_3:
	s_wait_xcnt 0x0
	v_add_nc_u32_e32 v1, 0xa0, v6
	v_mov_b32_e32 v7, v6
	s_cmp_eq_u32 s4, 0x79
	s_mov_b32 s2, -1
	ds_store_b32 v6, v84
	s_cbranch_scc1 .LBB103_387
; %bb.4:
	scratch_load_b32 v84, off, off offset:152
	v_cmp_eq_u32_e64 s0, 39, v0
	s_movk_i32 s21, 0x44
	s_movk_i32 s22, 0x48
	;; [unrolled: 1-line block ×20, first 2 shown]
	s_wait_loadcnt 0x0
	ds_store_b32 v1, v84
	s_wait_storecnt_dscnt 0x0
	s_barrier_signal -1
	s_barrier_wait -1
	s_wait_xcnt 0x0
	s_and_saveexec_b32 s2, s0
	s_cbranch_execz .LBB103_10
; %bb.5:
	s_and_b32 vcc_lo, exec_lo, s3
	s_cbranch_vccz .LBB103_7
; %bb.6:
	scratch_load_b32 v84, v7, off
	ds_load_b32 v85, v1
	s_wait_loadcnt_dscnt 0x0
	v_mul_f32_e32 v84, v84, v85
	s_cbranch_execz .LBB103_8
	s_branch .LBB103_9
.LBB103_7:
                                        ; implicit-def: $vgpr84
.LBB103_8:
	ds_load_b32 v84, v1
.LBB103_9:
	v_mov_b32_e32 v85, 0
	ds_load_b32 v85, v85 offset:152
	s_wait_dscnt 0x0
	v_mul_f32_e32 v84, v84, v85
	scratch_store_b32 off, v84, off offset:152
.LBB103_10:
	s_wait_xcnt 0x0
	s_or_b32 exec_lo, exec_lo, s2
	scratch_load_b32 v84, off, off offset:148
	s_mov_b32 s38, s1
	v_cmp_lt_u32_e64 s1, 37, v0
	s_or_b32 s4, 0, 4
	s_or_b32 s5, 0, 8
	;; [unrolled: 1-line block ×3, first 2 shown]
	s_mov_b32 s2, 16
	s_mov_b32 s9, 20
	;; [unrolled: 1-line block ×13, first 2 shown]
	s_wait_loadcnt 0x0
	ds_store_b32 v1, v84
	s_wait_storecnt_dscnt 0x0
	s_barrier_signal -1
	s_barrier_wait -1
	s_wait_xcnt 0x0
	s_and_saveexec_b32 s43, s1
	s_cbranch_execz .LBB103_16
; %bb.11:
	s_and_not1_b32 vcc_lo, exec_lo, s3
	s_cbranch_vccnz .LBB103_13
; %bb.12:
	scratch_load_b32 v84, v7, off
	ds_load_b32 v85, v1
	s_wait_loadcnt_dscnt 0x0
	v_mul_f32_e32 v84, v84, v85
	s_cbranch_execz .LBB103_14
	s_branch .LBB103_15
.LBB103_13:
                                        ; implicit-def: $vgpr84
.LBB103_14:
	ds_load_b32 v84, v1
.LBB103_15:
	scratch_load_b32 v85, off, off offset:152
	v_mov_b32_e32 v86, 0
	ds_load_2addr_b32 v[86:87], v86 offset0:37 offset1:78
	s_wait_loadcnt_dscnt 0x0
	v_fma_f32 v85, v85, v87, v84
	s_delay_alu instid0(VALU_DEP_1) | instskip(NEXT) | instid1(VALU_DEP_1)
	v_cndmask_b32_e64 v84, v84, v85, s0
	v_mul_f32_e32 v84, v84, v86
	scratch_store_b32 off, v84, off offset:148
.LBB103_16:
	s_wait_xcnt 0x0
	s_or_b32 exec_lo, exec_lo, s43
	scratch_load_b32 v84, off, off offset:144
	v_cmp_lt_u32_e64 s0, 36, v0
	s_wait_loadcnt 0x0
	ds_store_b32 v1, v84
	s_wait_storecnt_dscnt 0x0
	s_barrier_signal -1
	s_barrier_wait -1
	s_wait_xcnt 0x0
	s_and_saveexec_b32 s43, s0
	s_cbranch_execz .LBB103_26
; %bb.17:
	s_and_not1_b32 vcc_lo, exec_lo, s3
	s_cbranch_vccnz .LBB103_19
; %bb.18:
	scratch_load_b32 v84, v7, off
	ds_load_b32 v85, v1
	s_wait_loadcnt_dscnt 0x0
	v_mul_f32_e32 v84, v84, v85
	s_cbranch_execz .LBB103_20
	s_branch .LBB103_21
.LBB103_19:
                                        ; implicit-def: $vgpr84
.LBB103_20:
	ds_load_b32 v84, v1
.LBB103_21:
	s_and_saveexec_b32 s44, s1
	s_cbranch_execz .LBB103_25
; %bb.22:
	v_subrev_nc_u32_e32 v85, 37, v0
	s_movk_i32 s45, 0x134
	s_mov_b32 s1, 0
.LBB103_23:                             ; =>This Inner Loop Header: Depth=1
	scratch_load_b32 v86, off, s42
	v_dual_mov_b32 v87, s45 :: v_dual_add_nc_u32 v85, -1, v85
	s_add_co_i32 s45, s45, 4
	s_wait_xcnt 0x0
	s_add_co_i32 s42, s42, 4
	ds_load_b32 v87, v87
	v_cmp_eq_u32_e32 vcc_lo, 0, v85
	s_or_b32 s1, vcc_lo, s1
	s_wait_loadcnt_dscnt 0x0
	v_fmac_f32_e32 v84, v86, v87
	s_and_not1_b32 exec_lo, exec_lo, s1
	s_cbranch_execnz .LBB103_23
; %bb.24:
	s_or_b32 exec_lo, exec_lo, s1
.LBB103_25:
	s_delay_alu instid0(SALU_CYCLE_1)
	s_or_b32 exec_lo, exec_lo, s44
	v_mov_b32_e32 v85, 0
	ds_load_b32 v85, v85 offset:144
	s_wait_dscnt 0x0
	v_mul_f32_e32 v84, v84, v85
	scratch_store_b32 off, v84, off offset:144
.LBB103_26:
	s_wait_xcnt 0x0
	s_or_b32 exec_lo, exec_lo, s43
	scratch_load_b32 v84, off, off offset:140
	v_cmp_lt_u32_e64 s1, 35, v0
	s_wait_loadcnt 0x0
	ds_store_b32 v1, v84
	s_wait_storecnt_dscnt 0x0
	s_barrier_signal -1
	s_barrier_wait -1
	s_wait_xcnt 0x0
	s_and_saveexec_b32 s42, s1
	s_cbranch_execz .LBB103_36
; %bb.27:
	s_and_not1_b32 vcc_lo, exec_lo, s3
	s_cbranch_vccnz .LBB103_29
; %bb.28:
	scratch_load_b32 v84, v7, off
	ds_load_b32 v85, v1
	s_wait_loadcnt_dscnt 0x0
	v_mul_f32_e32 v84, v84, v85
	s_cbranch_execz .LBB103_30
	s_branch .LBB103_31
.LBB103_29:
                                        ; implicit-def: $vgpr84
.LBB103_30:
	ds_load_b32 v84, v1
.LBB103_31:
	s_and_saveexec_b32 s43, s0
	s_cbranch_execz .LBB103_35
; %bb.32:
	v_subrev_nc_u32_e32 v85, 36, v0
	s_movk_i32 s44, 0x130
	s_mov_b32 s0, 0
.LBB103_33:                             ; =>This Inner Loop Header: Depth=1
	scratch_load_b32 v86, off, s41
	v_dual_mov_b32 v87, s44 :: v_dual_add_nc_u32 v85, -1, v85
	s_add_co_i32 s44, s44, 4
	s_wait_xcnt 0x0
	s_add_co_i32 s41, s41, 4
	ds_load_b32 v87, v87
	v_cmp_eq_u32_e32 vcc_lo, 0, v85
	s_or_b32 s0, vcc_lo, s0
	s_wait_loadcnt_dscnt 0x0
	v_fmac_f32_e32 v84, v86, v87
	s_and_not1_b32 exec_lo, exec_lo, s0
	s_cbranch_execnz .LBB103_33
; %bb.34:
	s_or_b32 exec_lo, exec_lo, s0
.LBB103_35:
	s_delay_alu instid0(SALU_CYCLE_1)
	s_or_b32 exec_lo, exec_lo, s43
	v_mov_b32_e32 v85, 0
	ds_load_b32 v85, v85 offset:140
	s_wait_dscnt 0x0
	v_mul_f32_e32 v84, v84, v85
	scratch_store_b32 off, v84, off offset:140
.LBB103_36:
	;; [unrolled: 57-line block ×8, first 2 shown]
	s_wait_xcnt 0x0
	s_or_b32 exec_lo, exec_lo, s36
	scratch_load_b32 v84, off, off offset:112
	v_cmp_lt_u32_e64 s0, 28, v0
	s_wait_loadcnt 0x0
	ds_store_b32 v1, v84
	s_wait_storecnt_dscnt 0x0
	s_barrier_signal -1
	s_barrier_wait -1
	s_wait_xcnt 0x0
	s_and_saveexec_b32 s35, s0
	s_cbranch_execz .LBB103_106
; %bb.97:
	s_and_not1_b32 vcc_lo, exec_lo, s3
	s_cbranch_vccnz .LBB103_99
; %bb.98:
	scratch_load_b32 v84, v7, off
	ds_load_b32 v85, v1
	s_wait_loadcnt_dscnt 0x0
	v_mul_f32_e32 v84, v84, v85
	s_cbranch_execz .LBB103_100
	s_branch .LBB103_101
.LBB103_99:
                                        ; implicit-def: $vgpr84
.LBB103_100:
	ds_load_b32 v84, v1
.LBB103_101:
	s_and_saveexec_b32 s36, s1
	s_cbranch_execz .LBB103_105
; %bb.102:
	v_subrev_nc_u32_e32 v85, 29, v0
	s_movk_i32 s37, 0x114
	s_mov_b32 s1, 0
.LBB103_103:                            ; =>This Inner Loop Header: Depth=1
	scratch_load_b32 v86, off, s34
	v_dual_mov_b32 v87, s37 :: v_dual_add_nc_u32 v85, -1, v85
	s_add_co_i32 s37, s37, 4
	s_wait_xcnt 0x0
	s_add_co_i32 s34, s34, 4
	ds_load_b32 v87, v87
	v_cmp_eq_u32_e32 vcc_lo, 0, v85
	s_or_b32 s1, vcc_lo, s1
	s_wait_loadcnt_dscnt 0x0
	v_fmac_f32_e32 v84, v86, v87
	s_and_not1_b32 exec_lo, exec_lo, s1
	s_cbranch_execnz .LBB103_103
; %bb.104:
	s_or_b32 exec_lo, exec_lo, s1
.LBB103_105:
	s_delay_alu instid0(SALU_CYCLE_1)
	s_or_b32 exec_lo, exec_lo, s36
	v_mov_b32_e32 v85, 0
	ds_load_b32 v85, v85 offset:112
	s_wait_dscnt 0x0
	v_mul_f32_e32 v84, v84, v85
	scratch_store_b32 off, v84, off offset:112
.LBB103_106:
	s_wait_xcnt 0x0
	s_or_b32 exec_lo, exec_lo, s35
	scratch_load_b32 v84, off, off offset:108
	v_cmp_lt_u32_e64 s1, 27, v0
	s_wait_loadcnt 0x0
	ds_store_b32 v1, v84
	s_wait_storecnt_dscnt 0x0
	s_barrier_signal -1
	s_barrier_wait -1
	s_wait_xcnt 0x0
	s_and_saveexec_b32 s34, s1
	s_cbranch_execz .LBB103_116
; %bb.107:
	s_and_not1_b32 vcc_lo, exec_lo, s3
	s_cbranch_vccnz .LBB103_109
; %bb.108:
	scratch_load_b32 v84, v7, off
	ds_load_b32 v85, v1
	s_wait_loadcnt_dscnt 0x0
	v_mul_f32_e32 v84, v84, v85
	s_cbranch_execz .LBB103_110
	s_branch .LBB103_111
.LBB103_109:
                                        ; implicit-def: $vgpr84
.LBB103_110:
	ds_load_b32 v84, v1
.LBB103_111:
	s_and_saveexec_b32 s35, s0
	s_cbranch_execz .LBB103_115
; %bb.112:
	v_subrev_nc_u32_e32 v85, 28, v0
	s_movk_i32 s36, 0x110
	s_mov_b32 s0, 0
.LBB103_113:                            ; =>This Inner Loop Header: Depth=1
	scratch_load_b32 v86, off, s33
	v_dual_mov_b32 v87, s36 :: v_dual_add_nc_u32 v85, -1, v85
	s_add_co_i32 s36, s36, 4
	s_wait_xcnt 0x0
	s_add_co_i32 s33, s33, 4
	ds_load_b32 v87, v87
	v_cmp_eq_u32_e32 vcc_lo, 0, v85
	s_or_b32 s0, vcc_lo, s0
	s_wait_loadcnt_dscnt 0x0
	v_fmac_f32_e32 v84, v86, v87
	s_and_not1_b32 exec_lo, exec_lo, s0
	s_cbranch_execnz .LBB103_113
; %bb.114:
	s_or_b32 exec_lo, exec_lo, s0
.LBB103_115:
	s_delay_alu instid0(SALU_CYCLE_1)
	s_or_b32 exec_lo, exec_lo, s35
	v_mov_b32_e32 v85, 0
	ds_load_b32 v85, v85 offset:108
	s_wait_dscnt 0x0
	v_mul_f32_e32 v84, v84, v85
	scratch_store_b32 off, v84, off offset:108
.LBB103_116:
	;; [unrolled: 57-line block ×13, first 2 shown]
	s_wait_xcnt 0x0
	s_or_b32 exec_lo, exec_lo, s22
	scratch_load_b32 v84, off, off offset:60
	v_cmp_lt_u32_e64 s1, 15, v0
	s_wait_loadcnt 0x0
	ds_store_b32 v1, v84
	s_wait_storecnt_dscnt 0x0
	s_barrier_signal -1
	s_barrier_wait -1
	s_wait_xcnt 0x0
	s_and_saveexec_b32 s21, s1
	s_cbranch_execz .LBB103_236
; %bb.227:
	s_and_not1_b32 vcc_lo, exec_lo, s3
	s_cbranch_vccnz .LBB103_229
; %bb.228:
	scratch_load_b32 v84, v7, off
	ds_load_b32 v85, v1
	s_wait_loadcnt_dscnt 0x0
	v_mul_f32_e32 v84, v84, v85
	s_cbranch_execz .LBB103_230
	s_branch .LBB103_231
.LBB103_229:
                                        ; implicit-def: $vgpr84
.LBB103_230:
	ds_load_b32 v84, v1
.LBB103_231:
	s_and_saveexec_b32 s22, s0
	s_cbranch_execz .LBB103_235
; %bb.232:
	v_add_nc_u32_e32 v85, -16, v0
	s_movk_i32 s23, 0xe0
	s_mov_b32 s0, 0
.LBB103_233:                            ; =>This Inner Loop Header: Depth=1
	scratch_load_b32 v86, off, s20
	v_dual_mov_b32 v87, s23 :: v_dual_add_nc_u32 v85, -1, v85
	s_add_co_i32 s23, s23, 4
	s_wait_xcnt 0x0
	s_add_co_i32 s20, s20, 4
	ds_load_b32 v87, v87
	v_cmp_eq_u32_e32 vcc_lo, 0, v85
	s_or_b32 s0, vcc_lo, s0
	s_wait_loadcnt_dscnt 0x0
	v_fmac_f32_e32 v84, v86, v87
	s_and_not1_b32 exec_lo, exec_lo, s0
	s_cbranch_execnz .LBB103_233
; %bb.234:
	s_or_b32 exec_lo, exec_lo, s0
.LBB103_235:
	s_delay_alu instid0(SALU_CYCLE_1)
	s_or_b32 exec_lo, exec_lo, s22
	v_mov_b32_e32 v85, 0
	ds_load_b32 v85, v85 offset:60
	s_wait_dscnt 0x0
	v_mul_f32_e32 v84, v84, v85
	scratch_store_b32 off, v84, off offset:60
.LBB103_236:
	s_wait_xcnt 0x0
	s_or_b32 exec_lo, exec_lo, s21
	scratch_load_b32 v84, off, off offset:56
	v_cmp_lt_u32_e64 s0, 14, v0
	s_wait_loadcnt 0x0
	ds_store_b32 v1, v84
	s_wait_storecnt_dscnt 0x0
	s_barrier_signal -1
	s_barrier_wait -1
	s_wait_xcnt 0x0
	s_and_saveexec_b32 s20, s0
	s_cbranch_execz .LBB103_246
; %bb.237:
	s_and_not1_b32 vcc_lo, exec_lo, s3
	s_cbranch_vccnz .LBB103_239
; %bb.238:
	scratch_load_b32 v84, v7, off
	ds_load_b32 v85, v1
	s_wait_loadcnt_dscnt 0x0
	v_mul_f32_e32 v84, v84, v85
	s_cbranch_execz .LBB103_240
	s_branch .LBB103_241
.LBB103_239:
                                        ; implicit-def: $vgpr84
.LBB103_240:
	ds_load_b32 v84, v1
.LBB103_241:
	s_and_saveexec_b32 s21, s1
	s_cbranch_execz .LBB103_245
; %bb.242:
	v_add_nc_u32_e32 v85, -15, v0
	s_movk_i32 s22, 0xdc
	s_mov_b32 s1, 0
.LBB103_243:                            ; =>This Inner Loop Header: Depth=1
	scratch_load_b32 v86, off, s19
	v_dual_mov_b32 v87, s22 :: v_dual_add_nc_u32 v85, -1, v85
	s_add_co_i32 s22, s22, 4
	s_wait_xcnt 0x0
	s_add_co_i32 s19, s19, 4
	ds_load_b32 v87, v87
	v_cmp_eq_u32_e32 vcc_lo, 0, v85
	s_or_b32 s1, vcc_lo, s1
	s_wait_loadcnt_dscnt 0x0
	v_fmac_f32_e32 v84, v86, v87
	s_and_not1_b32 exec_lo, exec_lo, s1
	s_cbranch_execnz .LBB103_243
; %bb.244:
	s_or_b32 exec_lo, exec_lo, s1
.LBB103_245:
	s_delay_alu instid0(SALU_CYCLE_1)
	s_or_b32 exec_lo, exec_lo, s21
	v_mov_b32_e32 v85, 0
	ds_load_b32 v85, v85 offset:56
	s_wait_dscnt 0x0
	v_mul_f32_e32 v84, v84, v85
	scratch_store_b32 off, v84, off offset:56
.LBB103_246:
	;; [unrolled: 57-line block ×15, first 2 shown]
	s_wait_xcnt 0x0
	s_or_b32 exec_lo, exec_lo, s1
	scratch_load_b32 v84, off, off
	s_mov_b32 s2, 0
	s_mov_b32 s1, exec_lo
	s_wait_loadcnt 0x0
	ds_store_b32 v1, v84
	s_wait_storecnt_dscnt 0x0
	s_barrier_signal -1
	s_barrier_wait -1
	s_wait_xcnt 0x0
	v_cmpx_ne_u32_e32 0, v0
	s_cbranch_execz .LBB103_386
; %bb.377:
	s_and_not1_b32 vcc_lo, exec_lo, s3
	s_cbranch_vccnz .LBB103_379
; %bb.378:
	scratch_load_b32 v84, v7, off
	ds_load_b32 v85, v1
	s_wait_loadcnt_dscnt 0x0
	v_mul_f32_e32 v84, v84, v85
	s_cbranch_execz .LBB103_380
	s_branch .LBB103_381
.LBB103_379:
                                        ; implicit-def: $vgpr84
.LBB103_380:
	ds_load_b32 v84, v1
.LBB103_381:
	s_and_saveexec_b32 s5, s0
	s_cbranch_execz .LBB103_385
; %bb.382:
	v_add_nc_u32_e32 v85, -1, v0
	s_movk_i32 s8, 0xa4
	s_mov_b32 s0, 0
.LBB103_383:                            ; =>This Inner Loop Header: Depth=1
	scratch_load_b32 v86, off, s4
	v_dual_mov_b32 v87, s8 :: v_dual_add_nc_u32 v85, -1, v85
	s_add_co_i32 s8, s8, 4
	s_wait_xcnt 0x0
	s_add_co_i32 s4, s4, 4
	ds_load_b32 v87, v87
	v_cmp_eq_u32_e32 vcc_lo, 0, v85
	s_or_b32 s0, vcc_lo, s0
	s_wait_loadcnt_dscnt 0x0
	v_fmac_f32_e32 v84, v86, v87
	s_and_not1_b32 exec_lo, exec_lo, s0
	s_cbranch_execnz .LBB103_383
; %bb.384:
	s_or_b32 exec_lo, exec_lo, s0
.LBB103_385:
	s_delay_alu instid0(SALU_CYCLE_1)
	s_or_b32 exec_lo, exec_lo, s5
	v_mov_b32_e32 v85, 0
	ds_load_b32 v85, v85
	s_wait_dscnt 0x0
	v_mul_f32_e32 v84, v84, v85
	scratch_store_b32 off, v84, off
.LBB103_386:
	s_wait_xcnt 0x0
	s_or_b32 exec_lo, exec_lo, s1
.LBB103_387:
	v_lshl_add_u64 v[120:121], v[8:9], 2, s[6:7]
	v_lshl_add_u64 v[118:119], v[10:11], 2, s[6:7]
	;; [unrolled: 1-line block ×38, first 2 shown]
	s_and_b32 vcc_lo, exec_lo, s2
	s_cbranch_vccz .LBB103_769
; %bb.388:
	scratch_load_b32 v46, off, off offset:4
	v_cmp_eq_u32_e64 s0, 0, v0
	s_wait_loadcnt 0x0
	ds_store_b32 v1, v46
	s_wait_storecnt_dscnt 0x0
	s_barrier_signal -1
	s_barrier_wait -1
	s_wait_xcnt 0x0
	s_and_saveexec_b32 s1, s0
	s_cbranch_execz .LBB103_394
; %bb.389:
	s_and_b32 vcc_lo, exec_lo, s3
	s_cbranch_vccz .LBB103_391
; %bb.390:
	scratch_load_b32 v46, v7, off
	ds_load_b32 v47, v1
	s_wait_loadcnt_dscnt 0x0
	v_mul_f32_e32 v46, v46, v47
	s_cbranch_execz .LBB103_392
	s_branch .LBB103_393
.LBB103_391:
                                        ; implicit-def: $vgpr46
.LBB103_392:
	ds_load_b32 v46, v1
.LBB103_393:
	v_mov_b32_e32 v47, 0
	ds_load_b32 v47, v47 offset:4
	s_wait_dscnt 0x0
	v_mul_f32_e32 v46, v46, v47
	scratch_store_b32 off, v46, off offset:4
.LBB103_394:
	s_wait_xcnt 0x0
	s_or_b32 exec_lo, exec_lo, s1
	scratch_load_b32 v47, off, off offset:8
	v_cndmask_b32_e64 v46, 0, 1, s3
	s_mov_b32 s1, exec_lo
	s_wait_loadcnt 0x0
	ds_store_b32 v1, v47
	s_wait_storecnt_dscnt 0x0
	s_barrier_signal -1
	s_barrier_wait -1
	s_wait_xcnt 0x0
	v_cmpx_gt_u32_e32 2, v0
	s_cbranch_execz .LBB103_400
; %bb.395:
	s_and_not1_b32 vcc_lo, exec_lo, s3
	s_cbranch_vccnz .LBB103_397
; %bb.396:
	scratch_load_b32 v47, v7, off
	ds_load_b32 v48, v1
	s_wait_loadcnt_dscnt 0x0
	v_mul_f32_e32 v47, v47, v48
	s_cbranch_execz .LBB103_398
	s_branch .LBB103_399
.LBB103_397:
                                        ; implicit-def: $vgpr47
.LBB103_398:
	ds_load_b32 v47, v1
.LBB103_399:
	scratch_load_b32 v50, off, off offset:4
	v_mov_b32_e32 v48, 0
	ds_load_2addr_b32 v[48:49], v48 offset0:2 offset1:41
	s_wait_loadcnt_dscnt 0x0
	v_fma_f32 v49, v50, v49, v47
	s_delay_alu instid0(VALU_DEP_1) | instskip(NEXT) | instid1(VALU_DEP_1)
	v_cndmask_b32_e64 v47, v47, v49, s0
	v_mul_f32_e32 v47, v47, v48
	scratch_store_b32 off, v47, off offset:8
.LBB103_400:
	s_wait_xcnt 0x0
	s_or_b32 exec_lo, exec_lo, s1
	scratch_load_b32 v47, off, off offset:12
	s_mov_b32 s1, exec_lo
	s_wait_loadcnt 0x0
	ds_store_b32 v1, v47
	s_wait_storecnt_dscnt 0x0
	s_barrier_signal -1
	s_barrier_wait -1
	s_wait_xcnt 0x0
	v_cmpx_gt_u32_e32 3, v0
	s_cbranch_execz .LBB103_408
; %bb.401:
	v_cmp_ne_u32_e32 vcc_lo, 1, v46
	s_cbranch_vccnz .LBB103_403
; %bb.402:
	scratch_load_b32 v47, v7, off
	ds_load_b32 v48, v1
	s_wait_loadcnt_dscnt 0x0
	v_mul_f32_e32 v47, v47, v48
	s_cbranch_execz .LBB103_404
	s_branch .LBB103_405
.LBB103_403:
                                        ; implicit-def: $vgpr47
.LBB103_404:
	ds_load_b32 v47, v1
.LBB103_405:
	s_mov_b32 s2, exec_lo
	v_cmpx_ne_u32_e32 2, v0
	s_cbranch_execz .LBB103_407
; %bb.406:
	scratch_load_b32 v48, v7, off offset:4
	scratch_load_b32 v49, off, off offset:8
	ds_load_b32 v50, v1 offset:4
	v_mov_b32_e32 v51, 0
	ds_load_b32 v51, v51 offset:168
	s_wait_loadcnt_dscnt 0x101
	v_fmac_f32_e32 v47, v48, v50
	s_wait_loadcnt_dscnt 0x0
	s_delay_alu instid0(VALU_DEP_1) | instskip(NEXT) | instid1(VALU_DEP_1)
	v_fma_f32 v48, v49, v51, v47
	v_cndmask_b32_e64 v47, v47, v48, s0
.LBB103_407:
	s_or_b32 exec_lo, exec_lo, s2
	v_mov_b32_e32 v48, 0
	ds_load_b32 v48, v48 offset:12
	s_wait_dscnt 0x0
	v_mul_f32_e32 v47, v47, v48
	scratch_store_b32 off, v47, off offset:12
.LBB103_408:
	s_wait_xcnt 0x0
	s_or_b32 exec_lo, exec_lo, s1
	scratch_load_b32 v47, off, off offset:16
	s_mov_b32 s0, exec_lo
	s_wait_loadcnt 0x0
	ds_store_b32 v1, v47
	s_wait_storecnt_dscnt 0x0
	s_barrier_signal -1
	s_barrier_wait -1
	s_wait_xcnt 0x0
	v_cmpx_gt_u32_e32 4, v0
	s_cbranch_execz .LBB103_418
; %bb.409:
	v_cmp_ne_u32_e32 vcc_lo, 1, v46
	s_cbranch_vccnz .LBB103_411
; %bb.410:
	scratch_load_b32 v47, v7, off
	ds_load_b32 v48, v1
	s_wait_loadcnt_dscnt 0x0
	v_mul_f32_e32 v47, v47, v48
	s_cbranch_execz .LBB103_412
	s_branch .LBB103_413
.LBB103_411:
                                        ; implicit-def: $vgpr47
.LBB103_412:
	ds_load_b32 v47, v1
.LBB103_413:
	s_mov_b32 s1, exec_lo
	v_cmpx_ne_u32_e32 3, v0
	s_cbranch_execz .LBB103_417
; %bb.414:
	v_add_nc_u32_e32 v48, 0xa4, v6
	v_add3_u32 v49, 0, v6, 4
	v_mov_b32_e32 v50, v0
	s_mov_b32 s2, 0
.LBB103_415:                            ; =>This Inner Loop Header: Depth=1
	scratch_load_b32 v51, v49, off
	ds_load_b32 v52, v48
	v_dual_add_nc_u32 v50, 1, v50 :: v_dual_add_nc_u32 v48, 4, v48
	s_wait_xcnt 0x0
	v_add_nc_u32_e32 v49, 4, v49
	s_delay_alu instid0(VALU_DEP_2)
	v_cmp_lt_u32_e32 vcc_lo, 2, v50
	s_or_b32 s2, vcc_lo, s2
	s_wait_loadcnt_dscnt 0x0
	v_fmac_f32_e32 v47, v51, v52
	s_and_not1_b32 exec_lo, exec_lo, s2
	s_cbranch_execnz .LBB103_415
; %bb.416:
	s_or_b32 exec_lo, exec_lo, s2
.LBB103_417:
	s_delay_alu instid0(SALU_CYCLE_1)
	s_or_b32 exec_lo, exec_lo, s1
	v_mov_b32_e32 v48, 0
	ds_load_b32 v48, v48 offset:16
	s_wait_dscnt 0x0
	v_mul_f32_e32 v47, v47, v48
	scratch_store_b32 off, v47, off offset:16
.LBB103_418:
	s_wait_xcnt 0x0
	s_or_b32 exec_lo, exec_lo, s0
	scratch_load_b32 v47, off, off offset:20
	s_mov_b32 s0, exec_lo
	s_wait_loadcnt 0x0
	ds_store_b32 v1, v47
	s_wait_storecnt_dscnt 0x0
	s_barrier_signal -1
	s_barrier_wait -1
	s_wait_xcnt 0x0
	v_cmpx_gt_u32_e32 5, v0
	s_cbranch_execz .LBB103_428
; %bb.419:
	v_cmp_ne_u32_e32 vcc_lo, 1, v46
	s_cbranch_vccnz .LBB103_421
; %bb.420:
	scratch_load_b32 v47, v7, off
	ds_load_b32 v48, v1
	s_wait_loadcnt_dscnt 0x0
	v_mul_f32_e32 v47, v47, v48
	s_cbranch_execz .LBB103_422
	s_branch .LBB103_423
.LBB103_421:
                                        ; implicit-def: $vgpr47
.LBB103_422:
	ds_load_b32 v47, v1
.LBB103_423:
	s_mov_b32 s1, exec_lo
	v_cmpx_ne_u32_e32 4, v0
	s_cbranch_execz .LBB103_427
; %bb.424:
	v_add_nc_u32_e32 v48, 0xa4, v6
	v_add3_u32 v49, 0, v6, 4
	v_mov_b32_e32 v50, v0
	s_mov_b32 s2, 0
.LBB103_425:                            ; =>This Inner Loop Header: Depth=1
	scratch_load_b32 v51, v49, off
	ds_load_b32 v52, v48
	v_dual_add_nc_u32 v50, 1, v50 :: v_dual_add_nc_u32 v48, 4, v48
	s_wait_xcnt 0x0
	v_add_nc_u32_e32 v49, 4, v49
	s_delay_alu instid0(VALU_DEP_2)
	v_cmp_lt_u32_e32 vcc_lo, 3, v50
	s_or_b32 s2, vcc_lo, s2
	s_wait_loadcnt_dscnt 0x0
	v_fmac_f32_e32 v47, v51, v52
	s_and_not1_b32 exec_lo, exec_lo, s2
	s_cbranch_execnz .LBB103_425
; %bb.426:
	s_or_b32 exec_lo, exec_lo, s2
.LBB103_427:
	s_delay_alu instid0(SALU_CYCLE_1)
	s_or_b32 exec_lo, exec_lo, s1
	v_mov_b32_e32 v48, 0
	ds_load_b32 v48, v48 offset:20
	s_wait_dscnt 0x0
	v_mul_f32_e32 v47, v47, v48
	scratch_store_b32 off, v47, off offset:20
.LBB103_428:
	;; [unrolled: 59-line block ×34, first 2 shown]
	s_wait_xcnt 0x0
	s_or_b32 exec_lo, exec_lo, s0
	scratch_load_b32 v47, off, off offset:152
	v_cmp_gt_u32_e64 s0, 38, v0
	s_wait_loadcnt 0x0
	ds_store_b32 v1, v47
	s_wait_storecnt_dscnt 0x0
	s_barrier_signal -1
	s_barrier_wait -1
	s_wait_xcnt 0x0
	s_and_saveexec_b32 s1, s0
	s_cbranch_execz .LBB103_758
; %bb.749:
	v_cmp_ne_u32_e32 vcc_lo, 1, v46
	s_cbranch_vccnz .LBB103_751
; %bb.750:
	scratch_load_b32 v47, v7, off
	ds_load_b32 v48, v1
	s_wait_loadcnt_dscnt 0x0
	v_mul_f32_e32 v47, v47, v48
	s_cbranch_execz .LBB103_752
	s_branch .LBB103_753
.LBB103_751:
                                        ; implicit-def: $vgpr47
.LBB103_752:
	ds_load_b32 v47, v1
.LBB103_753:
	s_mov_b32 s2, exec_lo
	v_cmpx_ne_u32_e32 37, v0
	s_cbranch_execz .LBB103_757
; %bb.754:
	v_add_nc_u32_e32 v48, 0xa4, v6
	v_add3_u32 v49, 0, v6, 4
	v_mov_b32_e32 v50, v0
	s_mov_b32 s3, 0
.LBB103_755:                            ; =>This Inner Loop Header: Depth=1
	scratch_load_b32 v51, v49, off
	ds_load_b32 v52, v48
	v_dual_add_nc_u32 v50, 1, v50 :: v_dual_add_nc_u32 v48, 4, v48
	s_wait_xcnt 0x0
	v_add_nc_u32_e32 v49, 4, v49
	s_delay_alu instid0(VALU_DEP_2)
	v_cmp_lt_u32_e32 vcc_lo, 36, v50
	s_or_b32 s3, vcc_lo, s3
	s_wait_loadcnt_dscnt 0x0
	v_fmac_f32_e32 v47, v51, v52
	s_and_not1_b32 exec_lo, exec_lo, s3
	s_cbranch_execnz .LBB103_755
; %bb.756:
	s_or_b32 exec_lo, exec_lo, s3
.LBB103_757:
	s_delay_alu instid0(SALU_CYCLE_1)
	s_or_b32 exec_lo, exec_lo, s2
	v_mov_b32_e32 v48, 0
	ds_load_b32 v48, v48 offset:152
	s_wait_dscnt 0x0
	v_mul_f32_e32 v47, v47, v48
	scratch_store_b32 off, v47, off offset:152
.LBB103_758:
	s_wait_xcnt 0x0
	s_or_b32 exec_lo, exec_lo, s1
	scratch_load_b32 v47, off, off offset:156
	s_mov_b32 s1, exec_lo
	s_wait_loadcnt 0x0
	ds_store_b32 v1, v47
	s_wait_storecnt_dscnt 0x0
	s_barrier_signal -1
	s_barrier_wait -1
	s_wait_xcnt 0x0
	v_cmpx_ne_u32_e32 39, v0
	s_cbranch_execz .LBB103_768
; %bb.759:
	v_cmp_ne_u32_e32 vcc_lo, 1, v46
	s_cbranch_vccnz .LBB103_761
; %bb.760:
	scratch_load_b32 v7, v7, off
	ds_load_b32 v46, v1
	s_wait_loadcnt_dscnt 0x0
	v_mul_f32_e32 v7, v7, v46
	s_cbranch_execz .LBB103_762
	s_branch .LBB103_763
.LBB103_761:
                                        ; implicit-def: $vgpr7
.LBB103_762:
	ds_load_b32 v7, v1
.LBB103_763:
	s_and_saveexec_b32 s2, s0
	s_cbranch_execz .LBB103_767
; %bb.764:
	v_add_nc_u32_e32 v1, 0xa4, v6
	v_add3_u32 v6, 0, v6, 4
	s_mov_b32 s0, 0
.LBB103_765:                            ; =>This Inner Loop Header: Depth=1
	scratch_load_b32 v46, v6, off
	ds_load_b32 v47, v1
	v_dual_add_nc_u32 v0, 1, v0 :: v_dual_add_nc_u32 v1, 4, v1
	s_wait_xcnt 0x0
	v_add_nc_u32_e32 v6, 4, v6
	s_delay_alu instid0(VALU_DEP_2)
	v_cmp_lt_u32_e32 vcc_lo, 37, v0
	s_or_b32 s0, vcc_lo, s0
	s_wait_loadcnt_dscnt 0x0
	v_fmac_f32_e32 v7, v46, v47
	s_and_not1_b32 exec_lo, exec_lo, s0
	s_cbranch_execnz .LBB103_765
; %bb.766:
	s_or_b32 exec_lo, exec_lo, s0
.LBB103_767:
	s_delay_alu instid0(SALU_CYCLE_1)
	s_or_b32 exec_lo, exec_lo, s2
	v_mov_b32_e32 v0, 0
	ds_load_b32 v0, v0 offset:156
	s_wait_dscnt 0x0
	v_mul_f32_e32 v0, v7, v0
	scratch_store_b32 off, v0, off offset:156
.LBB103_768:
	s_wait_xcnt 0x0
	s_or_b32 exec_lo, exec_lo, s1
.LBB103_769:
	scratch_load_b32 v0, off, off
	s_wait_loadcnt 0x0
	flat_store_b32 v[2:3], v0
	scratch_load_b32 v0, off, off offset:4
	s_wait_loadcnt 0x0
	flat_store_b32 v[4:5], v0
	scratch_load_b32 v0, off, off offset:8
	;; [unrolled: 3-line block ×39, first 2 shown]
	s_wait_loadcnt 0x0
	flat_store_b32 v[8:9], v0
.LBB103_770:
	s_sendmsg sendmsg(MSG_DEALLOC_VGPRS)
	s_endpgm
	.section	.rodata,"a",@progbits
	.p2align	6, 0x0
	.amdhsa_kernel _ZN9rocsolver6v33100L18trti2_kernel_smallILi40EfPKPfEEv13rocblas_fill_17rocblas_diagonal_T1_iil
		.amdhsa_group_segment_fixed_size 320
		.amdhsa_private_segment_fixed_size 176
		.amdhsa_kernarg_size 32
		.amdhsa_user_sgpr_count 2
		.amdhsa_user_sgpr_dispatch_ptr 0
		.amdhsa_user_sgpr_queue_ptr 0
		.amdhsa_user_sgpr_kernarg_segment_ptr 1
		.amdhsa_user_sgpr_dispatch_id 0
		.amdhsa_user_sgpr_kernarg_preload_length 0
		.amdhsa_user_sgpr_kernarg_preload_offset 0
		.amdhsa_user_sgpr_private_segment_size 0
		.amdhsa_wavefront_size32 1
		.amdhsa_uses_dynamic_stack 0
		.amdhsa_enable_private_segment 1
		.amdhsa_system_sgpr_workgroup_id_x 1
		.amdhsa_system_sgpr_workgroup_id_y 0
		.amdhsa_system_sgpr_workgroup_id_z 0
		.amdhsa_system_sgpr_workgroup_info 0
		.amdhsa_system_vgpr_workitem_id 0
		.amdhsa_next_free_vgpr 122
		.amdhsa_next_free_sgpr 46
		.amdhsa_named_barrier_count 0
		.amdhsa_reserve_vcc 1
		.amdhsa_float_round_mode_32 0
		.amdhsa_float_round_mode_16_64 0
		.amdhsa_float_denorm_mode_32 3
		.amdhsa_float_denorm_mode_16_64 3
		.amdhsa_fp16_overflow 0
		.amdhsa_memory_ordered 1
		.amdhsa_forward_progress 1
		.amdhsa_inst_pref_size 180
		.amdhsa_round_robin_scheduling 0
		.amdhsa_exception_fp_ieee_invalid_op 0
		.amdhsa_exception_fp_denorm_src 0
		.amdhsa_exception_fp_ieee_div_zero 0
		.amdhsa_exception_fp_ieee_overflow 0
		.amdhsa_exception_fp_ieee_underflow 0
		.amdhsa_exception_fp_ieee_inexact 0
		.amdhsa_exception_int_div_zero 0
	.end_amdhsa_kernel
	.section	.text._ZN9rocsolver6v33100L18trti2_kernel_smallILi40EfPKPfEEv13rocblas_fill_17rocblas_diagonal_T1_iil,"axG",@progbits,_ZN9rocsolver6v33100L18trti2_kernel_smallILi40EfPKPfEEv13rocblas_fill_17rocblas_diagonal_T1_iil,comdat
.Lfunc_end103:
	.size	_ZN9rocsolver6v33100L18trti2_kernel_smallILi40EfPKPfEEv13rocblas_fill_17rocblas_diagonal_T1_iil, .Lfunc_end103-_ZN9rocsolver6v33100L18trti2_kernel_smallILi40EfPKPfEEv13rocblas_fill_17rocblas_diagonal_T1_iil
                                        ; -- End function
	.set _ZN9rocsolver6v33100L18trti2_kernel_smallILi40EfPKPfEEv13rocblas_fill_17rocblas_diagonal_T1_iil.num_vgpr, 122
	.set _ZN9rocsolver6v33100L18trti2_kernel_smallILi40EfPKPfEEv13rocblas_fill_17rocblas_diagonal_T1_iil.num_agpr, 0
	.set _ZN9rocsolver6v33100L18trti2_kernel_smallILi40EfPKPfEEv13rocblas_fill_17rocblas_diagonal_T1_iil.numbered_sgpr, 46
	.set _ZN9rocsolver6v33100L18trti2_kernel_smallILi40EfPKPfEEv13rocblas_fill_17rocblas_diagonal_T1_iil.num_named_barrier, 0
	.set _ZN9rocsolver6v33100L18trti2_kernel_smallILi40EfPKPfEEv13rocblas_fill_17rocblas_diagonal_T1_iil.private_seg_size, 176
	.set _ZN9rocsolver6v33100L18trti2_kernel_smallILi40EfPKPfEEv13rocblas_fill_17rocblas_diagonal_T1_iil.uses_vcc, 1
	.set _ZN9rocsolver6v33100L18trti2_kernel_smallILi40EfPKPfEEv13rocblas_fill_17rocblas_diagonal_T1_iil.uses_flat_scratch, 0
	.set _ZN9rocsolver6v33100L18trti2_kernel_smallILi40EfPKPfEEv13rocblas_fill_17rocblas_diagonal_T1_iil.has_dyn_sized_stack, 0
	.set _ZN9rocsolver6v33100L18trti2_kernel_smallILi40EfPKPfEEv13rocblas_fill_17rocblas_diagonal_T1_iil.has_recursion, 0
	.set _ZN9rocsolver6v33100L18trti2_kernel_smallILi40EfPKPfEEv13rocblas_fill_17rocblas_diagonal_T1_iil.has_indirect_call, 0
	.section	.AMDGPU.csdata,"",@progbits
; Kernel info:
; codeLenInByte = 22972
; TotalNumSgprs: 48
; NumVgprs: 122
; ScratchSize: 176
; MemoryBound: 0
; FloatMode: 240
; IeeeMode: 1
; LDSByteSize: 320 bytes/workgroup (compile time only)
; SGPRBlocks: 0
; VGPRBlocks: 7
; NumSGPRsForWavesPerEU: 48
; NumVGPRsForWavesPerEU: 122
; NamedBarCnt: 0
; Occupancy: 8
; WaveLimiterHint : 1
; COMPUTE_PGM_RSRC2:SCRATCH_EN: 1
; COMPUTE_PGM_RSRC2:USER_SGPR: 2
; COMPUTE_PGM_RSRC2:TRAP_HANDLER: 0
; COMPUTE_PGM_RSRC2:TGID_X_EN: 1
; COMPUTE_PGM_RSRC2:TGID_Y_EN: 0
; COMPUTE_PGM_RSRC2:TGID_Z_EN: 0
; COMPUTE_PGM_RSRC2:TIDIG_COMP_CNT: 0
	.section	.text._ZN9rocsolver6v33100L18trti2_kernel_smallILi41EfPKPfEEv13rocblas_fill_17rocblas_diagonal_T1_iil,"axG",@progbits,_ZN9rocsolver6v33100L18trti2_kernel_smallILi41EfPKPfEEv13rocblas_fill_17rocblas_diagonal_T1_iil,comdat
	.globl	_ZN9rocsolver6v33100L18trti2_kernel_smallILi41EfPKPfEEv13rocblas_fill_17rocblas_diagonal_T1_iil ; -- Begin function _ZN9rocsolver6v33100L18trti2_kernel_smallILi41EfPKPfEEv13rocblas_fill_17rocblas_diagonal_T1_iil
	.p2align	8
	.type	_ZN9rocsolver6v33100L18trti2_kernel_smallILi41EfPKPfEEv13rocblas_fill_17rocblas_diagonal_T1_iil,@function
_ZN9rocsolver6v33100L18trti2_kernel_smallILi41EfPKPfEEv13rocblas_fill_17rocblas_diagonal_T1_iil: ; @_ZN9rocsolver6v33100L18trti2_kernel_smallILi41EfPKPfEEv13rocblas_fill_17rocblas_diagonal_T1_iil
; %bb.0:
	s_mov_b32 s2, exec_lo
	v_cmpx_gt_u32_e32 41, v0
	s_cbranch_execz .LBB104_790
; %bb.1:
	s_clause 0x1
	s_load_b64 s[8:9], s[0:1], 0x10
	s_load_b128 s[4:7], s[0:1], 0x0
	s_wait_xcnt 0x0
	s_bfe_u32 s0, ttmp6, 0x4000c
	s_and_b32 s1, ttmp6, 15
	s_add_co_i32 s0, s0, 1
	s_getreg_b32 s2, hwreg(HW_REG_IB_STS2, 6, 4)
	s_mul_i32 s0, ttmp9, s0
	v_dual_mov_b32 v7, 0 :: v_dual_lshlrev_b32 v6, 2, v0
	s_add_co_i32 s0, s1, s0
	v_mov_b32_e32 v86, -1.0
	s_wait_kmcnt 0x0
	s_ashr_i32 s1, s8, 31
	s_cmp_eq_u32 s2, 0
	v_add3_u32 v8, s9, s9, v0
	s_cselect_b32 s2, ttmp9, s0
	s_mov_b32 s0, s8
	s_ashr_i32 s3, s2, 31
	s_lshl_b64 s[0:1], s[0:1], 2
	s_lshl_b64 s[2:3], s[2:3], 3
	v_add_nc_u32_e32 v10, s9, v8
	s_add_nc_u64 s[2:3], s[6:7], s[2:3]
	v_ashrrev_i32_e32 v9, 31, v8
	s_load_b64 s[2:3], s[2:3], 0x0
	s_delay_alu instid0(VALU_DEP_2) | instskip(NEXT) | instid1(VALU_DEP_1)
	v_add_nc_u32_e32 v12, s9, v10
	v_add_nc_u32_e32 v14, s9, v12
	s_delay_alu instid0(VALU_DEP_1) | instskip(NEXT) | instid1(VALU_DEP_1)
	v_add_nc_u32_e32 v16, s9, v14
	v_dual_ashrrev_i32 v11, 31, v10 :: v_dual_add_nc_u32 v18, s9, v16
	v_ashrrev_i32_e32 v17, 31, v16
	s_wait_kmcnt 0x0
	s_add_nc_u64 s[2:3], s[2:3], s[0:1]
	s_mov_b32 s0, s9
	flat_load_b32 v1, v0, s[2:3] scale_offset
	v_add_nc_u64_e32 v[2:3], s[2:3], v[6:7]
	s_ashr_i32 s1, s9, 31
	v_dual_add_nc_u32 v20, s9, v18 :: v_dual_ashrrev_i32 v13, 31, v12
	v_ashrrev_i32_e32 v15, 31, v14
	v_ashrrev_i32_e32 v19, 31, v18
	s_cmp_lg_u32 s5, 0x84
	s_delay_alu instid0(VALU_DEP_4) | instskip(SKIP_4) | instid1(VALU_DEP_1)
	v_lshl_add_u64 v[4:5], s[0:1], 2, v[2:3]
	v_add_nc_u32_e32 v22, s9, v20
	s_cselect_b32 s6, -1, 0
	s_cmp_eq_u32 s5, 0x84
	s_movk_i32 s1, 0x84
	v_add_nc_u32_e32 v24, s9, v22
	s_delay_alu instid0(VALU_DEP_1) | instskip(NEXT) | instid1(VALU_DEP_1)
	v_add_nc_u32_e32 v26, s9, v24
	v_dual_add_nc_u32 v28, s9, v26 :: v_dual_ashrrev_i32 v21, 31, v20
	s_delay_alu instid0(VALU_DEP_1) | instskip(NEXT) | instid1(VALU_DEP_1)
	v_dual_ashrrev_i32 v23, 31, v22 :: v_dual_add_nc_u32 v30, s9, v28
	v_dual_ashrrev_i32 v29, 31, v28 :: v_dual_ashrrev_i32 v31, 31, v30
	v_dual_add_nc_u32 v32, s9, v30 :: v_dual_ashrrev_i32 v25, 31, v24
	s_delay_alu instid0(VALU_DEP_1) | instskip(NEXT) | instid1(VALU_DEP_1)
	v_dual_ashrrev_i32 v27, 31, v26 :: v_dual_add_nc_u32 v34, s9, v32
	v_add_nc_u32_e32 v36, s9, v34
	s_delay_alu instid0(VALU_DEP_1) | instskip(NEXT) | instid1(VALU_DEP_1)
	v_add_nc_u32_e32 v38, s9, v36
	v_dual_add_nc_u32 v40, s9, v38 :: v_dual_ashrrev_i32 v33, 31, v32
	s_delay_alu instid0(VALU_DEP_1) | instskip(NEXT) | instid1(VALU_DEP_1)
	v_dual_ashrrev_i32 v35, 31, v34 :: v_dual_add_nc_u32 v42, s9, v40
	v_dual_ashrrev_i32 v41, 31, v40 :: v_dual_ashrrev_i32 v43, 31, v42
	v_dual_add_nc_u32 v44, s9, v42 :: v_dual_ashrrev_i32 v37, 31, v36
	s_delay_alu instid0(VALU_DEP_1) | instskip(NEXT) | instid1(VALU_DEP_1)
	v_dual_ashrrev_i32 v39, 31, v38 :: v_dual_add_nc_u32 v46, s9, v44
	;; [unrolled: 10-line block ×5, first 2 shown]
	v_dual_ashrrev_i32 v81, 31, v80 :: v_dual_ashrrev_i32 v83, 31, v82
	v_add_nc_u32_e32 v84, s9, v82
	s_delay_alu instid0(VALU_DEP_1)
	v_ashrrev_i32_e32 v85, 31, v84
	s_wait_loadcnt_dscnt 0x0
	scratch_store_b32 off, v1, off
	flat_load_b32 v1, v[4:5]
	s_wait_loadcnt_dscnt 0x0
	scratch_store_b32 off, v1, off offset:4
	flat_load_b32 v1, v8, s[2:3] scale_offset
	s_wait_loadcnt_dscnt 0x0
	scratch_store_b32 off, v1, off offset:8
	flat_load_b32 v1, v10, s[2:3] scale_offset
	;; [unrolled: 3-line block ×39, first 2 shown]
	s_wait_loadcnt_dscnt 0x0
	scratch_store_b32 off, v1, off offset:160
	s_cbranch_scc1 .LBB104_3
; %bb.2:
	scratch_load_b32 v1, v0, off scale_offset
	s_wait_loadcnt 0x0
	v_div_scale_f32 v7, null, v1, v1, 1.0
	s_delay_alu instid0(VALU_DEP_1) | instskip(SKIP_1) | instid1(TRANS32_DEP_1)
	v_rcp_f32_e32 v86, v7
	v_nop
	v_fma_f32 v87, -v7, v86, 1.0
	s_delay_alu instid0(VALU_DEP_1) | instskip(SKIP_1) | instid1(VALU_DEP_1)
	v_fmac_f32_e32 v86, v87, v86
	v_div_scale_f32 v87, vcc_lo, 1.0, v1, 1.0
	v_mul_f32_e32 v88, v87, v86
	s_delay_alu instid0(VALU_DEP_1) | instskip(NEXT) | instid1(VALU_DEP_1)
	v_fma_f32 v89, -v7, v88, v87
	v_fmac_f32_e32 v88, v89, v86
	s_delay_alu instid0(VALU_DEP_1) | instskip(NEXT) | instid1(VALU_DEP_1)
	v_fma_f32 v7, -v7, v88, v87
	v_div_fmas_f32 v7, v7, v86, v88
	s_delay_alu instid0(VALU_DEP_1) | instskip(NEXT) | instid1(VALU_DEP_1)
	v_div_fixup_f32 v1, v7, v1, 1.0
	v_xor_b32_e32 v86, 0x80000000, v1
	scratch_store_b32 v0, v1, off scale_offset
.LBB104_3:
	s_wait_xcnt 0x0
	v_add_nc_u32_e32 v1, 0xb0, v6
	v_mov_b32_e32 v7, v6
	s_cmp_eq_u32 s4, 0x79
	s_mov_b32 s5, -1
	ds_store_b32 v6, v86
	s_cbranch_scc1 .LBB104_397
; %bb.4:
	scratch_load_b32 v86, off, off offset:156
	v_cmp_eq_u32_e64 s0, 40, v0
	s_movk_i32 s21, 0x44
	s_movk_i32 s22, 0x48
	;; [unrolled: 1-line block ×21, first 2 shown]
	s_wait_loadcnt 0x0
	ds_store_b32 v1, v86
	s_wait_storecnt_dscnt 0x0
	s_barrier_signal -1
	s_barrier_wait -1
	s_wait_xcnt 0x0
	s_and_saveexec_b32 s4, s0
	s_cbranch_execz .LBB104_10
; %bb.5:
	s_and_b32 vcc_lo, exec_lo, s6
	s_cbranch_vccz .LBB104_7
; %bb.6:
	scratch_load_b32 v86, v7, off
	ds_load_b32 v87, v1
	s_wait_loadcnt_dscnt 0x0
	v_mul_f32_e32 v86, v86, v87
	s_cbranch_execz .LBB104_8
	s_branch .LBB104_9
.LBB104_7:
                                        ; implicit-def: $vgpr86
	s_and_not1_b32 vcc_lo, exec_lo, s5
	s_cbranch_vccnz .LBB104_9
.LBB104_8:
	ds_load_b32 v86, v1
.LBB104_9:
	v_mov_b32_e32 v87, 0
	ds_load_b32 v87, v87 offset:156
	s_wait_dscnt 0x0
	v_mul_f32_e32 v86, v86, v87
	scratch_store_b32 off, v86, off offset:156
.LBB104_10:
	s_wait_xcnt 0x0
	s_or_b32 exec_lo, exec_lo, s4
	scratch_load_b32 v86, off, off offset:152
	s_mov_b32 s38, s1
	v_cmp_lt_u32_e64 s1, 38, v0
	s_or_b32 s4, 0, 4
	s_or_b32 s5, 0, 8
	;; [unrolled: 1-line block ×3, first 2 shown]
	s_mov_b32 s8, 16
	s_mov_b32 s9, 20
	;; [unrolled: 1-line block ×13, first 2 shown]
	s_wait_loadcnt 0x0
	ds_store_b32 v1, v86
	s_wait_storecnt_dscnt 0x0
	s_barrier_signal -1
	s_barrier_wait -1
	s_wait_xcnt 0x0
	s_and_saveexec_b32 s44, s1
	s_cbranch_execz .LBB104_16
; %bb.11:
	s_and_not1_b32 vcc_lo, exec_lo, s6
	s_cbranch_vccnz .LBB104_13
; %bb.12:
	scratch_load_b32 v86, v7, off
	ds_load_b32 v87, v1
	s_wait_loadcnt_dscnt 0x0
	v_mul_f32_e32 v86, v86, v87
	s_cbranch_execz .LBB104_14
	s_branch .LBB104_15
.LBB104_13:
                                        ; implicit-def: $vgpr86
.LBB104_14:
	ds_load_b32 v86, v1
.LBB104_15:
	scratch_load_b32 v87, off, off offset:156
	v_mov_b32_e32 v88, 0
	ds_load_2addr_b32 v[88:89], v88 offset0:38 offset1:83
	s_wait_loadcnt_dscnt 0x0
	v_fma_f32 v87, v87, v89, v86
	s_delay_alu instid0(VALU_DEP_1) | instskip(NEXT) | instid1(VALU_DEP_1)
	v_cndmask_b32_e64 v86, v86, v87, s0
	v_mul_f32_e32 v86, v86, v88
	scratch_store_b32 off, v86, off offset:152
.LBB104_16:
	s_wait_xcnt 0x0
	s_or_b32 exec_lo, exec_lo, s44
	scratch_load_b32 v86, off, off offset:148
	v_cmp_lt_u32_e64 s0, 37, v0
	s_wait_loadcnt 0x0
	ds_store_b32 v1, v86
	s_wait_storecnt_dscnt 0x0
	s_barrier_signal -1
	s_barrier_wait -1
	s_wait_xcnt 0x0
	s_and_saveexec_b32 s44, s0
	s_cbranch_execz .LBB104_26
; %bb.17:
	s_and_not1_b32 vcc_lo, exec_lo, s6
	s_cbranch_vccnz .LBB104_19
; %bb.18:
	scratch_load_b32 v86, v7, off
	ds_load_b32 v87, v1
	s_wait_loadcnt_dscnt 0x0
	v_mul_f32_e32 v86, v86, v87
	s_cbranch_execz .LBB104_20
	s_branch .LBB104_21
.LBB104_19:
                                        ; implicit-def: $vgpr86
.LBB104_20:
	ds_load_b32 v86, v1
.LBB104_21:
	s_and_saveexec_b32 s45, s1
	s_cbranch_execz .LBB104_25
; %bb.22:
	v_subrev_nc_u32_e32 v87, 38, v0
	s_movk_i32 s46, 0x148
	s_mov_b32 s1, 0
.LBB104_23:                             ; =>This Inner Loop Header: Depth=1
	scratch_load_b32 v88, off, s43
	v_dual_mov_b32 v89, s46 :: v_dual_add_nc_u32 v87, -1, v87
	s_add_co_i32 s46, s46, 4
	s_wait_xcnt 0x0
	s_add_co_i32 s43, s43, 4
	ds_load_b32 v89, v89
	v_cmp_eq_u32_e32 vcc_lo, 0, v87
	s_or_b32 s1, vcc_lo, s1
	s_wait_loadcnt_dscnt 0x0
	v_fmac_f32_e32 v86, v88, v89
	s_and_not1_b32 exec_lo, exec_lo, s1
	s_cbranch_execnz .LBB104_23
; %bb.24:
	s_or_b32 exec_lo, exec_lo, s1
.LBB104_25:
	s_delay_alu instid0(SALU_CYCLE_1)
	s_or_b32 exec_lo, exec_lo, s45
	v_mov_b32_e32 v87, 0
	ds_load_b32 v87, v87 offset:148
	s_wait_dscnt 0x0
	v_mul_f32_e32 v86, v86, v87
	scratch_store_b32 off, v86, off offset:148
.LBB104_26:
	s_wait_xcnt 0x0
	s_or_b32 exec_lo, exec_lo, s44
	scratch_load_b32 v86, off, off offset:144
	v_cmp_lt_u32_e64 s1, 36, v0
	s_wait_loadcnt 0x0
	ds_store_b32 v1, v86
	s_wait_storecnt_dscnt 0x0
	s_barrier_signal -1
	s_barrier_wait -1
	s_wait_xcnt 0x0
	s_and_saveexec_b32 s43, s1
	s_cbranch_execz .LBB104_36
; %bb.27:
	s_and_not1_b32 vcc_lo, exec_lo, s6
	s_cbranch_vccnz .LBB104_29
; %bb.28:
	scratch_load_b32 v86, v7, off
	ds_load_b32 v87, v1
	s_wait_loadcnt_dscnt 0x0
	v_mul_f32_e32 v86, v86, v87
	s_cbranch_execz .LBB104_30
	s_branch .LBB104_31
.LBB104_29:
                                        ; implicit-def: $vgpr86
.LBB104_30:
	ds_load_b32 v86, v1
.LBB104_31:
	s_and_saveexec_b32 s44, s0
	s_cbranch_execz .LBB104_35
; %bb.32:
	v_subrev_nc_u32_e32 v87, 37, v0
	s_movk_i32 s45, 0x144
	s_mov_b32 s0, 0
.LBB104_33:                             ; =>This Inner Loop Header: Depth=1
	scratch_load_b32 v88, off, s42
	v_dual_mov_b32 v89, s45 :: v_dual_add_nc_u32 v87, -1, v87
	s_add_co_i32 s45, s45, 4
	s_wait_xcnt 0x0
	s_add_co_i32 s42, s42, 4
	ds_load_b32 v89, v89
	v_cmp_eq_u32_e32 vcc_lo, 0, v87
	s_or_b32 s0, vcc_lo, s0
	s_wait_loadcnt_dscnt 0x0
	v_fmac_f32_e32 v86, v88, v89
	s_and_not1_b32 exec_lo, exec_lo, s0
	s_cbranch_execnz .LBB104_33
; %bb.34:
	s_or_b32 exec_lo, exec_lo, s0
.LBB104_35:
	s_delay_alu instid0(SALU_CYCLE_1)
	s_or_b32 exec_lo, exec_lo, s44
	v_mov_b32_e32 v87, 0
	ds_load_b32 v87, v87 offset:144
	s_wait_dscnt 0x0
	v_mul_f32_e32 v86, v86, v87
	scratch_store_b32 off, v86, off offset:144
.LBB104_36:
	;; [unrolled: 57-line block ×8, first 2 shown]
	s_wait_xcnt 0x0
	s_or_b32 exec_lo, exec_lo, s37
	scratch_load_b32 v86, off, off offset:116
	v_cmp_lt_u32_e64 s0, 29, v0
	s_wait_loadcnt 0x0
	ds_store_b32 v1, v86
	s_wait_storecnt_dscnt 0x0
	s_barrier_signal -1
	s_barrier_wait -1
	s_wait_xcnt 0x0
	s_and_saveexec_b32 s36, s0
	s_cbranch_execz .LBB104_106
; %bb.97:
	s_and_not1_b32 vcc_lo, exec_lo, s6
	s_cbranch_vccnz .LBB104_99
; %bb.98:
	scratch_load_b32 v86, v7, off
	ds_load_b32 v87, v1
	s_wait_loadcnt_dscnt 0x0
	v_mul_f32_e32 v86, v86, v87
	s_cbranch_execz .LBB104_100
	s_branch .LBB104_101
.LBB104_99:
                                        ; implicit-def: $vgpr86
.LBB104_100:
	ds_load_b32 v86, v1
.LBB104_101:
	s_and_saveexec_b32 s37, s1
	s_cbranch_execz .LBB104_105
; %bb.102:
	v_subrev_nc_u32_e32 v87, 30, v0
	s_movk_i32 s38, 0x128
	s_mov_b32 s1, 0
.LBB104_103:                            ; =>This Inner Loop Header: Depth=1
	scratch_load_b32 v88, off, s35
	v_dual_mov_b32 v89, s38 :: v_dual_add_nc_u32 v87, -1, v87
	s_add_co_i32 s38, s38, 4
	s_wait_xcnt 0x0
	s_add_co_i32 s35, s35, 4
	ds_load_b32 v89, v89
	v_cmp_eq_u32_e32 vcc_lo, 0, v87
	s_or_b32 s1, vcc_lo, s1
	s_wait_loadcnt_dscnt 0x0
	v_fmac_f32_e32 v86, v88, v89
	s_and_not1_b32 exec_lo, exec_lo, s1
	s_cbranch_execnz .LBB104_103
; %bb.104:
	s_or_b32 exec_lo, exec_lo, s1
.LBB104_105:
	s_delay_alu instid0(SALU_CYCLE_1)
	s_or_b32 exec_lo, exec_lo, s37
	v_mov_b32_e32 v87, 0
	ds_load_b32 v87, v87 offset:116
	s_wait_dscnt 0x0
	v_mul_f32_e32 v86, v86, v87
	scratch_store_b32 off, v86, off offset:116
.LBB104_106:
	s_wait_xcnt 0x0
	s_or_b32 exec_lo, exec_lo, s36
	scratch_load_b32 v86, off, off offset:112
	v_cmp_lt_u32_e64 s1, 28, v0
	s_wait_loadcnt 0x0
	ds_store_b32 v1, v86
	s_wait_storecnt_dscnt 0x0
	s_barrier_signal -1
	s_barrier_wait -1
	s_wait_xcnt 0x0
	s_and_saveexec_b32 s35, s1
	s_cbranch_execz .LBB104_116
; %bb.107:
	s_and_not1_b32 vcc_lo, exec_lo, s6
	s_cbranch_vccnz .LBB104_109
; %bb.108:
	scratch_load_b32 v86, v7, off
	ds_load_b32 v87, v1
	s_wait_loadcnt_dscnt 0x0
	v_mul_f32_e32 v86, v86, v87
	s_cbranch_execz .LBB104_110
	s_branch .LBB104_111
.LBB104_109:
                                        ; implicit-def: $vgpr86
.LBB104_110:
	ds_load_b32 v86, v1
.LBB104_111:
	s_and_saveexec_b32 s36, s0
	s_cbranch_execz .LBB104_115
; %bb.112:
	v_subrev_nc_u32_e32 v87, 29, v0
	s_movk_i32 s37, 0x124
	s_mov_b32 s0, 0
.LBB104_113:                            ; =>This Inner Loop Header: Depth=1
	scratch_load_b32 v88, off, s34
	v_dual_mov_b32 v89, s37 :: v_dual_add_nc_u32 v87, -1, v87
	s_add_co_i32 s37, s37, 4
	s_wait_xcnt 0x0
	s_add_co_i32 s34, s34, 4
	ds_load_b32 v89, v89
	v_cmp_eq_u32_e32 vcc_lo, 0, v87
	s_or_b32 s0, vcc_lo, s0
	s_wait_loadcnt_dscnt 0x0
	v_fmac_f32_e32 v86, v88, v89
	s_and_not1_b32 exec_lo, exec_lo, s0
	s_cbranch_execnz .LBB104_113
; %bb.114:
	s_or_b32 exec_lo, exec_lo, s0
.LBB104_115:
	s_delay_alu instid0(SALU_CYCLE_1)
	s_or_b32 exec_lo, exec_lo, s36
	v_mov_b32_e32 v87, 0
	ds_load_b32 v87, v87 offset:112
	s_wait_dscnt 0x0
	v_mul_f32_e32 v86, v86, v87
	scratch_store_b32 off, v86, off offset:112
.LBB104_116:
	;; [unrolled: 57-line block ×14, first 2 shown]
	s_wait_xcnt 0x0
	s_or_b32 exec_lo, exec_lo, s22
	scratch_load_b32 v86, off, off offset:60
	v_cmp_lt_u32_e64 s0, 15, v0
	s_wait_loadcnt 0x0
	ds_store_b32 v1, v86
	s_wait_storecnt_dscnt 0x0
	s_barrier_signal -1
	s_barrier_wait -1
	s_wait_xcnt 0x0
	s_and_saveexec_b32 s21, s0
	s_cbranch_execz .LBB104_246
; %bb.237:
	s_and_not1_b32 vcc_lo, exec_lo, s6
	s_cbranch_vccnz .LBB104_239
; %bb.238:
	scratch_load_b32 v86, v7, off
	ds_load_b32 v87, v1
	s_wait_loadcnt_dscnt 0x0
	v_mul_f32_e32 v86, v86, v87
	s_cbranch_execz .LBB104_240
	s_branch .LBB104_241
.LBB104_239:
                                        ; implicit-def: $vgpr86
.LBB104_240:
	ds_load_b32 v86, v1
.LBB104_241:
	s_and_saveexec_b32 s22, s1
	s_cbranch_execz .LBB104_245
; %bb.242:
	v_add_nc_u32_e32 v87, -16, v0
	s_movk_i32 s23, 0xf0
	s_mov_b32 s1, 0
.LBB104_243:                            ; =>This Inner Loop Header: Depth=1
	scratch_load_b32 v88, off, s20
	v_dual_mov_b32 v89, s23 :: v_dual_add_nc_u32 v87, -1, v87
	s_add_co_i32 s23, s23, 4
	s_wait_xcnt 0x0
	s_add_co_i32 s20, s20, 4
	ds_load_b32 v89, v89
	v_cmp_eq_u32_e32 vcc_lo, 0, v87
	s_or_b32 s1, vcc_lo, s1
	s_wait_loadcnt_dscnt 0x0
	v_fmac_f32_e32 v86, v88, v89
	s_and_not1_b32 exec_lo, exec_lo, s1
	s_cbranch_execnz .LBB104_243
; %bb.244:
	s_or_b32 exec_lo, exec_lo, s1
.LBB104_245:
	s_delay_alu instid0(SALU_CYCLE_1)
	s_or_b32 exec_lo, exec_lo, s22
	v_mov_b32_e32 v87, 0
	ds_load_b32 v87, v87 offset:60
	s_wait_dscnt 0x0
	v_mul_f32_e32 v86, v86, v87
	scratch_store_b32 off, v86, off offset:60
.LBB104_246:
	s_wait_xcnt 0x0
	s_or_b32 exec_lo, exec_lo, s21
	scratch_load_b32 v86, off, off offset:56
	v_cmp_lt_u32_e64 s1, 14, v0
	s_wait_loadcnt 0x0
	ds_store_b32 v1, v86
	s_wait_storecnt_dscnt 0x0
	s_barrier_signal -1
	s_barrier_wait -1
	s_wait_xcnt 0x0
	s_and_saveexec_b32 s20, s1
	s_cbranch_execz .LBB104_256
; %bb.247:
	s_and_not1_b32 vcc_lo, exec_lo, s6
	s_cbranch_vccnz .LBB104_249
; %bb.248:
	scratch_load_b32 v86, v7, off
	ds_load_b32 v87, v1
	s_wait_loadcnt_dscnt 0x0
	v_mul_f32_e32 v86, v86, v87
	s_cbranch_execz .LBB104_250
	s_branch .LBB104_251
.LBB104_249:
                                        ; implicit-def: $vgpr86
.LBB104_250:
	ds_load_b32 v86, v1
.LBB104_251:
	s_and_saveexec_b32 s21, s0
	s_cbranch_execz .LBB104_255
; %bb.252:
	v_add_nc_u32_e32 v87, -15, v0
	s_movk_i32 s22, 0xec
	s_mov_b32 s0, 0
.LBB104_253:                            ; =>This Inner Loop Header: Depth=1
	scratch_load_b32 v88, off, s19
	v_dual_mov_b32 v89, s22 :: v_dual_add_nc_u32 v87, -1, v87
	s_add_co_i32 s22, s22, 4
	s_wait_xcnt 0x0
	s_add_co_i32 s19, s19, 4
	ds_load_b32 v89, v89
	v_cmp_eq_u32_e32 vcc_lo, 0, v87
	s_or_b32 s0, vcc_lo, s0
	s_wait_loadcnt_dscnt 0x0
	v_fmac_f32_e32 v86, v88, v89
	s_and_not1_b32 exec_lo, exec_lo, s0
	s_cbranch_execnz .LBB104_253
; %bb.254:
	s_or_b32 exec_lo, exec_lo, s0
.LBB104_255:
	s_delay_alu instid0(SALU_CYCLE_1)
	s_or_b32 exec_lo, exec_lo, s21
	v_mov_b32_e32 v87, 0
	ds_load_b32 v87, v87 offset:56
	s_wait_dscnt 0x0
	v_mul_f32_e32 v86, v86, v87
	scratch_store_b32 off, v86, off offset:56
.LBB104_256:
	;; [unrolled: 57-line block ×15, first 2 shown]
	s_wait_xcnt 0x0
	s_or_b32 exec_lo, exec_lo, s7
	scratch_load_b32 v86, off, off
	s_mov_b32 s5, 0
	s_mov_b32 s1, exec_lo
	s_wait_loadcnt 0x0
	ds_store_b32 v1, v86
	s_wait_storecnt_dscnt 0x0
	s_barrier_signal -1
	s_barrier_wait -1
	s_wait_xcnt 0x0
	v_cmpx_ne_u32_e32 0, v0
	s_cbranch_execz .LBB104_396
; %bb.387:
	s_and_not1_b32 vcc_lo, exec_lo, s6
	s_cbranch_vccnz .LBB104_389
; %bb.388:
	scratch_load_b32 v86, v7, off
	ds_load_b32 v87, v1
	s_wait_loadcnt_dscnt 0x0
	v_mul_f32_e32 v86, v86, v87
	s_cbranch_execz .LBB104_390
	s_branch .LBB104_391
.LBB104_389:
                                        ; implicit-def: $vgpr86
.LBB104_390:
	ds_load_b32 v86, v1
.LBB104_391:
	s_and_saveexec_b32 s7, s0
	s_cbranch_execz .LBB104_395
; %bb.392:
	v_add_nc_u32_e32 v87, -1, v0
	s_movk_i32 s8, 0xb4
	s_mov_b32 s0, 0
.LBB104_393:                            ; =>This Inner Loop Header: Depth=1
	scratch_load_b32 v88, off, s4
	v_dual_mov_b32 v89, s8 :: v_dual_add_nc_u32 v87, -1, v87
	s_add_co_i32 s8, s8, 4
	s_wait_xcnt 0x0
	s_add_co_i32 s4, s4, 4
	ds_load_b32 v89, v89
	v_cmp_eq_u32_e32 vcc_lo, 0, v87
	s_or_b32 s0, vcc_lo, s0
	s_wait_loadcnt_dscnt 0x0
	v_fmac_f32_e32 v86, v88, v89
	s_and_not1_b32 exec_lo, exec_lo, s0
	s_cbranch_execnz .LBB104_393
; %bb.394:
	s_or_b32 exec_lo, exec_lo, s0
.LBB104_395:
	s_delay_alu instid0(SALU_CYCLE_1)
	s_or_b32 exec_lo, exec_lo, s7
	v_mov_b32_e32 v87, 0
	ds_load_b32 v87, v87
	s_wait_dscnt 0x0
	v_mul_f32_e32 v86, v86, v87
	scratch_store_b32 off, v86, off
.LBB104_396:
	s_wait_xcnt 0x0
	s_or_b32 exec_lo, exec_lo, s1
.LBB104_397:
	v_lshl_add_u64 v[122:123], v[8:9], 2, s[2:3]
	v_lshl_add_u64 v[120:121], v[10:11], 2, s[2:3]
	;; [unrolled: 1-line block ×39, first 2 shown]
	s_and_b32 vcc_lo, exec_lo, s5
	s_cbranch_vccz .LBB104_789
; %bb.398:
	scratch_load_b32 v48, off, off offset:4
	v_cmp_eq_u32_e64 s0, 0, v0
	s_wait_loadcnt 0x0
	ds_store_b32 v1, v48
	s_wait_storecnt_dscnt 0x0
	s_barrier_signal -1
	s_barrier_wait -1
	s_wait_xcnt 0x0
	s_and_saveexec_b32 s1, s0
	s_cbranch_execz .LBB104_404
; %bb.399:
	s_and_b32 vcc_lo, exec_lo, s6
	s_cbranch_vccz .LBB104_401
; %bb.400:
	scratch_load_b32 v48, v7, off
	ds_load_b32 v49, v1
	s_wait_loadcnt_dscnt 0x0
	v_mul_f32_e32 v48, v48, v49
	s_cbranch_execz .LBB104_402
	s_branch .LBB104_403
.LBB104_401:
                                        ; implicit-def: $vgpr48
.LBB104_402:
	ds_load_b32 v48, v1
.LBB104_403:
	v_mov_b32_e32 v49, 0
	ds_load_b32 v49, v49 offset:4
	s_wait_dscnt 0x0
	v_mul_f32_e32 v48, v48, v49
	scratch_store_b32 off, v48, off offset:4
.LBB104_404:
	s_wait_xcnt 0x0
	s_or_b32 exec_lo, exec_lo, s1
	scratch_load_b32 v49, off, off offset:8
	v_cndmask_b32_e64 v48, 0, 1, s6
	s_mov_b32 s1, exec_lo
	s_wait_loadcnt 0x0
	ds_store_b32 v1, v49
	s_wait_storecnt_dscnt 0x0
	s_barrier_signal -1
	s_barrier_wait -1
	s_wait_xcnt 0x0
	v_cmpx_gt_u32_e32 2, v0
	s_cbranch_execz .LBB104_410
; %bb.405:
	s_and_not1_b32 vcc_lo, exec_lo, s6
	s_cbranch_vccnz .LBB104_407
; %bb.406:
	scratch_load_b32 v49, v7, off
	ds_load_b32 v50, v1
	s_wait_loadcnt_dscnt 0x0
	v_mul_f32_e32 v49, v49, v50
	s_cbranch_execz .LBB104_408
	s_branch .LBB104_409
.LBB104_407:
                                        ; implicit-def: $vgpr49
.LBB104_408:
	ds_load_b32 v49, v1
.LBB104_409:
	scratch_load_b32 v52, off, off offset:4
	v_mov_b32_e32 v50, 0
	ds_load_2addr_b32 v[50:51], v50 offset0:2 offset1:45
	s_wait_loadcnt_dscnt 0x0
	v_fma_f32 v51, v52, v51, v49
	s_delay_alu instid0(VALU_DEP_1) | instskip(NEXT) | instid1(VALU_DEP_1)
	v_cndmask_b32_e64 v49, v49, v51, s0
	v_mul_f32_e32 v49, v49, v50
	scratch_store_b32 off, v49, off offset:8
.LBB104_410:
	s_wait_xcnt 0x0
	s_or_b32 exec_lo, exec_lo, s1
	scratch_load_b32 v49, off, off offset:12
	s_mov_b32 s1, exec_lo
	s_wait_loadcnt 0x0
	ds_store_b32 v1, v49
	s_wait_storecnt_dscnt 0x0
	s_barrier_signal -1
	s_barrier_wait -1
	s_wait_xcnt 0x0
	v_cmpx_gt_u32_e32 3, v0
	s_cbranch_execz .LBB104_418
; %bb.411:
	v_cmp_ne_u32_e32 vcc_lo, 1, v48
	s_cbranch_vccnz .LBB104_413
; %bb.412:
	scratch_load_b32 v49, v7, off
	ds_load_b32 v50, v1
	s_wait_loadcnt_dscnt 0x0
	v_mul_f32_e32 v49, v49, v50
	s_cbranch_execz .LBB104_414
	s_branch .LBB104_415
.LBB104_413:
                                        ; implicit-def: $vgpr49
.LBB104_414:
	ds_load_b32 v49, v1
.LBB104_415:
	s_mov_b32 s2, exec_lo
	v_cmpx_ne_u32_e32 2, v0
	s_cbranch_execz .LBB104_417
; %bb.416:
	scratch_load_b32 v50, v7, off offset:4
	scratch_load_b32 v51, off, off offset:8
	ds_load_b32 v52, v1 offset:4
	v_mov_b32_e32 v53, 0
	ds_load_b32 v53, v53 offset:184
	s_wait_loadcnt_dscnt 0x101
	v_fmac_f32_e32 v49, v50, v52
	s_wait_loadcnt_dscnt 0x0
	s_delay_alu instid0(VALU_DEP_1) | instskip(NEXT) | instid1(VALU_DEP_1)
	v_fma_f32 v50, v51, v53, v49
	v_cndmask_b32_e64 v49, v49, v50, s0
.LBB104_417:
	s_or_b32 exec_lo, exec_lo, s2
	v_mov_b32_e32 v50, 0
	ds_load_b32 v50, v50 offset:12
	s_wait_dscnt 0x0
	v_mul_f32_e32 v49, v49, v50
	scratch_store_b32 off, v49, off offset:12
.LBB104_418:
	s_wait_xcnt 0x0
	s_or_b32 exec_lo, exec_lo, s1
	scratch_load_b32 v49, off, off offset:16
	s_mov_b32 s0, exec_lo
	s_wait_loadcnt 0x0
	ds_store_b32 v1, v49
	s_wait_storecnt_dscnt 0x0
	s_barrier_signal -1
	s_barrier_wait -1
	s_wait_xcnt 0x0
	v_cmpx_gt_u32_e32 4, v0
	s_cbranch_execz .LBB104_428
; %bb.419:
	v_cmp_ne_u32_e32 vcc_lo, 1, v48
	s_cbranch_vccnz .LBB104_421
; %bb.420:
	scratch_load_b32 v49, v7, off
	ds_load_b32 v50, v1
	s_wait_loadcnt_dscnt 0x0
	v_mul_f32_e32 v49, v49, v50
	s_cbranch_execz .LBB104_422
	s_branch .LBB104_423
.LBB104_421:
                                        ; implicit-def: $vgpr49
.LBB104_422:
	ds_load_b32 v49, v1
.LBB104_423:
	s_mov_b32 s1, exec_lo
	v_cmpx_ne_u32_e32 3, v0
	s_cbranch_execz .LBB104_427
; %bb.424:
	v_add_nc_u32_e32 v50, 0xb4, v6
	v_add3_u32 v51, 0, v6, 4
	v_mov_b32_e32 v52, v0
	s_mov_b32 s2, 0
.LBB104_425:                            ; =>This Inner Loop Header: Depth=1
	scratch_load_b32 v53, v51, off
	ds_load_b32 v54, v50
	v_dual_add_nc_u32 v52, 1, v52 :: v_dual_add_nc_u32 v50, 4, v50
	s_wait_xcnt 0x0
	v_add_nc_u32_e32 v51, 4, v51
	s_delay_alu instid0(VALU_DEP_2)
	v_cmp_lt_u32_e32 vcc_lo, 2, v52
	s_or_b32 s2, vcc_lo, s2
	s_wait_loadcnt_dscnt 0x0
	v_fmac_f32_e32 v49, v53, v54
	s_and_not1_b32 exec_lo, exec_lo, s2
	s_cbranch_execnz .LBB104_425
; %bb.426:
	s_or_b32 exec_lo, exec_lo, s2
.LBB104_427:
	s_delay_alu instid0(SALU_CYCLE_1)
	s_or_b32 exec_lo, exec_lo, s1
	v_mov_b32_e32 v50, 0
	ds_load_b32 v50, v50 offset:16
	s_wait_dscnt 0x0
	v_mul_f32_e32 v49, v49, v50
	scratch_store_b32 off, v49, off offset:16
.LBB104_428:
	s_wait_xcnt 0x0
	s_or_b32 exec_lo, exec_lo, s0
	scratch_load_b32 v49, off, off offset:20
	s_mov_b32 s0, exec_lo
	s_wait_loadcnt 0x0
	ds_store_b32 v1, v49
	s_wait_storecnt_dscnt 0x0
	s_barrier_signal -1
	s_barrier_wait -1
	s_wait_xcnt 0x0
	v_cmpx_gt_u32_e32 5, v0
	s_cbranch_execz .LBB104_438
; %bb.429:
	v_cmp_ne_u32_e32 vcc_lo, 1, v48
	s_cbranch_vccnz .LBB104_431
; %bb.430:
	scratch_load_b32 v49, v7, off
	ds_load_b32 v50, v1
	s_wait_loadcnt_dscnt 0x0
	v_mul_f32_e32 v49, v49, v50
	s_cbranch_execz .LBB104_432
	s_branch .LBB104_433
.LBB104_431:
                                        ; implicit-def: $vgpr49
.LBB104_432:
	ds_load_b32 v49, v1
.LBB104_433:
	s_mov_b32 s1, exec_lo
	v_cmpx_ne_u32_e32 4, v0
	s_cbranch_execz .LBB104_437
; %bb.434:
	v_add_nc_u32_e32 v50, 0xb4, v6
	v_add3_u32 v51, 0, v6, 4
	v_mov_b32_e32 v52, v0
	s_mov_b32 s2, 0
.LBB104_435:                            ; =>This Inner Loop Header: Depth=1
	scratch_load_b32 v53, v51, off
	ds_load_b32 v54, v50
	v_dual_add_nc_u32 v52, 1, v52 :: v_dual_add_nc_u32 v50, 4, v50
	s_wait_xcnt 0x0
	v_add_nc_u32_e32 v51, 4, v51
	s_delay_alu instid0(VALU_DEP_2)
	v_cmp_lt_u32_e32 vcc_lo, 3, v52
	s_or_b32 s2, vcc_lo, s2
	s_wait_loadcnt_dscnt 0x0
	v_fmac_f32_e32 v49, v53, v54
	s_and_not1_b32 exec_lo, exec_lo, s2
	s_cbranch_execnz .LBB104_435
; %bb.436:
	s_or_b32 exec_lo, exec_lo, s2
.LBB104_437:
	s_delay_alu instid0(SALU_CYCLE_1)
	s_or_b32 exec_lo, exec_lo, s1
	v_mov_b32_e32 v50, 0
	ds_load_b32 v50, v50 offset:20
	s_wait_dscnt 0x0
	v_mul_f32_e32 v49, v49, v50
	scratch_store_b32 off, v49, off offset:20
.LBB104_438:
	;; [unrolled: 59-line block ×35, first 2 shown]
	s_wait_xcnt 0x0
	s_or_b32 exec_lo, exec_lo, s0
	scratch_load_b32 v49, off, off offset:156
	v_cmp_gt_u32_e64 s0, 39, v0
	s_wait_loadcnt 0x0
	ds_store_b32 v1, v49
	s_wait_storecnt_dscnt 0x0
	s_barrier_signal -1
	s_barrier_wait -1
	s_wait_xcnt 0x0
	s_and_saveexec_b32 s1, s0
	s_cbranch_execz .LBB104_778
; %bb.769:
	v_cmp_ne_u32_e32 vcc_lo, 1, v48
	s_cbranch_vccnz .LBB104_771
; %bb.770:
	scratch_load_b32 v49, v7, off
	ds_load_b32 v50, v1
	s_wait_loadcnt_dscnt 0x0
	v_mul_f32_e32 v49, v49, v50
	s_cbranch_execz .LBB104_772
	s_branch .LBB104_773
.LBB104_771:
                                        ; implicit-def: $vgpr49
.LBB104_772:
	ds_load_b32 v49, v1
.LBB104_773:
	s_mov_b32 s2, exec_lo
	v_cmpx_ne_u32_e32 38, v0
	s_cbranch_execz .LBB104_777
; %bb.774:
	v_add_nc_u32_e32 v50, 0xb4, v6
	v_add3_u32 v51, 0, v6, 4
	v_mov_b32_e32 v52, v0
	s_mov_b32 s3, 0
.LBB104_775:                            ; =>This Inner Loop Header: Depth=1
	scratch_load_b32 v53, v51, off
	ds_load_b32 v54, v50
	v_dual_add_nc_u32 v52, 1, v52 :: v_dual_add_nc_u32 v50, 4, v50
	s_wait_xcnt 0x0
	v_add_nc_u32_e32 v51, 4, v51
	s_delay_alu instid0(VALU_DEP_2)
	v_cmp_lt_u32_e32 vcc_lo, 37, v52
	s_or_b32 s3, vcc_lo, s3
	s_wait_loadcnt_dscnt 0x0
	v_fmac_f32_e32 v49, v53, v54
	s_and_not1_b32 exec_lo, exec_lo, s3
	s_cbranch_execnz .LBB104_775
; %bb.776:
	s_or_b32 exec_lo, exec_lo, s3
.LBB104_777:
	s_delay_alu instid0(SALU_CYCLE_1)
	s_or_b32 exec_lo, exec_lo, s2
	v_mov_b32_e32 v50, 0
	ds_load_b32 v50, v50 offset:156
	s_wait_dscnt 0x0
	v_mul_f32_e32 v49, v49, v50
	scratch_store_b32 off, v49, off offset:156
.LBB104_778:
	s_wait_xcnt 0x0
	s_or_b32 exec_lo, exec_lo, s1
	scratch_load_b32 v49, off, off offset:160
	s_mov_b32 s1, exec_lo
	s_wait_loadcnt 0x0
	ds_store_b32 v1, v49
	s_wait_storecnt_dscnt 0x0
	s_barrier_signal -1
	s_barrier_wait -1
	s_wait_xcnt 0x0
	v_cmpx_ne_u32_e32 40, v0
	s_cbranch_execz .LBB104_788
; %bb.779:
	v_cmp_ne_u32_e32 vcc_lo, 1, v48
	s_cbranch_vccnz .LBB104_781
; %bb.780:
	scratch_load_b32 v7, v7, off
	ds_load_b32 v48, v1
	s_wait_loadcnt_dscnt 0x0
	v_mul_f32_e32 v7, v7, v48
	s_cbranch_execz .LBB104_782
	s_branch .LBB104_783
.LBB104_781:
                                        ; implicit-def: $vgpr7
.LBB104_782:
	ds_load_b32 v7, v1
.LBB104_783:
	s_and_saveexec_b32 s2, s0
	s_cbranch_execz .LBB104_787
; %bb.784:
	v_add_nc_u32_e32 v1, 0xb4, v6
	v_add3_u32 v6, 0, v6, 4
	s_mov_b32 s0, 0
.LBB104_785:                            ; =>This Inner Loop Header: Depth=1
	scratch_load_b32 v48, v6, off
	ds_load_b32 v49, v1
	v_dual_add_nc_u32 v0, 1, v0 :: v_dual_add_nc_u32 v1, 4, v1
	s_wait_xcnt 0x0
	v_add_nc_u32_e32 v6, 4, v6
	s_delay_alu instid0(VALU_DEP_2)
	v_cmp_lt_u32_e32 vcc_lo, 38, v0
	s_or_b32 s0, vcc_lo, s0
	s_wait_loadcnt_dscnt 0x0
	v_fmac_f32_e32 v7, v48, v49
	s_and_not1_b32 exec_lo, exec_lo, s0
	s_cbranch_execnz .LBB104_785
; %bb.786:
	s_or_b32 exec_lo, exec_lo, s0
.LBB104_787:
	s_delay_alu instid0(SALU_CYCLE_1)
	s_or_b32 exec_lo, exec_lo, s2
	v_mov_b32_e32 v0, 0
	ds_load_b32 v0, v0 offset:160
	s_wait_dscnt 0x0
	v_mul_f32_e32 v0, v7, v0
	scratch_store_b32 off, v0, off offset:160
.LBB104_788:
	s_wait_xcnt 0x0
	s_or_b32 exec_lo, exec_lo, s1
.LBB104_789:
	scratch_load_b32 v0, off, off
	s_wait_loadcnt 0x0
	flat_store_b32 v[2:3], v0
	scratch_load_b32 v0, off, off offset:4
	s_wait_loadcnt 0x0
	flat_store_b32 v[4:5], v0
	scratch_load_b32 v0, off, off offset:8
	;; [unrolled: 3-line block ×40, first 2 shown]
	s_wait_loadcnt 0x0
	flat_store_b32 v[8:9], v0
.LBB104_790:
	s_sendmsg sendmsg(MSG_DEALLOC_VGPRS)
	s_endpgm
	.section	.rodata,"a",@progbits
	.p2align	6, 0x0
	.amdhsa_kernel _ZN9rocsolver6v33100L18trti2_kernel_smallILi41EfPKPfEEv13rocblas_fill_17rocblas_diagonal_T1_iil
		.amdhsa_group_segment_fixed_size 340
		.amdhsa_private_segment_fixed_size 176
		.amdhsa_kernarg_size 32
		.amdhsa_user_sgpr_count 2
		.amdhsa_user_sgpr_dispatch_ptr 0
		.amdhsa_user_sgpr_queue_ptr 0
		.amdhsa_user_sgpr_kernarg_segment_ptr 1
		.amdhsa_user_sgpr_dispatch_id 0
		.amdhsa_user_sgpr_kernarg_preload_length 0
		.amdhsa_user_sgpr_kernarg_preload_offset 0
		.amdhsa_user_sgpr_private_segment_size 0
		.amdhsa_wavefront_size32 1
		.amdhsa_uses_dynamic_stack 0
		.amdhsa_enable_private_segment 1
		.amdhsa_system_sgpr_workgroup_id_x 1
		.amdhsa_system_sgpr_workgroup_id_y 0
		.amdhsa_system_sgpr_workgroup_id_z 0
		.amdhsa_system_sgpr_workgroup_info 0
		.amdhsa_system_vgpr_workitem_id 0
		.amdhsa_next_free_vgpr 124
		.amdhsa_next_free_sgpr 47
		.amdhsa_named_barrier_count 0
		.amdhsa_reserve_vcc 1
		.amdhsa_float_round_mode_32 0
		.amdhsa_float_round_mode_16_64 0
		.amdhsa_float_denorm_mode_32 3
		.amdhsa_float_denorm_mode_16_64 3
		.amdhsa_fp16_overflow 0
		.amdhsa_memory_ordered 1
		.amdhsa_forward_progress 1
		.amdhsa_inst_pref_size 185
		.amdhsa_round_robin_scheduling 0
		.amdhsa_exception_fp_ieee_invalid_op 0
		.amdhsa_exception_fp_denorm_src 0
		.amdhsa_exception_fp_ieee_div_zero 0
		.amdhsa_exception_fp_ieee_overflow 0
		.amdhsa_exception_fp_ieee_underflow 0
		.amdhsa_exception_fp_ieee_inexact 0
		.amdhsa_exception_int_div_zero 0
	.end_amdhsa_kernel
	.section	.text._ZN9rocsolver6v33100L18trti2_kernel_smallILi41EfPKPfEEv13rocblas_fill_17rocblas_diagonal_T1_iil,"axG",@progbits,_ZN9rocsolver6v33100L18trti2_kernel_smallILi41EfPKPfEEv13rocblas_fill_17rocblas_diagonal_T1_iil,comdat
.Lfunc_end104:
	.size	_ZN9rocsolver6v33100L18trti2_kernel_smallILi41EfPKPfEEv13rocblas_fill_17rocblas_diagonal_T1_iil, .Lfunc_end104-_ZN9rocsolver6v33100L18trti2_kernel_smallILi41EfPKPfEEv13rocblas_fill_17rocblas_diagonal_T1_iil
                                        ; -- End function
	.set _ZN9rocsolver6v33100L18trti2_kernel_smallILi41EfPKPfEEv13rocblas_fill_17rocblas_diagonal_T1_iil.num_vgpr, 124
	.set _ZN9rocsolver6v33100L18trti2_kernel_smallILi41EfPKPfEEv13rocblas_fill_17rocblas_diagonal_T1_iil.num_agpr, 0
	.set _ZN9rocsolver6v33100L18trti2_kernel_smallILi41EfPKPfEEv13rocblas_fill_17rocblas_diagonal_T1_iil.numbered_sgpr, 47
	.set _ZN9rocsolver6v33100L18trti2_kernel_smallILi41EfPKPfEEv13rocblas_fill_17rocblas_diagonal_T1_iil.num_named_barrier, 0
	.set _ZN9rocsolver6v33100L18trti2_kernel_smallILi41EfPKPfEEv13rocblas_fill_17rocblas_diagonal_T1_iil.private_seg_size, 176
	.set _ZN9rocsolver6v33100L18trti2_kernel_smallILi41EfPKPfEEv13rocblas_fill_17rocblas_diagonal_T1_iil.uses_vcc, 1
	.set _ZN9rocsolver6v33100L18trti2_kernel_smallILi41EfPKPfEEv13rocblas_fill_17rocblas_diagonal_T1_iil.uses_flat_scratch, 0
	.set _ZN9rocsolver6v33100L18trti2_kernel_smallILi41EfPKPfEEv13rocblas_fill_17rocblas_diagonal_T1_iil.has_dyn_sized_stack, 0
	.set _ZN9rocsolver6v33100L18trti2_kernel_smallILi41EfPKPfEEv13rocblas_fill_17rocblas_diagonal_T1_iil.has_recursion, 0
	.set _ZN9rocsolver6v33100L18trti2_kernel_smallILi41EfPKPfEEv13rocblas_fill_17rocblas_diagonal_T1_iil.has_indirect_call, 0
	.section	.AMDGPU.csdata,"",@progbits
; Kernel info:
; codeLenInByte = 23572
; TotalNumSgprs: 49
; NumVgprs: 124
; ScratchSize: 176
; MemoryBound: 0
; FloatMode: 240
; IeeeMode: 1
; LDSByteSize: 340 bytes/workgroup (compile time only)
; SGPRBlocks: 0
; VGPRBlocks: 7
; NumSGPRsForWavesPerEU: 49
; NumVGPRsForWavesPerEU: 124
; NamedBarCnt: 0
; Occupancy: 8
; WaveLimiterHint : 1
; COMPUTE_PGM_RSRC2:SCRATCH_EN: 1
; COMPUTE_PGM_RSRC2:USER_SGPR: 2
; COMPUTE_PGM_RSRC2:TRAP_HANDLER: 0
; COMPUTE_PGM_RSRC2:TGID_X_EN: 1
; COMPUTE_PGM_RSRC2:TGID_Y_EN: 0
; COMPUTE_PGM_RSRC2:TGID_Z_EN: 0
; COMPUTE_PGM_RSRC2:TIDIG_COMP_CNT: 0
	.section	.text._ZN9rocsolver6v33100L18trti2_kernel_smallILi42EfPKPfEEv13rocblas_fill_17rocblas_diagonal_T1_iil,"axG",@progbits,_ZN9rocsolver6v33100L18trti2_kernel_smallILi42EfPKPfEEv13rocblas_fill_17rocblas_diagonal_T1_iil,comdat
	.globl	_ZN9rocsolver6v33100L18trti2_kernel_smallILi42EfPKPfEEv13rocblas_fill_17rocblas_diagonal_T1_iil ; -- Begin function _ZN9rocsolver6v33100L18trti2_kernel_smallILi42EfPKPfEEv13rocblas_fill_17rocblas_diagonal_T1_iil
	.p2align	8
	.type	_ZN9rocsolver6v33100L18trti2_kernel_smallILi42EfPKPfEEv13rocblas_fill_17rocblas_diagonal_T1_iil,@function
_ZN9rocsolver6v33100L18trti2_kernel_smallILi42EfPKPfEEv13rocblas_fill_17rocblas_diagonal_T1_iil: ; @_ZN9rocsolver6v33100L18trti2_kernel_smallILi42EfPKPfEEv13rocblas_fill_17rocblas_diagonal_T1_iil
; %bb.0:
	s_mov_b32 s2, exec_lo
	v_cmpx_gt_u32_e32 42, v0
	s_cbranch_execz .LBB105_810
; %bb.1:
	s_clause 0x1
	s_load_b64 s[2:3], s[0:1], 0x10
	s_load_b128 s[4:7], s[0:1], 0x0
	s_wait_xcnt 0x0
	s_bfe_u32 s0, ttmp6, 0x4000c
	s_and_b32 s1, ttmp6, 15
	s_add_co_i32 s0, s0, 1
	s_getreg_b32 s8, hwreg(HW_REG_IB_STS2, 6, 4)
	s_mul_i32 s0, ttmp9, s0
	v_dual_mov_b32 v7, 0 :: v_dual_lshlrev_b32 v6, 2, v0
	s_add_co_i32 s0, s1, s0
	v_mov_b32_e32 v88, -1.0
	s_wait_kmcnt 0x0
	s_ashr_i32 s1, s2, 31
	s_cmp_eq_u32 s8, 0
	v_add3_u32 v8, s3, s3, v0
	s_cselect_b32 s8, ttmp9, s0
	s_mov_b32 s0, s2
	s_ashr_i32 s9, s8, 31
	s_lshl_b64 s[0:1], s[0:1], 2
	s_lshl_b64 s[8:9], s[8:9], 3
	v_add_nc_u32_e32 v10, s3, v8
	s_add_nc_u64 s[6:7], s[6:7], s[8:9]
	v_ashrrev_i32_e32 v9, 31, v8
	s_load_b64 s[6:7], s[6:7], 0x0
	s_delay_alu instid0(VALU_DEP_2) | instskip(NEXT) | instid1(VALU_DEP_1)
	v_add_nc_u32_e32 v12, s3, v10
	v_add_nc_u32_e32 v14, s3, v12
	s_delay_alu instid0(VALU_DEP_1) | instskip(NEXT) | instid1(VALU_DEP_1)
	v_add_nc_u32_e32 v16, s3, v14
	v_dual_ashrrev_i32 v11, 31, v10 :: v_dual_add_nc_u32 v18, s3, v16
	v_ashrrev_i32_e32 v13, 31, v12
	s_wait_kmcnt 0x0
	s_add_nc_u64 s[6:7], s[6:7], s[0:1]
	s_mov_b32 s0, s3
	flat_load_b32 v1, v0, s[6:7] scale_offset
	v_add_nc_u64_e32 v[2:3], s[6:7], v[6:7]
	s_ashr_i32 s1, s3, 31
	v_add_nc_u32_e32 v20, s3, v18
	v_ashrrev_i32_e32 v15, 31, v14
	v_ashrrev_i32_e32 v19, 31, v18
	s_cmp_lg_u32 s5, 0x84
	s_delay_alu instid0(VALU_DEP_4) | instskip(SKIP_2) | instid1(VALU_DEP_1)
	v_lshl_add_u64 v[4:5], s[0:1], 2, v[2:3]
	v_add_nc_u32_e32 v22, s3, v20
	s_movk_i32 s1, 0x84
	v_add_nc_u32_e32 v24, s3, v22
	s_delay_alu instid0(VALU_DEP_1) | instskip(NEXT) | instid1(VALU_DEP_1)
	v_add_nc_u32_e32 v26, s3, v24
	v_dual_add_nc_u32 v28, s3, v26 :: v_dual_ashrrev_i32 v17, 31, v16
	s_delay_alu instid0(VALU_DEP_1) | instskip(NEXT) | instid1(VALU_DEP_1)
	v_dual_ashrrev_i32 v23, 31, v22 :: v_dual_add_nc_u32 v30, s3, v28
	v_dual_ashrrev_i32 v25, 31, v24 :: v_dual_ashrrev_i32 v31, 31, v30
	v_dual_add_nc_u32 v32, s3, v30 :: v_dual_ashrrev_i32 v21, 31, v20
	s_delay_alu instid0(VALU_DEP_1) | instskip(NEXT) | instid1(VALU_DEP_1)
	v_dual_ashrrev_i32 v27, 31, v26 :: v_dual_add_nc_u32 v34, s3, v32
	v_add_nc_u32_e32 v36, s3, v34
	s_delay_alu instid0(VALU_DEP_1) | instskip(NEXT) | instid1(VALU_DEP_1)
	v_add_nc_u32_e32 v38, s3, v36
	v_dual_add_nc_u32 v40, s3, v38 :: v_dual_ashrrev_i32 v29, 31, v28
	s_delay_alu instid0(VALU_DEP_1) | instskip(NEXT) | instid1(VALU_DEP_1)
	v_dual_ashrrev_i32 v35, 31, v34 :: v_dual_add_nc_u32 v42, s3, v40
	v_dual_ashrrev_i32 v37, 31, v36 :: v_dual_ashrrev_i32 v43, 31, v42
	v_dual_add_nc_u32 v44, s3, v42 :: v_dual_ashrrev_i32 v33, 31, v32
	s_delay_alu instid0(VALU_DEP_1) | instskip(NEXT) | instid1(VALU_DEP_1)
	v_dual_ashrrev_i32 v39, 31, v38 :: v_dual_add_nc_u32 v46, s3, v44
	;; [unrolled: 10-line block ×5, first 2 shown]
	v_dual_ashrrev_i32 v77, 31, v76 :: v_dual_ashrrev_i32 v83, 31, v82
	v_add_nc_u32_e32 v84, s3, v82
	s_delay_alu instid0(VALU_DEP_1)
	v_add_nc_u32_e32 v86, s3, v84
	v_ashrrev_i32_e32 v81, 31, v80
	v_ashrrev_i32_e32 v85, 31, v84
	s_cselect_b32 s3, -1, 0
	s_cmp_eq_u32 s5, 0x84
	v_ashrrev_i32_e32 v87, 31, v86
	s_wait_loadcnt_dscnt 0x0
	scratch_store_b32 off, v1, off
	flat_load_b32 v1, v[4:5]
	s_wait_loadcnt_dscnt 0x0
	scratch_store_b32 off, v1, off offset:4
	flat_load_b32 v1, v8, s[6:7] scale_offset
	s_wait_loadcnt_dscnt 0x0
	scratch_store_b32 off, v1, off offset:8
	flat_load_b32 v1, v10, s[6:7] scale_offset
	;; [unrolled: 3-line block ×40, first 2 shown]
	s_wait_loadcnt_dscnt 0x0
	scratch_store_b32 off, v1, off offset:164
	s_cbranch_scc1 .LBB105_3
; %bb.2:
	scratch_load_b32 v1, v0, off scale_offset
	s_wait_loadcnt 0x0
	v_div_scale_f32 v7, null, v1, v1, 1.0
	s_delay_alu instid0(VALU_DEP_1) | instskip(SKIP_1) | instid1(TRANS32_DEP_1)
	v_rcp_f32_e32 v88, v7
	v_nop
	v_fma_f32 v89, -v7, v88, 1.0
	s_delay_alu instid0(VALU_DEP_1) | instskip(SKIP_1) | instid1(VALU_DEP_1)
	v_fmac_f32_e32 v88, v89, v88
	v_div_scale_f32 v89, vcc_lo, 1.0, v1, 1.0
	v_mul_f32_e32 v90, v89, v88
	s_delay_alu instid0(VALU_DEP_1) | instskip(NEXT) | instid1(VALU_DEP_1)
	v_fma_f32 v91, -v7, v90, v89
	v_fmac_f32_e32 v90, v91, v88
	s_delay_alu instid0(VALU_DEP_1) | instskip(NEXT) | instid1(VALU_DEP_1)
	v_fma_f32 v7, -v7, v90, v89
	v_div_fmas_f32 v7, v7, v88, v90
	s_delay_alu instid0(VALU_DEP_1) | instskip(NEXT) | instid1(VALU_DEP_1)
	v_div_fixup_f32 v1, v7, v1, 1.0
	v_xor_b32_e32 v88, 0x80000000, v1
	scratch_store_b32 v0, v1, off scale_offset
.LBB105_3:
	s_wait_xcnt 0x0
	v_add_nc_u32_e32 v1, 0xb0, v6
	v_mov_b32_e32 v7, v6
	s_cmp_eq_u32 s4, 0x79
	s_mov_b32 s2, -1
	ds_store_b32 v6, v88
	s_cbranch_scc1 .LBB105_407
; %bb.4:
	scratch_load_b32 v88, off, off offset:160
	v_cmp_eq_u32_e64 s0, 41, v0
	s_movk_i32 s21, 0x44
	s_movk_i32 s22, 0x48
	;; [unrolled: 1-line block ×22, first 2 shown]
	s_wait_loadcnt 0x0
	ds_store_b32 v1, v88
	s_wait_storecnt_dscnt 0x0
	s_barrier_signal -1
	s_barrier_wait -1
	s_wait_xcnt 0x0
	s_and_saveexec_b32 s2, s0
	s_cbranch_execz .LBB105_10
; %bb.5:
	s_and_b32 vcc_lo, exec_lo, s3
	s_cbranch_vccz .LBB105_7
; %bb.6:
	scratch_load_b32 v88, v7, off
	ds_load_b32 v89, v1
	s_wait_loadcnt_dscnt 0x0
	v_mul_f32_e32 v88, v88, v89
	s_cbranch_execz .LBB105_8
	s_branch .LBB105_9
.LBB105_7:
                                        ; implicit-def: $vgpr88
.LBB105_8:
	ds_load_b32 v88, v1
.LBB105_9:
	v_mov_b32_e32 v89, 0
	ds_load_b32 v89, v89 offset:160
	s_wait_dscnt 0x0
	v_mul_f32_e32 v88, v88, v89
	scratch_store_b32 off, v88, off offset:160
.LBB105_10:
	s_wait_xcnt 0x0
	s_or_b32 exec_lo, exec_lo, s2
	scratch_load_b32 v88, off, off offset:156
	s_mov_b32 s38, s1
	v_cmp_lt_u32_e64 s1, 39, v0
	s_or_b32 s4, 0, 4
	s_or_b32 s5, 0, 8
	;; [unrolled: 1-line block ×3, first 2 shown]
	s_mov_b32 s2, 16
	s_mov_b32 s9, 20
	;; [unrolled: 1-line block ×13, first 2 shown]
	s_wait_loadcnt 0x0
	ds_store_b32 v1, v88
	s_wait_storecnt_dscnt 0x0
	s_barrier_signal -1
	s_barrier_wait -1
	s_wait_xcnt 0x0
	s_and_saveexec_b32 s45, s1
	s_cbranch_execz .LBB105_16
; %bb.11:
	s_and_not1_b32 vcc_lo, exec_lo, s3
	s_cbranch_vccnz .LBB105_13
; %bb.12:
	scratch_load_b32 v88, v7, off
	ds_load_b32 v89, v1
	s_wait_loadcnt_dscnt 0x0
	v_mul_f32_e32 v88, v88, v89
	s_cbranch_execz .LBB105_14
	s_branch .LBB105_15
.LBB105_13:
                                        ; implicit-def: $vgpr88
.LBB105_14:
	ds_load_b32 v88, v1
.LBB105_15:
	scratch_load_b32 v89, off, off offset:160
	v_mov_b32_e32 v90, 0
	ds_load_2addr_b32 v[90:91], v90 offset0:39 offset1:84
	s_wait_loadcnt_dscnt 0x0
	v_fma_f32 v89, v89, v91, v88
	s_delay_alu instid0(VALU_DEP_1) | instskip(NEXT) | instid1(VALU_DEP_1)
	v_cndmask_b32_e64 v88, v88, v89, s0
	v_mul_f32_e32 v88, v88, v90
	scratch_store_b32 off, v88, off offset:156
.LBB105_16:
	s_wait_xcnt 0x0
	s_or_b32 exec_lo, exec_lo, s45
	scratch_load_b32 v88, off, off offset:152
	v_cmp_lt_u32_e64 s0, 38, v0
	s_wait_loadcnt 0x0
	ds_store_b32 v1, v88
	s_wait_storecnt_dscnt 0x0
	s_barrier_signal -1
	s_barrier_wait -1
	s_wait_xcnt 0x0
	s_and_saveexec_b32 s45, s0
	s_cbranch_execz .LBB105_26
; %bb.17:
	s_and_not1_b32 vcc_lo, exec_lo, s3
	s_cbranch_vccnz .LBB105_19
; %bb.18:
	scratch_load_b32 v88, v7, off
	ds_load_b32 v89, v1
	s_wait_loadcnt_dscnt 0x0
	v_mul_f32_e32 v88, v88, v89
	s_cbranch_execz .LBB105_20
	s_branch .LBB105_21
.LBB105_19:
                                        ; implicit-def: $vgpr88
.LBB105_20:
	ds_load_b32 v88, v1
.LBB105_21:
	s_and_saveexec_b32 s46, s1
	s_cbranch_execz .LBB105_25
; %bb.22:
	v_subrev_nc_u32_e32 v89, 39, v0
	s_movk_i32 s47, 0x14c
	s_mov_b32 s1, 0
.LBB105_23:                             ; =>This Inner Loop Header: Depth=1
	scratch_load_b32 v90, off, s44
	v_dual_mov_b32 v91, s47 :: v_dual_add_nc_u32 v89, -1, v89
	s_add_co_i32 s47, s47, 4
	s_wait_xcnt 0x0
	s_add_co_i32 s44, s44, 4
	ds_load_b32 v91, v91
	v_cmp_eq_u32_e32 vcc_lo, 0, v89
	s_or_b32 s1, vcc_lo, s1
	s_wait_loadcnt_dscnt 0x0
	v_fmac_f32_e32 v88, v90, v91
	s_and_not1_b32 exec_lo, exec_lo, s1
	s_cbranch_execnz .LBB105_23
; %bb.24:
	s_or_b32 exec_lo, exec_lo, s1
.LBB105_25:
	s_delay_alu instid0(SALU_CYCLE_1)
	s_or_b32 exec_lo, exec_lo, s46
	v_mov_b32_e32 v89, 0
	ds_load_b32 v89, v89 offset:152
	s_wait_dscnt 0x0
	v_mul_f32_e32 v88, v88, v89
	scratch_store_b32 off, v88, off offset:152
.LBB105_26:
	s_wait_xcnt 0x0
	s_or_b32 exec_lo, exec_lo, s45
	scratch_load_b32 v88, off, off offset:148
	v_cmp_lt_u32_e64 s1, 37, v0
	s_wait_loadcnt 0x0
	ds_store_b32 v1, v88
	s_wait_storecnt_dscnt 0x0
	s_barrier_signal -1
	s_barrier_wait -1
	s_wait_xcnt 0x0
	s_and_saveexec_b32 s44, s1
	s_cbranch_execz .LBB105_36
; %bb.27:
	s_and_not1_b32 vcc_lo, exec_lo, s3
	s_cbranch_vccnz .LBB105_29
; %bb.28:
	scratch_load_b32 v88, v7, off
	ds_load_b32 v89, v1
	s_wait_loadcnt_dscnt 0x0
	v_mul_f32_e32 v88, v88, v89
	s_cbranch_execz .LBB105_30
	s_branch .LBB105_31
.LBB105_29:
                                        ; implicit-def: $vgpr88
.LBB105_30:
	ds_load_b32 v88, v1
.LBB105_31:
	s_and_saveexec_b32 s45, s0
	s_cbranch_execz .LBB105_35
; %bb.32:
	v_subrev_nc_u32_e32 v89, 38, v0
	s_movk_i32 s46, 0x148
	s_mov_b32 s0, 0
.LBB105_33:                             ; =>This Inner Loop Header: Depth=1
	scratch_load_b32 v90, off, s43
	v_dual_mov_b32 v91, s46 :: v_dual_add_nc_u32 v89, -1, v89
	s_add_co_i32 s46, s46, 4
	s_wait_xcnt 0x0
	s_add_co_i32 s43, s43, 4
	ds_load_b32 v91, v91
	v_cmp_eq_u32_e32 vcc_lo, 0, v89
	s_or_b32 s0, vcc_lo, s0
	s_wait_loadcnt_dscnt 0x0
	v_fmac_f32_e32 v88, v90, v91
	s_and_not1_b32 exec_lo, exec_lo, s0
	s_cbranch_execnz .LBB105_33
; %bb.34:
	s_or_b32 exec_lo, exec_lo, s0
.LBB105_35:
	s_delay_alu instid0(SALU_CYCLE_1)
	s_or_b32 exec_lo, exec_lo, s45
	v_mov_b32_e32 v89, 0
	ds_load_b32 v89, v89 offset:148
	s_wait_dscnt 0x0
	v_mul_f32_e32 v88, v88, v89
	scratch_store_b32 off, v88, off offset:148
.LBB105_36:
	;; [unrolled: 57-line block ×8, first 2 shown]
	s_wait_xcnt 0x0
	s_or_b32 exec_lo, exec_lo, s38
	scratch_load_b32 v88, off, off offset:120
	v_cmp_lt_u32_e64 s0, 30, v0
	s_wait_loadcnt 0x0
	ds_store_b32 v1, v88
	s_wait_storecnt_dscnt 0x0
	s_barrier_signal -1
	s_barrier_wait -1
	s_wait_xcnt 0x0
	s_and_saveexec_b32 s37, s0
	s_cbranch_execz .LBB105_106
; %bb.97:
	s_and_not1_b32 vcc_lo, exec_lo, s3
	s_cbranch_vccnz .LBB105_99
; %bb.98:
	scratch_load_b32 v88, v7, off
	ds_load_b32 v89, v1
	s_wait_loadcnt_dscnt 0x0
	v_mul_f32_e32 v88, v88, v89
	s_cbranch_execz .LBB105_100
	s_branch .LBB105_101
.LBB105_99:
                                        ; implicit-def: $vgpr88
.LBB105_100:
	ds_load_b32 v88, v1
.LBB105_101:
	s_and_saveexec_b32 s38, s1
	s_cbranch_execz .LBB105_105
; %bb.102:
	v_subrev_nc_u32_e32 v89, 31, v0
	s_movk_i32 s39, 0x12c
	s_mov_b32 s1, 0
.LBB105_103:                            ; =>This Inner Loop Header: Depth=1
	scratch_load_b32 v90, off, s36
	v_dual_mov_b32 v91, s39 :: v_dual_add_nc_u32 v89, -1, v89
	s_add_co_i32 s39, s39, 4
	s_wait_xcnt 0x0
	s_add_co_i32 s36, s36, 4
	ds_load_b32 v91, v91
	v_cmp_eq_u32_e32 vcc_lo, 0, v89
	s_or_b32 s1, vcc_lo, s1
	s_wait_loadcnt_dscnt 0x0
	v_fmac_f32_e32 v88, v90, v91
	s_and_not1_b32 exec_lo, exec_lo, s1
	s_cbranch_execnz .LBB105_103
; %bb.104:
	s_or_b32 exec_lo, exec_lo, s1
.LBB105_105:
	s_delay_alu instid0(SALU_CYCLE_1)
	s_or_b32 exec_lo, exec_lo, s38
	v_mov_b32_e32 v89, 0
	ds_load_b32 v89, v89 offset:120
	s_wait_dscnt 0x0
	v_mul_f32_e32 v88, v88, v89
	scratch_store_b32 off, v88, off offset:120
.LBB105_106:
	s_wait_xcnt 0x0
	s_or_b32 exec_lo, exec_lo, s37
	scratch_load_b32 v88, off, off offset:116
	v_cmp_lt_u32_e64 s1, 29, v0
	s_wait_loadcnt 0x0
	ds_store_b32 v1, v88
	s_wait_storecnt_dscnt 0x0
	s_barrier_signal -1
	s_barrier_wait -1
	s_wait_xcnt 0x0
	s_and_saveexec_b32 s36, s1
	s_cbranch_execz .LBB105_116
; %bb.107:
	s_and_not1_b32 vcc_lo, exec_lo, s3
	s_cbranch_vccnz .LBB105_109
; %bb.108:
	scratch_load_b32 v88, v7, off
	ds_load_b32 v89, v1
	s_wait_loadcnt_dscnt 0x0
	v_mul_f32_e32 v88, v88, v89
	s_cbranch_execz .LBB105_110
	s_branch .LBB105_111
.LBB105_109:
                                        ; implicit-def: $vgpr88
.LBB105_110:
	ds_load_b32 v88, v1
.LBB105_111:
	s_and_saveexec_b32 s37, s0
	s_cbranch_execz .LBB105_115
; %bb.112:
	v_subrev_nc_u32_e32 v89, 30, v0
	s_movk_i32 s38, 0x128
	s_mov_b32 s0, 0
.LBB105_113:                            ; =>This Inner Loop Header: Depth=1
	scratch_load_b32 v90, off, s35
	v_dual_mov_b32 v91, s38 :: v_dual_add_nc_u32 v89, -1, v89
	s_add_co_i32 s38, s38, 4
	s_wait_xcnt 0x0
	s_add_co_i32 s35, s35, 4
	ds_load_b32 v91, v91
	v_cmp_eq_u32_e32 vcc_lo, 0, v89
	s_or_b32 s0, vcc_lo, s0
	s_wait_loadcnt_dscnt 0x0
	v_fmac_f32_e32 v88, v90, v91
	s_and_not1_b32 exec_lo, exec_lo, s0
	s_cbranch_execnz .LBB105_113
; %bb.114:
	s_or_b32 exec_lo, exec_lo, s0
.LBB105_115:
	s_delay_alu instid0(SALU_CYCLE_1)
	s_or_b32 exec_lo, exec_lo, s37
	v_mov_b32_e32 v89, 0
	ds_load_b32 v89, v89 offset:116
	s_wait_dscnt 0x0
	v_mul_f32_e32 v88, v88, v89
	scratch_store_b32 off, v88, off offset:116
.LBB105_116:
	;; [unrolled: 57-line block ×15, first 2 shown]
	s_wait_xcnt 0x0
	s_or_b32 exec_lo, exec_lo, s22
	scratch_load_b32 v88, off, off offset:60
	v_cmp_lt_u32_e64 s1, 15, v0
	s_wait_loadcnt 0x0
	ds_store_b32 v1, v88
	s_wait_storecnt_dscnt 0x0
	s_barrier_signal -1
	s_barrier_wait -1
	s_wait_xcnt 0x0
	s_and_saveexec_b32 s21, s1
	s_cbranch_execz .LBB105_256
; %bb.247:
	s_and_not1_b32 vcc_lo, exec_lo, s3
	s_cbranch_vccnz .LBB105_249
; %bb.248:
	scratch_load_b32 v88, v7, off
	ds_load_b32 v89, v1
	s_wait_loadcnt_dscnt 0x0
	v_mul_f32_e32 v88, v88, v89
	s_cbranch_execz .LBB105_250
	s_branch .LBB105_251
.LBB105_249:
                                        ; implicit-def: $vgpr88
.LBB105_250:
	ds_load_b32 v88, v1
.LBB105_251:
	s_and_saveexec_b32 s22, s0
	s_cbranch_execz .LBB105_255
; %bb.252:
	v_add_nc_u32_e32 v89, -16, v0
	s_movk_i32 s23, 0xf0
	s_mov_b32 s0, 0
.LBB105_253:                            ; =>This Inner Loop Header: Depth=1
	scratch_load_b32 v90, off, s20
	v_dual_mov_b32 v91, s23 :: v_dual_add_nc_u32 v89, -1, v89
	s_add_co_i32 s23, s23, 4
	s_wait_xcnt 0x0
	s_add_co_i32 s20, s20, 4
	ds_load_b32 v91, v91
	v_cmp_eq_u32_e32 vcc_lo, 0, v89
	s_or_b32 s0, vcc_lo, s0
	s_wait_loadcnt_dscnt 0x0
	v_fmac_f32_e32 v88, v90, v91
	s_and_not1_b32 exec_lo, exec_lo, s0
	s_cbranch_execnz .LBB105_253
; %bb.254:
	s_or_b32 exec_lo, exec_lo, s0
.LBB105_255:
	s_delay_alu instid0(SALU_CYCLE_1)
	s_or_b32 exec_lo, exec_lo, s22
	v_mov_b32_e32 v89, 0
	ds_load_b32 v89, v89 offset:60
	s_wait_dscnt 0x0
	v_mul_f32_e32 v88, v88, v89
	scratch_store_b32 off, v88, off offset:60
.LBB105_256:
	s_wait_xcnt 0x0
	s_or_b32 exec_lo, exec_lo, s21
	scratch_load_b32 v88, off, off offset:56
	v_cmp_lt_u32_e64 s0, 14, v0
	s_wait_loadcnt 0x0
	ds_store_b32 v1, v88
	s_wait_storecnt_dscnt 0x0
	s_barrier_signal -1
	s_barrier_wait -1
	s_wait_xcnt 0x0
	s_and_saveexec_b32 s20, s0
	s_cbranch_execz .LBB105_266
; %bb.257:
	s_and_not1_b32 vcc_lo, exec_lo, s3
	s_cbranch_vccnz .LBB105_259
; %bb.258:
	scratch_load_b32 v88, v7, off
	ds_load_b32 v89, v1
	s_wait_loadcnt_dscnt 0x0
	v_mul_f32_e32 v88, v88, v89
	s_cbranch_execz .LBB105_260
	s_branch .LBB105_261
.LBB105_259:
                                        ; implicit-def: $vgpr88
.LBB105_260:
	ds_load_b32 v88, v1
.LBB105_261:
	s_and_saveexec_b32 s21, s1
	s_cbranch_execz .LBB105_265
; %bb.262:
	v_add_nc_u32_e32 v89, -15, v0
	s_movk_i32 s22, 0xec
	s_mov_b32 s1, 0
.LBB105_263:                            ; =>This Inner Loop Header: Depth=1
	scratch_load_b32 v90, off, s19
	v_dual_mov_b32 v91, s22 :: v_dual_add_nc_u32 v89, -1, v89
	s_add_co_i32 s22, s22, 4
	s_wait_xcnt 0x0
	s_add_co_i32 s19, s19, 4
	ds_load_b32 v91, v91
	v_cmp_eq_u32_e32 vcc_lo, 0, v89
	s_or_b32 s1, vcc_lo, s1
	s_wait_loadcnt_dscnt 0x0
	v_fmac_f32_e32 v88, v90, v91
	s_and_not1_b32 exec_lo, exec_lo, s1
	s_cbranch_execnz .LBB105_263
; %bb.264:
	s_or_b32 exec_lo, exec_lo, s1
.LBB105_265:
	s_delay_alu instid0(SALU_CYCLE_1)
	s_or_b32 exec_lo, exec_lo, s21
	v_mov_b32_e32 v89, 0
	ds_load_b32 v89, v89 offset:56
	s_wait_dscnt 0x0
	v_mul_f32_e32 v88, v88, v89
	scratch_store_b32 off, v88, off offset:56
.LBB105_266:
	;; [unrolled: 57-line block ×15, first 2 shown]
	s_wait_xcnt 0x0
	s_or_b32 exec_lo, exec_lo, s1
	scratch_load_b32 v88, off, off
	s_mov_b32 s2, 0
	s_mov_b32 s1, exec_lo
	s_wait_loadcnt 0x0
	ds_store_b32 v1, v88
	s_wait_storecnt_dscnt 0x0
	s_barrier_signal -1
	s_barrier_wait -1
	s_wait_xcnt 0x0
	v_cmpx_ne_u32_e32 0, v0
	s_cbranch_execz .LBB105_406
; %bb.397:
	s_and_not1_b32 vcc_lo, exec_lo, s3
	s_cbranch_vccnz .LBB105_399
; %bb.398:
	scratch_load_b32 v88, v7, off
	ds_load_b32 v89, v1
	s_wait_loadcnt_dscnt 0x0
	v_mul_f32_e32 v88, v88, v89
	s_cbranch_execz .LBB105_400
	s_branch .LBB105_401
.LBB105_399:
                                        ; implicit-def: $vgpr88
.LBB105_400:
	ds_load_b32 v88, v1
.LBB105_401:
	s_and_saveexec_b32 s5, s0
	s_cbranch_execz .LBB105_405
; %bb.402:
	v_add_nc_u32_e32 v89, -1, v0
	s_movk_i32 s8, 0xb4
	s_mov_b32 s0, 0
.LBB105_403:                            ; =>This Inner Loop Header: Depth=1
	scratch_load_b32 v90, off, s4
	v_dual_mov_b32 v91, s8 :: v_dual_add_nc_u32 v89, -1, v89
	s_add_co_i32 s8, s8, 4
	s_wait_xcnt 0x0
	s_add_co_i32 s4, s4, 4
	ds_load_b32 v91, v91
	v_cmp_eq_u32_e32 vcc_lo, 0, v89
	s_or_b32 s0, vcc_lo, s0
	s_wait_loadcnt_dscnt 0x0
	v_fmac_f32_e32 v88, v90, v91
	s_and_not1_b32 exec_lo, exec_lo, s0
	s_cbranch_execnz .LBB105_403
; %bb.404:
	s_or_b32 exec_lo, exec_lo, s0
.LBB105_405:
	s_delay_alu instid0(SALU_CYCLE_1)
	s_or_b32 exec_lo, exec_lo, s5
	v_mov_b32_e32 v89, 0
	ds_load_b32 v89, v89
	s_wait_dscnt 0x0
	v_mul_f32_e32 v88, v88, v89
	scratch_store_b32 off, v88, off
.LBB105_406:
	s_wait_xcnt 0x0
	s_or_b32 exec_lo, exec_lo, s1
.LBB105_407:
	v_lshl_add_u64 v[126:127], v[8:9], 2, s[6:7]
	v_lshl_add_u64 v[124:125], v[10:11], 2, s[6:7]
	;; [unrolled: 1-line block ×40, first 2 shown]
	s_and_b32 vcc_lo, exec_lo, s2
	s_cbranch_vccz .LBB105_809
; %bb.408:
	scratch_load_b32 v48, off, off offset:4
	v_cmp_eq_u32_e64 s0, 0, v0
	s_wait_loadcnt 0x0
	ds_store_b32 v1, v48
	s_wait_storecnt_dscnt 0x0
	s_barrier_signal -1
	s_barrier_wait -1
	s_wait_xcnt 0x0
	s_and_saveexec_b32 s1, s0
	s_cbranch_execz .LBB105_414
; %bb.409:
	s_and_b32 vcc_lo, exec_lo, s3
	s_cbranch_vccz .LBB105_411
; %bb.410:
	scratch_load_b32 v48, v7, off
	ds_load_b32 v49, v1
	s_wait_loadcnt_dscnt 0x0
	v_mul_f32_e32 v48, v48, v49
	s_cbranch_execz .LBB105_412
	s_branch .LBB105_413
.LBB105_411:
                                        ; implicit-def: $vgpr48
.LBB105_412:
	ds_load_b32 v48, v1
.LBB105_413:
	v_mov_b32_e32 v49, 0
	ds_load_b32 v49, v49 offset:4
	s_wait_dscnt 0x0
	v_mul_f32_e32 v48, v48, v49
	scratch_store_b32 off, v48, off offset:4
.LBB105_414:
	s_wait_xcnt 0x0
	s_or_b32 exec_lo, exec_lo, s1
	scratch_load_b32 v49, off, off offset:8
	v_cndmask_b32_e64 v48, 0, 1, s3
	s_mov_b32 s1, exec_lo
	s_wait_loadcnt 0x0
	ds_store_b32 v1, v49
	s_wait_storecnt_dscnt 0x0
	s_barrier_signal -1
	s_barrier_wait -1
	s_wait_xcnt 0x0
	v_cmpx_gt_u32_e32 2, v0
	s_cbranch_execz .LBB105_420
; %bb.415:
	s_and_not1_b32 vcc_lo, exec_lo, s3
	s_cbranch_vccnz .LBB105_417
; %bb.416:
	scratch_load_b32 v49, v7, off
	ds_load_b32 v50, v1
	s_wait_loadcnt_dscnt 0x0
	v_mul_f32_e32 v49, v49, v50
	s_cbranch_execz .LBB105_418
	s_branch .LBB105_419
.LBB105_417:
                                        ; implicit-def: $vgpr49
.LBB105_418:
	ds_load_b32 v49, v1
.LBB105_419:
	scratch_load_b32 v52, off, off offset:4
	v_mov_b32_e32 v50, 0
	ds_load_2addr_b32 v[50:51], v50 offset0:2 offset1:45
	s_wait_loadcnt_dscnt 0x0
	v_fma_f32 v51, v52, v51, v49
	s_delay_alu instid0(VALU_DEP_1) | instskip(NEXT) | instid1(VALU_DEP_1)
	v_cndmask_b32_e64 v49, v49, v51, s0
	v_mul_f32_e32 v49, v49, v50
	scratch_store_b32 off, v49, off offset:8
.LBB105_420:
	s_wait_xcnt 0x0
	s_or_b32 exec_lo, exec_lo, s1
	scratch_load_b32 v49, off, off offset:12
	s_mov_b32 s1, exec_lo
	s_wait_loadcnt 0x0
	ds_store_b32 v1, v49
	s_wait_storecnt_dscnt 0x0
	s_barrier_signal -1
	s_barrier_wait -1
	s_wait_xcnt 0x0
	v_cmpx_gt_u32_e32 3, v0
	s_cbranch_execz .LBB105_428
; %bb.421:
	v_cmp_ne_u32_e32 vcc_lo, 1, v48
	s_cbranch_vccnz .LBB105_423
; %bb.422:
	scratch_load_b32 v49, v7, off
	ds_load_b32 v50, v1
	s_wait_loadcnt_dscnt 0x0
	v_mul_f32_e32 v49, v49, v50
	s_cbranch_execz .LBB105_424
	s_branch .LBB105_425
.LBB105_423:
                                        ; implicit-def: $vgpr49
.LBB105_424:
	ds_load_b32 v49, v1
.LBB105_425:
	s_mov_b32 s2, exec_lo
	v_cmpx_ne_u32_e32 2, v0
	s_cbranch_execz .LBB105_427
; %bb.426:
	scratch_load_b32 v50, v7, off offset:4
	scratch_load_b32 v51, off, off offset:8
	ds_load_b32 v52, v1 offset:4
	v_mov_b32_e32 v53, 0
	ds_load_b32 v53, v53 offset:184
	s_wait_loadcnt_dscnt 0x101
	v_fmac_f32_e32 v49, v50, v52
	s_wait_loadcnt_dscnt 0x0
	s_delay_alu instid0(VALU_DEP_1) | instskip(NEXT) | instid1(VALU_DEP_1)
	v_fma_f32 v50, v51, v53, v49
	v_cndmask_b32_e64 v49, v49, v50, s0
.LBB105_427:
	s_or_b32 exec_lo, exec_lo, s2
	v_mov_b32_e32 v50, 0
	ds_load_b32 v50, v50 offset:12
	s_wait_dscnt 0x0
	v_mul_f32_e32 v49, v49, v50
	scratch_store_b32 off, v49, off offset:12
.LBB105_428:
	s_wait_xcnt 0x0
	s_or_b32 exec_lo, exec_lo, s1
	scratch_load_b32 v49, off, off offset:16
	s_mov_b32 s0, exec_lo
	s_wait_loadcnt 0x0
	ds_store_b32 v1, v49
	s_wait_storecnt_dscnt 0x0
	s_barrier_signal -1
	s_barrier_wait -1
	s_wait_xcnt 0x0
	v_cmpx_gt_u32_e32 4, v0
	s_cbranch_execz .LBB105_438
; %bb.429:
	v_cmp_ne_u32_e32 vcc_lo, 1, v48
	s_cbranch_vccnz .LBB105_431
; %bb.430:
	scratch_load_b32 v49, v7, off
	ds_load_b32 v50, v1
	s_wait_loadcnt_dscnt 0x0
	v_mul_f32_e32 v49, v49, v50
	s_cbranch_execz .LBB105_432
	s_branch .LBB105_433
.LBB105_431:
                                        ; implicit-def: $vgpr49
.LBB105_432:
	ds_load_b32 v49, v1
.LBB105_433:
	s_mov_b32 s1, exec_lo
	v_cmpx_ne_u32_e32 3, v0
	s_cbranch_execz .LBB105_437
; %bb.434:
	v_add_nc_u32_e32 v50, 0xb4, v6
	v_add3_u32 v51, 0, v6, 4
	v_mov_b32_e32 v52, v0
	s_mov_b32 s2, 0
.LBB105_435:                            ; =>This Inner Loop Header: Depth=1
	scratch_load_b32 v53, v51, off
	ds_load_b32 v54, v50
	v_dual_add_nc_u32 v52, 1, v52 :: v_dual_add_nc_u32 v50, 4, v50
	s_wait_xcnt 0x0
	v_add_nc_u32_e32 v51, 4, v51
	s_delay_alu instid0(VALU_DEP_2)
	v_cmp_lt_u32_e32 vcc_lo, 2, v52
	s_or_b32 s2, vcc_lo, s2
	s_wait_loadcnt_dscnt 0x0
	v_fmac_f32_e32 v49, v53, v54
	s_and_not1_b32 exec_lo, exec_lo, s2
	s_cbranch_execnz .LBB105_435
; %bb.436:
	s_or_b32 exec_lo, exec_lo, s2
.LBB105_437:
	s_delay_alu instid0(SALU_CYCLE_1)
	s_or_b32 exec_lo, exec_lo, s1
	v_mov_b32_e32 v50, 0
	ds_load_b32 v50, v50 offset:16
	s_wait_dscnt 0x0
	v_mul_f32_e32 v49, v49, v50
	scratch_store_b32 off, v49, off offset:16
.LBB105_438:
	s_wait_xcnt 0x0
	s_or_b32 exec_lo, exec_lo, s0
	scratch_load_b32 v49, off, off offset:20
	s_mov_b32 s0, exec_lo
	s_wait_loadcnt 0x0
	ds_store_b32 v1, v49
	s_wait_storecnt_dscnt 0x0
	s_barrier_signal -1
	s_barrier_wait -1
	s_wait_xcnt 0x0
	v_cmpx_gt_u32_e32 5, v0
	s_cbranch_execz .LBB105_448
; %bb.439:
	v_cmp_ne_u32_e32 vcc_lo, 1, v48
	s_cbranch_vccnz .LBB105_441
; %bb.440:
	scratch_load_b32 v49, v7, off
	ds_load_b32 v50, v1
	s_wait_loadcnt_dscnt 0x0
	v_mul_f32_e32 v49, v49, v50
	s_cbranch_execz .LBB105_442
	s_branch .LBB105_443
.LBB105_441:
                                        ; implicit-def: $vgpr49
.LBB105_442:
	ds_load_b32 v49, v1
.LBB105_443:
	s_mov_b32 s1, exec_lo
	v_cmpx_ne_u32_e32 4, v0
	s_cbranch_execz .LBB105_447
; %bb.444:
	v_add_nc_u32_e32 v50, 0xb4, v6
	v_add3_u32 v51, 0, v6, 4
	v_mov_b32_e32 v52, v0
	s_mov_b32 s2, 0
.LBB105_445:                            ; =>This Inner Loop Header: Depth=1
	scratch_load_b32 v53, v51, off
	ds_load_b32 v54, v50
	v_dual_add_nc_u32 v52, 1, v52 :: v_dual_add_nc_u32 v50, 4, v50
	s_wait_xcnt 0x0
	v_add_nc_u32_e32 v51, 4, v51
	s_delay_alu instid0(VALU_DEP_2)
	v_cmp_lt_u32_e32 vcc_lo, 3, v52
	s_or_b32 s2, vcc_lo, s2
	s_wait_loadcnt_dscnt 0x0
	v_fmac_f32_e32 v49, v53, v54
	s_and_not1_b32 exec_lo, exec_lo, s2
	s_cbranch_execnz .LBB105_445
; %bb.446:
	s_or_b32 exec_lo, exec_lo, s2
.LBB105_447:
	s_delay_alu instid0(SALU_CYCLE_1)
	s_or_b32 exec_lo, exec_lo, s1
	v_mov_b32_e32 v50, 0
	ds_load_b32 v50, v50 offset:20
	s_wait_dscnt 0x0
	v_mul_f32_e32 v49, v49, v50
	scratch_store_b32 off, v49, off offset:20
.LBB105_448:
	;; [unrolled: 59-line block ×36, first 2 shown]
	s_wait_xcnt 0x0
	s_or_b32 exec_lo, exec_lo, s0
	scratch_load_b32 v49, off, off offset:160
	v_cmp_gt_u32_e64 s0, 40, v0
	s_wait_loadcnt 0x0
	ds_store_b32 v1, v49
	s_wait_storecnt_dscnt 0x0
	s_barrier_signal -1
	s_barrier_wait -1
	s_wait_xcnt 0x0
	s_and_saveexec_b32 s1, s0
	s_cbranch_execz .LBB105_798
; %bb.789:
	v_cmp_ne_u32_e32 vcc_lo, 1, v48
	s_cbranch_vccnz .LBB105_791
; %bb.790:
	scratch_load_b32 v49, v7, off
	ds_load_b32 v50, v1
	s_wait_loadcnt_dscnt 0x0
	v_mul_f32_e32 v49, v49, v50
	s_cbranch_execz .LBB105_792
	s_branch .LBB105_793
.LBB105_791:
                                        ; implicit-def: $vgpr49
.LBB105_792:
	ds_load_b32 v49, v1
.LBB105_793:
	s_mov_b32 s2, exec_lo
	v_cmpx_ne_u32_e32 39, v0
	s_cbranch_execz .LBB105_797
; %bb.794:
	v_add_nc_u32_e32 v50, 0xb4, v6
	v_add3_u32 v51, 0, v6, 4
	v_mov_b32_e32 v52, v0
	s_mov_b32 s3, 0
.LBB105_795:                            ; =>This Inner Loop Header: Depth=1
	scratch_load_b32 v53, v51, off
	ds_load_b32 v54, v50
	v_dual_add_nc_u32 v52, 1, v52 :: v_dual_add_nc_u32 v50, 4, v50
	s_wait_xcnt 0x0
	v_add_nc_u32_e32 v51, 4, v51
	s_delay_alu instid0(VALU_DEP_2)
	v_cmp_lt_u32_e32 vcc_lo, 38, v52
	s_or_b32 s3, vcc_lo, s3
	s_wait_loadcnt_dscnt 0x0
	v_fmac_f32_e32 v49, v53, v54
	s_and_not1_b32 exec_lo, exec_lo, s3
	s_cbranch_execnz .LBB105_795
; %bb.796:
	s_or_b32 exec_lo, exec_lo, s3
.LBB105_797:
	s_delay_alu instid0(SALU_CYCLE_1)
	s_or_b32 exec_lo, exec_lo, s2
	v_mov_b32_e32 v50, 0
	ds_load_b32 v50, v50 offset:160
	s_wait_dscnt 0x0
	v_mul_f32_e32 v49, v49, v50
	scratch_store_b32 off, v49, off offset:160
.LBB105_798:
	s_wait_xcnt 0x0
	s_or_b32 exec_lo, exec_lo, s1
	scratch_load_b32 v49, off, off offset:164
	s_mov_b32 s1, exec_lo
	s_wait_loadcnt 0x0
	ds_store_b32 v1, v49
	s_wait_storecnt_dscnt 0x0
	s_barrier_signal -1
	s_barrier_wait -1
	s_wait_xcnt 0x0
	v_cmpx_ne_u32_e32 41, v0
	s_cbranch_execz .LBB105_808
; %bb.799:
	v_cmp_ne_u32_e32 vcc_lo, 1, v48
	s_cbranch_vccnz .LBB105_801
; %bb.800:
	scratch_load_b32 v7, v7, off
	ds_load_b32 v48, v1
	s_wait_loadcnt_dscnt 0x0
	v_mul_f32_e32 v7, v7, v48
	s_cbranch_execz .LBB105_802
	s_branch .LBB105_803
.LBB105_801:
                                        ; implicit-def: $vgpr7
.LBB105_802:
	ds_load_b32 v7, v1
.LBB105_803:
	s_and_saveexec_b32 s2, s0
	s_cbranch_execz .LBB105_807
; %bb.804:
	v_add_nc_u32_e32 v1, 0xb4, v6
	v_add3_u32 v6, 0, v6, 4
	s_mov_b32 s0, 0
.LBB105_805:                            ; =>This Inner Loop Header: Depth=1
	scratch_load_b32 v48, v6, off
	ds_load_b32 v49, v1
	v_dual_add_nc_u32 v0, 1, v0 :: v_dual_add_nc_u32 v1, 4, v1
	s_wait_xcnt 0x0
	v_add_nc_u32_e32 v6, 4, v6
	s_delay_alu instid0(VALU_DEP_2)
	v_cmp_lt_u32_e32 vcc_lo, 39, v0
	s_or_b32 s0, vcc_lo, s0
	s_wait_loadcnt_dscnt 0x0
	v_fmac_f32_e32 v7, v48, v49
	s_and_not1_b32 exec_lo, exec_lo, s0
	s_cbranch_execnz .LBB105_805
; %bb.806:
	s_or_b32 exec_lo, exec_lo, s0
.LBB105_807:
	s_delay_alu instid0(SALU_CYCLE_1)
	s_or_b32 exec_lo, exec_lo, s2
	v_mov_b32_e32 v0, 0
	ds_load_b32 v0, v0 offset:164
	s_wait_dscnt 0x0
	v_mul_f32_e32 v0, v7, v0
	scratch_store_b32 off, v0, off offset:164
.LBB105_808:
	s_wait_xcnt 0x0
	s_or_b32 exec_lo, exec_lo, s1
.LBB105_809:
	scratch_load_b32 v0, off, off
	s_wait_loadcnt 0x0
	flat_store_b32 v[2:3], v0
	scratch_load_b32 v0, off, off offset:4
	s_wait_loadcnt 0x0
	flat_store_b32 v[4:5], v0
	scratch_load_b32 v0, off, off offset:8
	;; [unrolled: 3-line block ×41, first 2 shown]
	s_wait_loadcnt 0x0
	flat_store_b32 v[8:9], v0
.LBB105_810:
	s_sendmsg sendmsg(MSG_DEALLOC_VGPRS)
	s_endpgm
	.section	.rodata,"a",@progbits
	.p2align	6, 0x0
	.amdhsa_kernel _ZN9rocsolver6v33100L18trti2_kernel_smallILi42EfPKPfEEv13rocblas_fill_17rocblas_diagonal_T1_iil
		.amdhsa_group_segment_fixed_size 344
		.amdhsa_private_segment_fixed_size 176
		.amdhsa_kernarg_size 32
		.amdhsa_user_sgpr_count 2
		.amdhsa_user_sgpr_dispatch_ptr 0
		.amdhsa_user_sgpr_queue_ptr 0
		.amdhsa_user_sgpr_kernarg_segment_ptr 1
		.amdhsa_user_sgpr_dispatch_id 0
		.amdhsa_user_sgpr_kernarg_preload_length 0
		.amdhsa_user_sgpr_kernarg_preload_offset 0
		.amdhsa_user_sgpr_private_segment_size 0
		.amdhsa_wavefront_size32 1
		.amdhsa_uses_dynamic_stack 0
		.amdhsa_enable_private_segment 1
		.amdhsa_system_sgpr_workgroup_id_x 1
		.amdhsa_system_sgpr_workgroup_id_y 0
		.amdhsa_system_sgpr_workgroup_id_z 0
		.amdhsa_system_sgpr_workgroup_info 0
		.amdhsa_system_vgpr_workitem_id 0
		.amdhsa_next_free_vgpr 128
		.amdhsa_next_free_sgpr 48
		.amdhsa_named_barrier_count 0
		.amdhsa_reserve_vcc 1
		.amdhsa_float_round_mode_32 0
		.amdhsa_float_round_mode_16_64 0
		.amdhsa_float_denorm_mode_32 3
		.amdhsa_float_denorm_mode_16_64 3
		.amdhsa_fp16_overflow 0
		.amdhsa_memory_ordered 1
		.amdhsa_forward_progress 1
		.amdhsa_inst_pref_size 189
		.amdhsa_round_robin_scheduling 0
		.amdhsa_exception_fp_ieee_invalid_op 0
		.amdhsa_exception_fp_denorm_src 0
		.amdhsa_exception_fp_ieee_div_zero 0
		.amdhsa_exception_fp_ieee_overflow 0
		.amdhsa_exception_fp_ieee_underflow 0
		.amdhsa_exception_fp_ieee_inexact 0
		.amdhsa_exception_int_div_zero 0
	.end_amdhsa_kernel
	.section	.text._ZN9rocsolver6v33100L18trti2_kernel_smallILi42EfPKPfEEv13rocblas_fill_17rocblas_diagonal_T1_iil,"axG",@progbits,_ZN9rocsolver6v33100L18trti2_kernel_smallILi42EfPKPfEEv13rocblas_fill_17rocblas_diagonal_T1_iil,comdat
.Lfunc_end105:
	.size	_ZN9rocsolver6v33100L18trti2_kernel_smallILi42EfPKPfEEv13rocblas_fill_17rocblas_diagonal_T1_iil, .Lfunc_end105-_ZN9rocsolver6v33100L18trti2_kernel_smallILi42EfPKPfEEv13rocblas_fill_17rocblas_diagonal_T1_iil
                                        ; -- End function
	.set _ZN9rocsolver6v33100L18trti2_kernel_smallILi42EfPKPfEEv13rocblas_fill_17rocblas_diagonal_T1_iil.num_vgpr, 128
	.set _ZN9rocsolver6v33100L18trti2_kernel_smallILi42EfPKPfEEv13rocblas_fill_17rocblas_diagonal_T1_iil.num_agpr, 0
	.set _ZN9rocsolver6v33100L18trti2_kernel_smallILi42EfPKPfEEv13rocblas_fill_17rocblas_diagonal_T1_iil.numbered_sgpr, 48
	.set _ZN9rocsolver6v33100L18trti2_kernel_smallILi42EfPKPfEEv13rocblas_fill_17rocblas_diagonal_T1_iil.num_named_barrier, 0
	.set _ZN9rocsolver6v33100L18trti2_kernel_smallILi42EfPKPfEEv13rocblas_fill_17rocblas_diagonal_T1_iil.private_seg_size, 176
	.set _ZN9rocsolver6v33100L18trti2_kernel_smallILi42EfPKPfEEv13rocblas_fill_17rocblas_diagonal_T1_iil.uses_vcc, 1
	.set _ZN9rocsolver6v33100L18trti2_kernel_smallILi42EfPKPfEEv13rocblas_fill_17rocblas_diagonal_T1_iil.uses_flat_scratch, 0
	.set _ZN9rocsolver6v33100L18trti2_kernel_smallILi42EfPKPfEEv13rocblas_fill_17rocblas_diagonal_T1_iil.has_dyn_sized_stack, 0
	.set _ZN9rocsolver6v33100L18trti2_kernel_smallILi42EfPKPfEEv13rocblas_fill_17rocblas_diagonal_T1_iil.has_recursion, 0
	.set _ZN9rocsolver6v33100L18trti2_kernel_smallILi42EfPKPfEEv13rocblas_fill_17rocblas_diagonal_T1_iil.has_indirect_call, 0
	.section	.AMDGPU.csdata,"",@progbits
; Kernel info:
; codeLenInByte = 24144
; TotalNumSgprs: 50
; NumVgprs: 128
; ScratchSize: 176
; MemoryBound: 0
; FloatMode: 240
; IeeeMode: 1
; LDSByteSize: 344 bytes/workgroup (compile time only)
; SGPRBlocks: 0
; VGPRBlocks: 7
; NumSGPRsForWavesPerEU: 50
; NumVGPRsForWavesPerEU: 128
; NamedBarCnt: 0
; Occupancy: 8
; WaveLimiterHint : 1
; COMPUTE_PGM_RSRC2:SCRATCH_EN: 1
; COMPUTE_PGM_RSRC2:USER_SGPR: 2
; COMPUTE_PGM_RSRC2:TRAP_HANDLER: 0
; COMPUTE_PGM_RSRC2:TGID_X_EN: 1
; COMPUTE_PGM_RSRC2:TGID_Y_EN: 0
; COMPUTE_PGM_RSRC2:TGID_Z_EN: 0
; COMPUTE_PGM_RSRC2:TIDIG_COMP_CNT: 0
	.section	.text._ZN9rocsolver6v33100L18trti2_kernel_smallILi43EfPKPfEEv13rocblas_fill_17rocblas_diagonal_T1_iil,"axG",@progbits,_ZN9rocsolver6v33100L18trti2_kernel_smallILi43EfPKPfEEv13rocblas_fill_17rocblas_diagonal_T1_iil,comdat
	.globl	_ZN9rocsolver6v33100L18trti2_kernel_smallILi43EfPKPfEEv13rocblas_fill_17rocblas_diagonal_T1_iil ; -- Begin function _ZN9rocsolver6v33100L18trti2_kernel_smallILi43EfPKPfEEv13rocblas_fill_17rocblas_diagonal_T1_iil
	.p2align	8
	.type	_ZN9rocsolver6v33100L18trti2_kernel_smallILi43EfPKPfEEv13rocblas_fill_17rocblas_diagonal_T1_iil,@function
_ZN9rocsolver6v33100L18trti2_kernel_smallILi43EfPKPfEEv13rocblas_fill_17rocblas_diagonal_T1_iil: ; @_ZN9rocsolver6v33100L18trti2_kernel_smallILi43EfPKPfEEv13rocblas_fill_17rocblas_diagonal_T1_iil
; %bb.0:
	s_mov_b32 s2, exec_lo
	v_cmpx_gt_u32_e32 43, v0
	s_cbranch_execz .LBB106_830
; %bb.1:
	s_clause 0x1
	s_load_b64 s[8:9], s[0:1], 0x10
	s_load_b128 s[4:7], s[0:1], 0x0
	s_wait_xcnt 0x0
	s_bfe_u32 s0, ttmp6, 0x4000c
	s_and_b32 s1, ttmp6, 15
	s_add_co_i32 s0, s0, 1
	s_getreg_b32 s2, hwreg(HW_REG_IB_STS2, 6, 4)
	s_mul_i32 s0, ttmp9, s0
	v_dual_mov_b32 v7, 0 :: v_dual_lshlrev_b32 v6, 2, v0
	s_add_co_i32 s0, s1, s0
	v_mov_b32_e32 v90, -1.0
	s_wait_kmcnt 0x0
	s_ashr_i32 s1, s8, 31
	s_cmp_eq_u32 s2, 0
	v_add3_u32 v8, s9, s9, v0
	s_cselect_b32 s2, ttmp9, s0
	s_mov_b32 s0, s8
	s_ashr_i32 s3, s2, 31
	s_lshl_b64 s[0:1], s[0:1], 2
	s_lshl_b64 s[2:3], s[2:3], 3
	v_add_nc_u32_e32 v10, s9, v8
	s_add_nc_u64 s[2:3], s[6:7], s[2:3]
	v_ashrrev_i32_e32 v9, 31, v8
	s_load_b64 s[2:3], s[2:3], 0x0
	s_delay_alu instid0(VALU_DEP_2) | instskip(NEXT) | instid1(VALU_DEP_1)
	v_add_nc_u32_e32 v12, s9, v10
	v_add_nc_u32_e32 v14, s9, v12
	s_delay_alu instid0(VALU_DEP_1) | instskip(NEXT) | instid1(VALU_DEP_1)
	v_add_nc_u32_e32 v16, s9, v14
	v_dual_ashrrev_i32 v11, 31, v10 :: v_dual_add_nc_u32 v18, s9, v16
	v_ashrrev_i32_e32 v17, 31, v16
	s_wait_kmcnt 0x0
	s_add_nc_u64 s[2:3], s[2:3], s[0:1]
	s_mov_b32 s0, s9
	flat_load_b32 v1, v0, s[2:3] scale_offset
	v_add_nc_u64_e32 v[2:3], s[2:3], v[6:7]
	s_ashr_i32 s1, s9, 31
	v_dual_add_nc_u32 v20, s9, v18 :: v_dual_ashrrev_i32 v13, 31, v12
	v_ashrrev_i32_e32 v15, 31, v14
	v_ashrrev_i32_e32 v19, 31, v18
	s_cmp_lg_u32 s5, 0x84
	s_delay_alu instid0(VALU_DEP_4) | instskip(SKIP_4) | instid1(VALU_DEP_1)
	v_lshl_add_u64 v[4:5], s[0:1], 2, v[2:3]
	v_add_nc_u32_e32 v22, s9, v20
	s_cselect_b32 s6, -1, 0
	s_cmp_eq_u32 s5, 0x84
	s_movk_i32 s1, 0x84
	v_add_nc_u32_e32 v24, s9, v22
	s_delay_alu instid0(VALU_DEP_1) | instskip(NEXT) | instid1(VALU_DEP_1)
	v_add_nc_u32_e32 v26, s9, v24
	v_dual_add_nc_u32 v28, s9, v26 :: v_dual_ashrrev_i32 v21, 31, v20
	s_delay_alu instid0(VALU_DEP_1) | instskip(NEXT) | instid1(VALU_DEP_1)
	v_dual_ashrrev_i32 v23, 31, v22 :: v_dual_add_nc_u32 v30, s9, v28
	v_dual_ashrrev_i32 v29, 31, v28 :: v_dual_ashrrev_i32 v31, 31, v30
	v_dual_add_nc_u32 v32, s9, v30 :: v_dual_ashrrev_i32 v25, 31, v24
	s_delay_alu instid0(VALU_DEP_1) | instskip(NEXT) | instid1(VALU_DEP_1)
	v_dual_ashrrev_i32 v27, 31, v26 :: v_dual_add_nc_u32 v34, s9, v32
	v_add_nc_u32_e32 v36, s9, v34
	s_delay_alu instid0(VALU_DEP_1) | instskip(NEXT) | instid1(VALU_DEP_1)
	v_add_nc_u32_e32 v38, s9, v36
	v_dual_add_nc_u32 v40, s9, v38 :: v_dual_ashrrev_i32 v33, 31, v32
	s_delay_alu instid0(VALU_DEP_1) | instskip(NEXT) | instid1(VALU_DEP_1)
	v_dual_ashrrev_i32 v35, 31, v34 :: v_dual_add_nc_u32 v42, s9, v40
	v_dual_ashrrev_i32 v41, 31, v40 :: v_dual_ashrrev_i32 v43, 31, v42
	v_dual_add_nc_u32 v44, s9, v42 :: v_dual_ashrrev_i32 v37, 31, v36
	s_delay_alu instid0(VALU_DEP_1) | instskip(NEXT) | instid1(VALU_DEP_1)
	v_dual_ashrrev_i32 v39, 31, v38 :: v_dual_add_nc_u32 v46, s9, v44
	;; [unrolled: 10-line block ×5, first 2 shown]
	v_add_nc_u32_e32 v84, s9, v82
	s_delay_alu instid0(VALU_DEP_1) | instskip(NEXT) | instid1(VALU_DEP_1)
	v_dual_add_nc_u32 v86, s9, v84 :: v_dual_ashrrev_i32 v85, 31, v84
	v_dual_ashrrev_i32 v87, 31, v86 :: v_dual_add_nc_u32 v88, s9, v86
	v_dual_ashrrev_i32 v81, 31, v80 :: v_dual_ashrrev_i32 v83, 31, v82
	s_delay_alu instid0(VALU_DEP_2)
	v_ashrrev_i32_e32 v89, 31, v88
	s_wait_loadcnt_dscnt 0x0
	scratch_store_b32 off, v1, off
	flat_load_b32 v1, v[4:5]
	s_wait_loadcnt_dscnt 0x0
	scratch_store_b32 off, v1, off offset:4
	flat_load_b32 v1, v8, s[2:3] scale_offset
	s_wait_loadcnt_dscnt 0x0
	scratch_store_b32 off, v1, off offset:8
	flat_load_b32 v1, v10, s[2:3] scale_offset
	;; [unrolled: 3-line block ×41, first 2 shown]
	s_wait_loadcnt_dscnt 0x0
	scratch_store_b32 off, v1, off offset:168
	s_cbranch_scc1 .LBB106_3
; %bb.2:
	scratch_load_b32 v1, v0, off scale_offset
	s_wait_loadcnt 0x0
	v_div_scale_f32 v7, null, v1, v1, 1.0
	s_delay_alu instid0(VALU_DEP_1) | instskip(SKIP_1) | instid1(TRANS32_DEP_1)
	v_rcp_f32_e32 v90, v7
	v_nop
	v_fma_f32 v91, -v7, v90, 1.0
	s_delay_alu instid0(VALU_DEP_1) | instskip(SKIP_1) | instid1(VALU_DEP_1)
	v_fmac_f32_e32 v90, v91, v90
	v_div_scale_f32 v91, vcc_lo, 1.0, v1, 1.0
	v_mul_f32_e32 v92, v91, v90
	s_delay_alu instid0(VALU_DEP_1) | instskip(NEXT) | instid1(VALU_DEP_1)
	v_fma_f32 v93, -v7, v92, v91
	v_fmac_f32_e32 v92, v93, v90
	s_delay_alu instid0(VALU_DEP_1) | instskip(NEXT) | instid1(VALU_DEP_1)
	v_fma_f32 v7, -v7, v92, v91
	v_div_fmas_f32 v7, v7, v90, v92
	s_delay_alu instid0(VALU_DEP_1) | instskip(NEXT) | instid1(VALU_DEP_1)
	v_div_fixup_f32 v1, v7, v1, 1.0
	v_xor_b32_e32 v90, 0x80000000, v1
	scratch_store_b32 v0, v1, off scale_offset
.LBB106_3:
	s_wait_xcnt 0x0
	v_add_nc_u32_e32 v1, 0xb0, v6
	v_mov_b32_e32 v7, v6
	s_cmp_eq_u32 s4, 0x79
	s_mov_b32 s5, -1
	ds_store_b32 v6, v90
	s_cbranch_scc1 .LBB106_417
; %bb.4:
	scratch_load_b32 v90, off, off offset:164
	v_cmp_eq_u32_e64 s0, 42, v0
	s_movk_i32 s21, 0x44
	s_movk_i32 s22, 0x48
	;; [unrolled: 1-line block ×23, first 2 shown]
	s_wait_loadcnt 0x0
	ds_store_b32 v1, v90
	s_wait_storecnt_dscnt 0x0
	s_barrier_signal -1
	s_barrier_wait -1
	s_wait_xcnt 0x0
	s_and_saveexec_b32 s4, s0
	s_cbranch_execz .LBB106_10
; %bb.5:
	s_and_b32 vcc_lo, exec_lo, s6
	s_cbranch_vccz .LBB106_7
; %bb.6:
	scratch_load_b32 v90, v7, off
	ds_load_b32 v91, v1
	s_wait_loadcnt_dscnt 0x0
	v_mul_f32_e32 v90, v90, v91
	s_cbranch_execz .LBB106_8
	s_branch .LBB106_9
.LBB106_7:
                                        ; implicit-def: $vgpr90
	s_and_not1_b32 vcc_lo, exec_lo, s5
	s_cbranch_vccnz .LBB106_9
.LBB106_8:
	ds_load_b32 v90, v1
.LBB106_9:
	v_mov_b32_e32 v91, 0
	ds_load_b32 v91, v91 offset:164
	s_wait_dscnt 0x0
	v_mul_f32_e32 v90, v90, v91
	scratch_store_b32 off, v90, off offset:164
.LBB106_10:
	s_wait_xcnt 0x0
	s_or_b32 exec_lo, exec_lo, s4
	scratch_load_b32 v90, off, off offset:160
	s_mov_b32 s38, s1
	v_cmp_lt_u32_e64 s1, 40, v0
	s_or_b32 s4, 0, 4
	s_or_b32 s5, 0, 8
	;; [unrolled: 1-line block ×3, first 2 shown]
	s_mov_b32 s8, 16
	s_mov_b32 s9, 20
	s_mov_b32 s10, 24
	s_mov_b32 s11, 28
	s_mov_b32 s12, 32
	s_mov_b32 s13, 36
	s_mov_b32 s14, 40
	s_mov_b32 s15, 44
	s_mov_b32 s16, 48
	s_mov_b32 s17, 52
	s_mov_b32 s18, 56
	s_mov_b32 s19, 60
	s_mov_b32 s20, 64
	s_wait_loadcnt 0x0
	ds_store_b32 v1, v90
	s_wait_storecnt_dscnt 0x0
	s_barrier_signal -1
	s_barrier_wait -1
	s_wait_xcnt 0x0
	s_and_saveexec_b32 s46, s1
	s_cbranch_execz .LBB106_16
; %bb.11:
	s_and_not1_b32 vcc_lo, exec_lo, s6
	s_cbranch_vccnz .LBB106_13
; %bb.12:
	scratch_load_b32 v90, v7, off
	ds_load_b32 v91, v1
	s_wait_loadcnt_dscnt 0x0
	v_mul_f32_e32 v90, v90, v91
	s_cbranch_execz .LBB106_14
	s_branch .LBB106_15
.LBB106_13:
                                        ; implicit-def: $vgpr90
.LBB106_14:
	ds_load_b32 v90, v1
.LBB106_15:
	scratch_load_b32 v91, off, off offset:164
	v_mov_b32_e32 v92, 0
	ds_load_2addr_b32 v[92:93], v92 offset0:40 offset1:85
	s_wait_loadcnt_dscnt 0x0
	v_fma_f32 v91, v91, v93, v90
	s_delay_alu instid0(VALU_DEP_1) | instskip(NEXT) | instid1(VALU_DEP_1)
	v_cndmask_b32_e64 v90, v90, v91, s0
	v_mul_f32_e32 v90, v90, v92
	scratch_store_b32 off, v90, off offset:160
.LBB106_16:
	s_wait_xcnt 0x0
	s_or_b32 exec_lo, exec_lo, s46
	scratch_load_b32 v90, off, off offset:156
	v_cmp_lt_u32_e64 s0, 39, v0
	s_wait_loadcnt 0x0
	ds_store_b32 v1, v90
	s_wait_storecnt_dscnt 0x0
	s_barrier_signal -1
	s_barrier_wait -1
	s_wait_xcnt 0x0
	s_and_saveexec_b32 s46, s0
	s_cbranch_execz .LBB106_26
; %bb.17:
	s_and_not1_b32 vcc_lo, exec_lo, s6
	s_cbranch_vccnz .LBB106_19
; %bb.18:
	scratch_load_b32 v90, v7, off
	ds_load_b32 v91, v1
	s_wait_loadcnt_dscnt 0x0
	v_mul_f32_e32 v90, v90, v91
	s_cbranch_execz .LBB106_20
	s_branch .LBB106_21
.LBB106_19:
                                        ; implicit-def: $vgpr90
.LBB106_20:
	ds_load_b32 v90, v1
.LBB106_21:
	s_and_saveexec_b32 s47, s1
	s_cbranch_execz .LBB106_25
; %bb.22:
	v_subrev_nc_u32_e32 v91, 40, v0
	s_movk_i32 s48, 0x150
	s_mov_b32 s1, 0
.LBB106_23:                             ; =>This Inner Loop Header: Depth=1
	scratch_load_b32 v92, off, s45
	v_dual_mov_b32 v93, s48 :: v_dual_add_nc_u32 v91, -1, v91
	s_add_co_i32 s48, s48, 4
	s_wait_xcnt 0x0
	s_add_co_i32 s45, s45, 4
	ds_load_b32 v93, v93
	v_cmp_eq_u32_e32 vcc_lo, 0, v91
	s_or_b32 s1, vcc_lo, s1
	s_wait_loadcnt_dscnt 0x0
	v_fmac_f32_e32 v90, v92, v93
	s_and_not1_b32 exec_lo, exec_lo, s1
	s_cbranch_execnz .LBB106_23
; %bb.24:
	s_or_b32 exec_lo, exec_lo, s1
.LBB106_25:
	s_delay_alu instid0(SALU_CYCLE_1)
	s_or_b32 exec_lo, exec_lo, s47
	v_mov_b32_e32 v91, 0
	ds_load_b32 v91, v91 offset:156
	s_wait_dscnt 0x0
	v_mul_f32_e32 v90, v90, v91
	scratch_store_b32 off, v90, off offset:156
.LBB106_26:
	s_wait_xcnt 0x0
	s_or_b32 exec_lo, exec_lo, s46
	scratch_load_b32 v90, off, off offset:152
	v_cmp_lt_u32_e64 s1, 38, v0
	s_wait_loadcnt 0x0
	ds_store_b32 v1, v90
	s_wait_storecnt_dscnt 0x0
	s_barrier_signal -1
	s_barrier_wait -1
	s_wait_xcnt 0x0
	s_and_saveexec_b32 s45, s1
	s_cbranch_execz .LBB106_36
; %bb.27:
	s_and_not1_b32 vcc_lo, exec_lo, s6
	s_cbranch_vccnz .LBB106_29
; %bb.28:
	scratch_load_b32 v90, v7, off
	ds_load_b32 v91, v1
	s_wait_loadcnt_dscnt 0x0
	v_mul_f32_e32 v90, v90, v91
	s_cbranch_execz .LBB106_30
	s_branch .LBB106_31
.LBB106_29:
                                        ; implicit-def: $vgpr90
.LBB106_30:
	ds_load_b32 v90, v1
.LBB106_31:
	s_and_saveexec_b32 s46, s0
	s_cbranch_execz .LBB106_35
; %bb.32:
	v_subrev_nc_u32_e32 v91, 39, v0
	s_movk_i32 s47, 0x14c
	s_mov_b32 s0, 0
.LBB106_33:                             ; =>This Inner Loop Header: Depth=1
	scratch_load_b32 v92, off, s44
	v_dual_mov_b32 v93, s47 :: v_dual_add_nc_u32 v91, -1, v91
	s_add_co_i32 s47, s47, 4
	s_wait_xcnt 0x0
	s_add_co_i32 s44, s44, 4
	ds_load_b32 v93, v93
	v_cmp_eq_u32_e32 vcc_lo, 0, v91
	s_or_b32 s0, vcc_lo, s0
	s_wait_loadcnt_dscnt 0x0
	v_fmac_f32_e32 v90, v92, v93
	s_and_not1_b32 exec_lo, exec_lo, s0
	s_cbranch_execnz .LBB106_33
; %bb.34:
	s_or_b32 exec_lo, exec_lo, s0
.LBB106_35:
	s_delay_alu instid0(SALU_CYCLE_1)
	s_or_b32 exec_lo, exec_lo, s46
	v_mov_b32_e32 v91, 0
	ds_load_b32 v91, v91 offset:152
	s_wait_dscnt 0x0
	v_mul_f32_e32 v90, v90, v91
	scratch_store_b32 off, v90, off offset:152
.LBB106_36:
	;; [unrolled: 57-line block ×8, first 2 shown]
	s_wait_xcnt 0x0
	s_or_b32 exec_lo, exec_lo, s39
	scratch_load_b32 v90, off, off offset:124
	v_cmp_lt_u32_e64 s0, 31, v0
	s_wait_loadcnt 0x0
	ds_store_b32 v1, v90
	s_wait_storecnt_dscnt 0x0
	s_barrier_signal -1
	s_barrier_wait -1
	s_wait_xcnt 0x0
	s_and_saveexec_b32 s38, s0
	s_cbranch_execz .LBB106_106
; %bb.97:
	s_and_not1_b32 vcc_lo, exec_lo, s6
	s_cbranch_vccnz .LBB106_99
; %bb.98:
	scratch_load_b32 v90, v7, off
	ds_load_b32 v91, v1
	s_wait_loadcnt_dscnt 0x0
	v_mul_f32_e32 v90, v90, v91
	s_cbranch_execz .LBB106_100
	s_branch .LBB106_101
.LBB106_99:
                                        ; implicit-def: $vgpr90
.LBB106_100:
	ds_load_b32 v90, v1
.LBB106_101:
	s_and_saveexec_b32 s39, s1
	s_cbranch_execz .LBB106_105
; %bb.102:
	v_subrev_nc_u32_e32 v91, 32, v0
	s_movk_i32 s40, 0x130
	s_mov_b32 s1, 0
.LBB106_103:                            ; =>This Inner Loop Header: Depth=1
	scratch_load_b32 v92, off, s37
	v_dual_mov_b32 v93, s40 :: v_dual_add_nc_u32 v91, -1, v91
	s_add_co_i32 s40, s40, 4
	s_wait_xcnt 0x0
	s_add_co_i32 s37, s37, 4
	ds_load_b32 v93, v93
	v_cmp_eq_u32_e32 vcc_lo, 0, v91
	s_or_b32 s1, vcc_lo, s1
	s_wait_loadcnt_dscnt 0x0
	v_fmac_f32_e32 v90, v92, v93
	s_and_not1_b32 exec_lo, exec_lo, s1
	s_cbranch_execnz .LBB106_103
; %bb.104:
	s_or_b32 exec_lo, exec_lo, s1
.LBB106_105:
	s_delay_alu instid0(SALU_CYCLE_1)
	s_or_b32 exec_lo, exec_lo, s39
	v_mov_b32_e32 v91, 0
	ds_load_b32 v91, v91 offset:124
	s_wait_dscnt 0x0
	v_mul_f32_e32 v90, v90, v91
	scratch_store_b32 off, v90, off offset:124
.LBB106_106:
	s_wait_xcnt 0x0
	s_or_b32 exec_lo, exec_lo, s38
	scratch_load_b32 v90, off, off offset:120
	v_cmp_lt_u32_e64 s1, 30, v0
	s_wait_loadcnt 0x0
	ds_store_b32 v1, v90
	s_wait_storecnt_dscnt 0x0
	s_barrier_signal -1
	s_barrier_wait -1
	s_wait_xcnt 0x0
	s_and_saveexec_b32 s37, s1
	s_cbranch_execz .LBB106_116
; %bb.107:
	s_and_not1_b32 vcc_lo, exec_lo, s6
	s_cbranch_vccnz .LBB106_109
; %bb.108:
	scratch_load_b32 v90, v7, off
	ds_load_b32 v91, v1
	s_wait_loadcnt_dscnt 0x0
	v_mul_f32_e32 v90, v90, v91
	s_cbranch_execz .LBB106_110
	s_branch .LBB106_111
.LBB106_109:
                                        ; implicit-def: $vgpr90
.LBB106_110:
	ds_load_b32 v90, v1
.LBB106_111:
	s_and_saveexec_b32 s38, s0
	s_cbranch_execz .LBB106_115
; %bb.112:
	v_subrev_nc_u32_e32 v91, 31, v0
	s_movk_i32 s39, 0x12c
	s_mov_b32 s0, 0
.LBB106_113:                            ; =>This Inner Loop Header: Depth=1
	scratch_load_b32 v92, off, s36
	v_dual_mov_b32 v93, s39 :: v_dual_add_nc_u32 v91, -1, v91
	s_add_co_i32 s39, s39, 4
	s_wait_xcnt 0x0
	s_add_co_i32 s36, s36, 4
	ds_load_b32 v93, v93
	v_cmp_eq_u32_e32 vcc_lo, 0, v91
	s_or_b32 s0, vcc_lo, s0
	s_wait_loadcnt_dscnt 0x0
	v_fmac_f32_e32 v90, v92, v93
	s_and_not1_b32 exec_lo, exec_lo, s0
	s_cbranch_execnz .LBB106_113
; %bb.114:
	s_or_b32 exec_lo, exec_lo, s0
.LBB106_115:
	s_delay_alu instid0(SALU_CYCLE_1)
	s_or_b32 exec_lo, exec_lo, s38
	v_mov_b32_e32 v91, 0
	ds_load_b32 v91, v91 offset:120
	s_wait_dscnt 0x0
	v_mul_f32_e32 v90, v90, v91
	scratch_store_b32 off, v90, off offset:120
.LBB106_116:
	;; [unrolled: 57-line block ×16, first 2 shown]
	s_wait_xcnt 0x0
	s_or_b32 exec_lo, exec_lo, s22
	scratch_load_b32 v90, off, off offset:60
	v_cmp_lt_u32_e64 s0, 15, v0
	s_wait_loadcnt 0x0
	ds_store_b32 v1, v90
	s_wait_storecnt_dscnt 0x0
	s_barrier_signal -1
	s_barrier_wait -1
	s_wait_xcnt 0x0
	s_and_saveexec_b32 s21, s0
	s_cbranch_execz .LBB106_266
; %bb.257:
	s_and_not1_b32 vcc_lo, exec_lo, s6
	s_cbranch_vccnz .LBB106_259
; %bb.258:
	scratch_load_b32 v90, v7, off
	ds_load_b32 v91, v1
	s_wait_loadcnt_dscnt 0x0
	v_mul_f32_e32 v90, v90, v91
	s_cbranch_execz .LBB106_260
	s_branch .LBB106_261
.LBB106_259:
                                        ; implicit-def: $vgpr90
.LBB106_260:
	ds_load_b32 v90, v1
.LBB106_261:
	s_and_saveexec_b32 s22, s1
	s_cbranch_execz .LBB106_265
; %bb.262:
	v_add_nc_u32_e32 v91, -16, v0
	s_movk_i32 s23, 0xf0
	s_mov_b32 s1, 0
.LBB106_263:                            ; =>This Inner Loop Header: Depth=1
	scratch_load_b32 v92, off, s20
	v_dual_mov_b32 v93, s23 :: v_dual_add_nc_u32 v91, -1, v91
	s_add_co_i32 s23, s23, 4
	s_wait_xcnt 0x0
	s_add_co_i32 s20, s20, 4
	ds_load_b32 v93, v93
	v_cmp_eq_u32_e32 vcc_lo, 0, v91
	s_or_b32 s1, vcc_lo, s1
	s_wait_loadcnt_dscnt 0x0
	v_fmac_f32_e32 v90, v92, v93
	s_and_not1_b32 exec_lo, exec_lo, s1
	s_cbranch_execnz .LBB106_263
; %bb.264:
	s_or_b32 exec_lo, exec_lo, s1
.LBB106_265:
	s_delay_alu instid0(SALU_CYCLE_1)
	s_or_b32 exec_lo, exec_lo, s22
	v_mov_b32_e32 v91, 0
	ds_load_b32 v91, v91 offset:60
	s_wait_dscnt 0x0
	v_mul_f32_e32 v90, v90, v91
	scratch_store_b32 off, v90, off offset:60
.LBB106_266:
	s_wait_xcnt 0x0
	s_or_b32 exec_lo, exec_lo, s21
	scratch_load_b32 v90, off, off offset:56
	v_cmp_lt_u32_e64 s1, 14, v0
	s_wait_loadcnt 0x0
	ds_store_b32 v1, v90
	s_wait_storecnt_dscnt 0x0
	s_barrier_signal -1
	s_barrier_wait -1
	s_wait_xcnt 0x0
	s_and_saveexec_b32 s20, s1
	s_cbranch_execz .LBB106_276
; %bb.267:
	s_and_not1_b32 vcc_lo, exec_lo, s6
	s_cbranch_vccnz .LBB106_269
; %bb.268:
	scratch_load_b32 v90, v7, off
	ds_load_b32 v91, v1
	s_wait_loadcnt_dscnt 0x0
	v_mul_f32_e32 v90, v90, v91
	s_cbranch_execz .LBB106_270
	s_branch .LBB106_271
.LBB106_269:
                                        ; implicit-def: $vgpr90
.LBB106_270:
	ds_load_b32 v90, v1
.LBB106_271:
	s_and_saveexec_b32 s21, s0
	s_cbranch_execz .LBB106_275
; %bb.272:
	v_add_nc_u32_e32 v91, -15, v0
	s_movk_i32 s22, 0xec
	s_mov_b32 s0, 0
.LBB106_273:                            ; =>This Inner Loop Header: Depth=1
	scratch_load_b32 v92, off, s19
	v_dual_mov_b32 v93, s22 :: v_dual_add_nc_u32 v91, -1, v91
	s_add_co_i32 s22, s22, 4
	s_wait_xcnt 0x0
	s_add_co_i32 s19, s19, 4
	ds_load_b32 v93, v93
	v_cmp_eq_u32_e32 vcc_lo, 0, v91
	s_or_b32 s0, vcc_lo, s0
	s_wait_loadcnt_dscnt 0x0
	v_fmac_f32_e32 v90, v92, v93
	s_and_not1_b32 exec_lo, exec_lo, s0
	s_cbranch_execnz .LBB106_273
; %bb.274:
	s_or_b32 exec_lo, exec_lo, s0
.LBB106_275:
	s_delay_alu instid0(SALU_CYCLE_1)
	s_or_b32 exec_lo, exec_lo, s21
	v_mov_b32_e32 v91, 0
	ds_load_b32 v91, v91 offset:56
	s_wait_dscnt 0x0
	v_mul_f32_e32 v90, v90, v91
	scratch_store_b32 off, v90, off offset:56
.LBB106_276:
	;; [unrolled: 57-line block ×15, first 2 shown]
	s_wait_xcnt 0x0
	s_or_b32 exec_lo, exec_lo, s7
	scratch_load_b32 v90, off, off
	s_mov_b32 s5, 0
	s_mov_b32 s1, exec_lo
	s_wait_loadcnt 0x0
	ds_store_b32 v1, v90
	s_wait_storecnt_dscnt 0x0
	s_barrier_signal -1
	s_barrier_wait -1
	s_wait_xcnt 0x0
	v_cmpx_ne_u32_e32 0, v0
	s_cbranch_execz .LBB106_416
; %bb.407:
	s_and_not1_b32 vcc_lo, exec_lo, s6
	s_cbranch_vccnz .LBB106_409
; %bb.408:
	scratch_load_b32 v90, v7, off
	ds_load_b32 v91, v1
	s_wait_loadcnt_dscnt 0x0
	v_mul_f32_e32 v90, v90, v91
	s_cbranch_execz .LBB106_410
	s_branch .LBB106_411
.LBB106_409:
                                        ; implicit-def: $vgpr90
.LBB106_410:
	ds_load_b32 v90, v1
.LBB106_411:
	s_and_saveexec_b32 s7, s0
	s_cbranch_execz .LBB106_415
; %bb.412:
	v_add_nc_u32_e32 v91, -1, v0
	s_movk_i32 s8, 0xb4
	s_mov_b32 s0, 0
.LBB106_413:                            ; =>This Inner Loop Header: Depth=1
	scratch_load_b32 v92, off, s4
	v_dual_mov_b32 v93, s8 :: v_dual_add_nc_u32 v91, -1, v91
	s_add_co_i32 s8, s8, 4
	s_wait_xcnt 0x0
	s_add_co_i32 s4, s4, 4
	ds_load_b32 v93, v93
	v_cmp_eq_u32_e32 vcc_lo, 0, v91
	s_or_b32 s0, vcc_lo, s0
	s_wait_loadcnt_dscnt 0x0
	v_fmac_f32_e32 v90, v92, v93
	s_and_not1_b32 exec_lo, exec_lo, s0
	s_cbranch_execnz .LBB106_413
; %bb.414:
	s_or_b32 exec_lo, exec_lo, s0
.LBB106_415:
	s_delay_alu instid0(SALU_CYCLE_1)
	s_or_b32 exec_lo, exec_lo, s7
	v_mov_b32_e32 v91, 0
	ds_load_b32 v91, v91
	s_wait_dscnt 0x0
	v_mul_f32_e32 v90, v90, v91
	scratch_store_b32 off, v90, off
.LBB106_416:
	s_wait_xcnt 0x0
	s_or_b32 exec_lo, exec_lo, s1
.LBB106_417:
	v_lshl_add_u64 v[128:129], v[8:9], 2, s[2:3]
	v_lshl_add_u64 v[126:127], v[10:11], 2, s[2:3]
	;; [unrolled: 1-line block ×41, first 2 shown]
	s_and_b32 vcc_lo, exec_lo, s5
	s_cbranch_vccz .LBB106_829
; %bb.418:
	scratch_load_b32 v50, off, off offset:4
	v_cmp_eq_u32_e64 s0, 0, v0
	s_wait_loadcnt 0x0
	ds_store_b32 v1, v50
	s_wait_storecnt_dscnt 0x0
	s_barrier_signal -1
	s_barrier_wait -1
	s_wait_xcnt 0x0
	s_and_saveexec_b32 s1, s0
	s_cbranch_execz .LBB106_424
; %bb.419:
	s_and_b32 vcc_lo, exec_lo, s6
	s_cbranch_vccz .LBB106_421
; %bb.420:
	scratch_load_b32 v50, v7, off
	ds_load_b32 v51, v1
	s_wait_loadcnt_dscnt 0x0
	v_mul_f32_e32 v50, v50, v51
	s_cbranch_execz .LBB106_422
	s_branch .LBB106_423
.LBB106_421:
                                        ; implicit-def: $vgpr50
.LBB106_422:
	ds_load_b32 v50, v1
.LBB106_423:
	v_mov_b32_e32 v51, 0
	ds_load_b32 v51, v51 offset:4
	s_wait_dscnt 0x0
	v_mul_f32_e32 v50, v50, v51
	scratch_store_b32 off, v50, off offset:4
.LBB106_424:
	s_wait_xcnt 0x0
	s_or_b32 exec_lo, exec_lo, s1
	scratch_load_b32 v51, off, off offset:8
	v_cndmask_b32_e64 v50, 0, 1, s6
	s_mov_b32 s1, exec_lo
	s_wait_loadcnt 0x0
	ds_store_b32 v1, v51
	s_wait_storecnt_dscnt 0x0
	s_barrier_signal -1
	s_barrier_wait -1
	s_wait_xcnt 0x0
	v_cmpx_gt_u32_e32 2, v0
	s_cbranch_execz .LBB106_430
; %bb.425:
	s_and_not1_b32 vcc_lo, exec_lo, s6
	s_cbranch_vccnz .LBB106_427
; %bb.426:
	scratch_load_b32 v51, v7, off
	ds_load_b32 v52, v1
	s_wait_loadcnt_dscnt 0x0
	v_mul_f32_e32 v51, v51, v52
	s_cbranch_execz .LBB106_428
	s_branch .LBB106_429
.LBB106_427:
                                        ; implicit-def: $vgpr51
.LBB106_428:
	ds_load_b32 v51, v1
.LBB106_429:
	scratch_load_b32 v54, off, off offset:4
	v_mov_b32_e32 v52, 0
	ds_load_2addr_b32 v[52:53], v52 offset0:2 offset1:45
	s_wait_loadcnt_dscnt 0x0
	v_fma_f32 v53, v54, v53, v51
	s_delay_alu instid0(VALU_DEP_1) | instskip(NEXT) | instid1(VALU_DEP_1)
	v_cndmask_b32_e64 v51, v51, v53, s0
	v_mul_f32_e32 v51, v51, v52
	scratch_store_b32 off, v51, off offset:8
.LBB106_430:
	s_wait_xcnt 0x0
	s_or_b32 exec_lo, exec_lo, s1
	scratch_load_b32 v51, off, off offset:12
	s_mov_b32 s1, exec_lo
	s_wait_loadcnt 0x0
	ds_store_b32 v1, v51
	s_wait_storecnt_dscnt 0x0
	s_barrier_signal -1
	s_barrier_wait -1
	s_wait_xcnt 0x0
	v_cmpx_gt_u32_e32 3, v0
	s_cbranch_execz .LBB106_438
; %bb.431:
	v_cmp_ne_u32_e32 vcc_lo, 1, v50
	s_cbranch_vccnz .LBB106_433
; %bb.432:
	scratch_load_b32 v51, v7, off
	ds_load_b32 v52, v1
	s_wait_loadcnt_dscnt 0x0
	v_mul_f32_e32 v51, v51, v52
	s_cbranch_execz .LBB106_434
	s_branch .LBB106_435
.LBB106_433:
                                        ; implicit-def: $vgpr51
.LBB106_434:
	ds_load_b32 v51, v1
.LBB106_435:
	s_mov_b32 s2, exec_lo
	v_cmpx_ne_u32_e32 2, v0
	s_cbranch_execz .LBB106_437
; %bb.436:
	scratch_load_b32 v52, v7, off offset:4
	scratch_load_b32 v53, off, off offset:8
	ds_load_b32 v54, v1 offset:4
	v_mov_b32_e32 v55, 0
	ds_load_b32 v55, v55 offset:184
	s_wait_loadcnt_dscnt 0x101
	v_fmac_f32_e32 v51, v52, v54
	s_wait_loadcnt_dscnt 0x0
	s_delay_alu instid0(VALU_DEP_1) | instskip(NEXT) | instid1(VALU_DEP_1)
	v_fma_f32 v52, v53, v55, v51
	v_cndmask_b32_e64 v51, v51, v52, s0
.LBB106_437:
	s_or_b32 exec_lo, exec_lo, s2
	v_mov_b32_e32 v52, 0
	ds_load_b32 v52, v52 offset:12
	s_wait_dscnt 0x0
	v_mul_f32_e32 v51, v51, v52
	scratch_store_b32 off, v51, off offset:12
.LBB106_438:
	s_wait_xcnt 0x0
	s_or_b32 exec_lo, exec_lo, s1
	scratch_load_b32 v51, off, off offset:16
	s_mov_b32 s0, exec_lo
	s_wait_loadcnt 0x0
	ds_store_b32 v1, v51
	s_wait_storecnt_dscnt 0x0
	s_barrier_signal -1
	s_barrier_wait -1
	s_wait_xcnt 0x0
	v_cmpx_gt_u32_e32 4, v0
	s_cbranch_execz .LBB106_448
; %bb.439:
	v_cmp_ne_u32_e32 vcc_lo, 1, v50
	s_cbranch_vccnz .LBB106_441
; %bb.440:
	scratch_load_b32 v51, v7, off
	ds_load_b32 v52, v1
	s_wait_loadcnt_dscnt 0x0
	v_mul_f32_e32 v51, v51, v52
	s_cbranch_execz .LBB106_442
	s_branch .LBB106_443
.LBB106_441:
                                        ; implicit-def: $vgpr51
.LBB106_442:
	ds_load_b32 v51, v1
.LBB106_443:
	s_mov_b32 s1, exec_lo
	v_cmpx_ne_u32_e32 3, v0
	s_cbranch_execz .LBB106_447
; %bb.444:
	v_add_nc_u32_e32 v52, 0xb4, v6
	v_add3_u32 v53, 0, v6, 4
	v_mov_b32_e32 v54, v0
	s_mov_b32 s2, 0
.LBB106_445:                            ; =>This Inner Loop Header: Depth=1
	scratch_load_b32 v55, v53, off
	ds_load_b32 v56, v52
	v_dual_add_nc_u32 v54, 1, v54 :: v_dual_add_nc_u32 v52, 4, v52
	s_wait_xcnt 0x0
	v_add_nc_u32_e32 v53, 4, v53
	s_delay_alu instid0(VALU_DEP_2)
	v_cmp_lt_u32_e32 vcc_lo, 2, v54
	s_or_b32 s2, vcc_lo, s2
	s_wait_loadcnt_dscnt 0x0
	v_fmac_f32_e32 v51, v55, v56
	s_and_not1_b32 exec_lo, exec_lo, s2
	s_cbranch_execnz .LBB106_445
; %bb.446:
	s_or_b32 exec_lo, exec_lo, s2
.LBB106_447:
	s_delay_alu instid0(SALU_CYCLE_1)
	s_or_b32 exec_lo, exec_lo, s1
	v_mov_b32_e32 v52, 0
	ds_load_b32 v52, v52 offset:16
	s_wait_dscnt 0x0
	v_mul_f32_e32 v51, v51, v52
	scratch_store_b32 off, v51, off offset:16
.LBB106_448:
	s_wait_xcnt 0x0
	s_or_b32 exec_lo, exec_lo, s0
	scratch_load_b32 v51, off, off offset:20
	s_mov_b32 s0, exec_lo
	s_wait_loadcnt 0x0
	ds_store_b32 v1, v51
	s_wait_storecnt_dscnt 0x0
	s_barrier_signal -1
	s_barrier_wait -1
	s_wait_xcnt 0x0
	v_cmpx_gt_u32_e32 5, v0
	s_cbranch_execz .LBB106_458
; %bb.449:
	v_cmp_ne_u32_e32 vcc_lo, 1, v50
	s_cbranch_vccnz .LBB106_451
; %bb.450:
	scratch_load_b32 v51, v7, off
	ds_load_b32 v52, v1
	s_wait_loadcnt_dscnt 0x0
	v_mul_f32_e32 v51, v51, v52
	s_cbranch_execz .LBB106_452
	s_branch .LBB106_453
.LBB106_451:
                                        ; implicit-def: $vgpr51
.LBB106_452:
	ds_load_b32 v51, v1
.LBB106_453:
	s_mov_b32 s1, exec_lo
	v_cmpx_ne_u32_e32 4, v0
	s_cbranch_execz .LBB106_457
; %bb.454:
	v_add_nc_u32_e32 v52, 0xb4, v6
	v_add3_u32 v53, 0, v6, 4
	v_mov_b32_e32 v54, v0
	s_mov_b32 s2, 0
.LBB106_455:                            ; =>This Inner Loop Header: Depth=1
	scratch_load_b32 v55, v53, off
	ds_load_b32 v56, v52
	v_dual_add_nc_u32 v54, 1, v54 :: v_dual_add_nc_u32 v52, 4, v52
	s_wait_xcnt 0x0
	v_add_nc_u32_e32 v53, 4, v53
	s_delay_alu instid0(VALU_DEP_2)
	v_cmp_lt_u32_e32 vcc_lo, 3, v54
	s_or_b32 s2, vcc_lo, s2
	s_wait_loadcnt_dscnt 0x0
	v_fmac_f32_e32 v51, v55, v56
	s_and_not1_b32 exec_lo, exec_lo, s2
	s_cbranch_execnz .LBB106_455
; %bb.456:
	s_or_b32 exec_lo, exec_lo, s2
.LBB106_457:
	s_delay_alu instid0(SALU_CYCLE_1)
	s_or_b32 exec_lo, exec_lo, s1
	v_mov_b32_e32 v52, 0
	ds_load_b32 v52, v52 offset:20
	s_wait_dscnt 0x0
	v_mul_f32_e32 v51, v51, v52
	scratch_store_b32 off, v51, off offset:20
.LBB106_458:
	;; [unrolled: 59-line block ×37, first 2 shown]
	s_wait_xcnt 0x0
	s_or_b32 exec_lo, exec_lo, s0
	scratch_load_b32 v51, off, off offset:164
	v_cmp_gt_u32_e64 s0, 41, v0
	s_wait_loadcnt 0x0
	ds_store_b32 v1, v51
	s_wait_storecnt_dscnt 0x0
	s_barrier_signal -1
	s_barrier_wait -1
	s_wait_xcnt 0x0
	s_and_saveexec_b32 s1, s0
	s_cbranch_execz .LBB106_818
; %bb.809:
	v_cmp_ne_u32_e32 vcc_lo, 1, v50
	s_cbranch_vccnz .LBB106_811
; %bb.810:
	scratch_load_b32 v51, v7, off
	ds_load_b32 v52, v1
	s_wait_loadcnt_dscnt 0x0
	v_mul_f32_e32 v51, v51, v52
	s_cbranch_execz .LBB106_812
	s_branch .LBB106_813
.LBB106_811:
                                        ; implicit-def: $vgpr51
.LBB106_812:
	ds_load_b32 v51, v1
.LBB106_813:
	s_mov_b32 s2, exec_lo
	v_cmpx_ne_u32_e32 40, v0
	s_cbranch_execz .LBB106_817
; %bb.814:
	v_add_nc_u32_e32 v52, 0xb4, v6
	v_add3_u32 v53, 0, v6, 4
	v_mov_b32_e32 v54, v0
	s_mov_b32 s3, 0
.LBB106_815:                            ; =>This Inner Loop Header: Depth=1
	scratch_load_b32 v55, v53, off
	ds_load_b32 v56, v52
	v_dual_add_nc_u32 v54, 1, v54 :: v_dual_add_nc_u32 v52, 4, v52
	s_wait_xcnt 0x0
	v_add_nc_u32_e32 v53, 4, v53
	s_delay_alu instid0(VALU_DEP_2)
	v_cmp_lt_u32_e32 vcc_lo, 39, v54
	s_or_b32 s3, vcc_lo, s3
	s_wait_loadcnt_dscnt 0x0
	v_fmac_f32_e32 v51, v55, v56
	s_and_not1_b32 exec_lo, exec_lo, s3
	s_cbranch_execnz .LBB106_815
; %bb.816:
	s_or_b32 exec_lo, exec_lo, s3
.LBB106_817:
	s_delay_alu instid0(SALU_CYCLE_1)
	s_or_b32 exec_lo, exec_lo, s2
	v_mov_b32_e32 v52, 0
	ds_load_b32 v52, v52 offset:164
	s_wait_dscnt 0x0
	v_mul_f32_e32 v51, v51, v52
	scratch_store_b32 off, v51, off offset:164
.LBB106_818:
	s_wait_xcnt 0x0
	s_or_b32 exec_lo, exec_lo, s1
	scratch_load_b32 v51, off, off offset:168
	s_mov_b32 s1, exec_lo
	s_wait_loadcnt 0x0
	ds_store_b32 v1, v51
	s_wait_storecnt_dscnt 0x0
	s_barrier_signal -1
	s_barrier_wait -1
	s_wait_xcnt 0x0
	v_cmpx_ne_u32_e32 42, v0
	s_cbranch_execz .LBB106_828
; %bb.819:
	v_cmp_ne_u32_e32 vcc_lo, 1, v50
	s_cbranch_vccnz .LBB106_821
; %bb.820:
	scratch_load_b32 v7, v7, off
	ds_load_b32 v50, v1
	s_wait_loadcnt_dscnt 0x0
	v_mul_f32_e32 v7, v7, v50
	s_cbranch_execz .LBB106_822
	s_branch .LBB106_823
.LBB106_821:
                                        ; implicit-def: $vgpr7
.LBB106_822:
	ds_load_b32 v7, v1
.LBB106_823:
	s_and_saveexec_b32 s2, s0
	s_cbranch_execz .LBB106_827
; %bb.824:
	v_add_nc_u32_e32 v1, 0xb4, v6
	v_add3_u32 v6, 0, v6, 4
	s_mov_b32 s0, 0
.LBB106_825:                            ; =>This Inner Loop Header: Depth=1
	scratch_load_b32 v50, v6, off
	ds_load_b32 v51, v1
	v_dual_add_nc_u32 v0, 1, v0 :: v_dual_add_nc_u32 v1, 4, v1
	s_wait_xcnt 0x0
	v_add_nc_u32_e32 v6, 4, v6
	s_delay_alu instid0(VALU_DEP_2)
	v_cmp_lt_u32_e32 vcc_lo, 40, v0
	s_or_b32 s0, vcc_lo, s0
	s_wait_loadcnt_dscnt 0x0
	v_fmac_f32_e32 v7, v50, v51
	s_and_not1_b32 exec_lo, exec_lo, s0
	s_cbranch_execnz .LBB106_825
; %bb.826:
	s_or_b32 exec_lo, exec_lo, s0
.LBB106_827:
	s_delay_alu instid0(SALU_CYCLE_1)
	s_or_b32 exec_lo, exec_lo, s2
	v_mov_b32_e32 v0, 0
	ds_load_b32 v0, v0 offset:168
	s_wait_dscnt 0x0
	v_mul_f32_e32 v0, v7, v0
	scratch_store_b32 off, v0, off offset:168
.LBB106_828:
	s_wait_xcnt 0x0
	s_or_b32 exec_lo, exec_lo, s1
.LBB106_829:
	scratch_load_b32 v0, off, off
	s_wait_loadcnt 0x0
	flat_store_b32 v[2:3], v0
	scratch_load_b32 v0, off, off offset:4
	s_wait_loadcnt 0x0
	flat_store_b32 v[4:5], v0
	scratch_load_b32 v0, off, off offset:8
	;; [unrolled: 3-line block ×42, first 2 shown]
	s_wait_loadcnt 0x0
	flat_store_b32 v[8:9], v0
.LBB106_830:
	s_sendmsg sendmsg(MSG_DEALLOC_VGPRS)
	s_endpgm
	.section	.rodata,"a",@progbits
	.p2align	6, 0x0
	.amdhsa_kernel _ZN9rocsolver6v33100L18trti2_kernel_smallILi43EfPKPfEEv13rocblas_fill_17rocblas_diagonal_T1_iil
		.amdhsa_group_segment_fixed_size 348
		.amdhsa_private_segment_fixed_size 176
		.amdhsa_kernarg_size 32
		.amdhsa_user_sgpr_count 2
		.amdhsa_user_sgpr_dispatch_ptr 0
		.amdhsa_user_sgpr_queue_ptr 0
		.amdhsa_user_sgpr_kernarg_segment_ptr 1
		.amdhsa_user_sgpr_dispatch_id 0
		.amdhsa_user_sgpr_kernarg_preload_length 0
		.amdhsa_user_sgpr_kernarg_preload_offset 0
		.amdhsa_user_sgpr_private_segment_size 0
		.amdhsa_wavefront_size32 1
		.amdhsa_uses_dynamic_stack 0
		.amdhsa_enable_private_segment 1
		.amdhsa_system_sgpr_workgroup_id_x 1
		.amdhsa_system_sgpr_workgroup_id_y 0
		.amdhsa_system_sgpr_workgroup_id_z 0
		.amdhsa_system_sgpr_workgroup_info 0
		.amdhsa_system_vgpr_workitem_id 0
		.amdhsa_next_free_vgpr 130
		.amdhsa_next_free_sgpr 49
		.amdhsa_named_barrier_count 0
		.amdhsa_reserve_vcc 1
		.amdhsa_float_round_mode_32 0
		.amdhsa_float_round_mode_16_64 0
		.amdhsa_float_denorm_mode_32 3
		.amdhsa_float_denorm_mode_16_64 3
		.amdhsa_fp16_overflow 0
		.amdhsa_memory_ordered 1
		.amdhsa_forward_progress 1
		.amdhsa_inst_pref_size 194
		.amdhsa_round_robin_scheduling 0
		.amdhsa_exception_fp_ieee_invalid_op 0
		.amdhsa_exception_fp_denorm_src 0
		.amdhsa_exception_fp_ieee_div_zero 0
		.amdhsa_exception_fp_ieee_overflow 0
		.amdhsa_exception_fp_ieee_underflow 0
		.amdhsa_exception_fp_ieee_inexact 0
		.amdhsa_exception_int_div_zero 0
	.end_amdhsa_kernel
	.section	.text._ZN9rocsolver6v33100L18trti2_kernel_smallILi43EfPKPfEEv13rocblas_fill_17rocblas_diagonal_T1_iil,"axG",@progbits,_ZN9rocsolver6v33100L18trti2_kernel_smallILi43EfPKPfEEv13rocblas_fill_17rocblas_diagonal_T1_iil,comdat
.Lfunc_end106:
	.size	_ZN9rocsolver6v33100L18trti2_kernel_smallILi43EfPKPfEEv13rocblas_fill_17rocblas_diagonal_T1_iil, .Lfunc_end106-_ZN9rocsolver6v33100L18trti2_kernel_smallILi43EfPKPfEEv13rocblas_fill_17rocblas_diagonal_T1_iil
                                        ; -- End function
	.set _ZN9rocsolver6v33100L18trti2_kernel_smallILi43EfPKPfEEv13rocblas_fill_17rocblas_diagonal_T1_iil.num_vgpr, 130
	.set _ZN9rocsolver6v33100L18trti2_kernel_smallILi43EfPKPfEEv13rocblas_fill_17rocblas_diagonal_T1_iil.num_agpr, 0
	.set _ZN9rocsolver6v33100L18trti2_kernel_smallILi43EfPKPfEEv13rocblas_fill_17rocblas_diagonal_T1_iil.numbered_sgpr, 49
	.set _ZN9rocsolver6v33100L18trti2_kernel_smallILi43EfPKPfEEv13rocblas_fill_17rocblas_diagonal_T1_iil.num_named_barrier, 0
	.set _ZN9rocsolver6v33100L18trti2_kernel_smallILi43EfPKPfEEv13rocblas_fill_17rocblas_diagonal_T1_iil.private_seg_size, 176
	.set _ZN9rocsolver6v33100L18trti2_kernel_smallILi43EfPKPfEEv13rocblas_fill_17rocblas_diagonal_T1_iil.uses_vcc, 1
	.set _ZN9rocsolver6v33100L18trti2_kernel_smallILi43EfPKPfEEv13rocblas_fill_17rocblas_diagonal_T1_iil.uses_flat_scratch, 0
	.set _ZN9rocsolver6v33100L18trti2_kernel_smallILi43EfPKPfEEv13rocblas_fill_17rocblas_diagonal_T1_iil.has_dyn_sized_stack, 0
	.set _ZN9rocsolver6v33100L18trti2_kernel_smallILi43EfPKPfEEv13rocblas_fill_17rocblas_diagonal_T1_iil.has_recursion, 0
	.set _ZN9rocsolver6v33100L18trti2_kernel_smallILi43EfPKPfEEv13rocblas_fill_17rocblas_diagonal_T1_iil.has_indirect_call, 0
	.section	.AMDGPU.csdata,"",@progbits
; Kernel info:
; codeLenInByte = 24752
; TotalNumSgprs: 51
; NumVgprs: 130
; ScratchSize: 176
; MemoryBound: 0
; FloatMode: 240
; IeeeMode: 1
; LDSByteSize: 348 bytes/workgroup (compile time only)
; SGPRBlocks: 0
; VGPRBlocks: 8
; NumSGPRsForWavesPerEU: 51
; NumVGPRsForWavesPerEU: 130
; NamedBarCnt: 0
; Occupancy: 7
; WaveLimiterHint : 1
; COMPUTE_PGM_RSRC2:SCRATCH_EN: 1
; COMPUTE_PGM_RSRC2:USER_SGPR: 2
; COMPUTE_PGM_RSRC2:TRAP_HANDLER: 0
; COMPUTE_PGM_RSRC2:TGID_X_EN: 1
; COMPUTE_PGM_RSRC2:TGID_Y_EN: 0
; COMPUTE_PGM_RSRC2:TGID_Z_EN: 0
; COMPUTE_PGM_RSRC2:TIDIG_COMP_CNT: 0
	.section	.text._ZN9rocsolver6v33100L18trti2_kernel_smallILi44EfPKPfEEv13rocblas_fill_17rocblas_diagonal_T1_iil,"axG",@progbits,_ZN9rocsolver6v33100L18trti2_kernel_smallILi44EfPKPfEEv13rocblas_fill_17rocblas_diagonal_T1_iil,comdat
	.globl	_ZN9rocsolver6v33100L18trti2_kernel_smallILi44EfPKPfEEv13rocblas_fill_17rocblas_diagonal_T1_iil ; -- Begin function _ZN9rocsolver6v33100L18trti2_kernel_smallILi44EfPKPfEEv13rocblas_fill_17rocblas_diagonal_T1_iil
	.p2align	8
	.type	_ZN9rocsolver6v33100L18trti2_kernel_smallILi44EfPKPfEEv13rocblas_fill_17rocblas_diagonal_T1_iil,@function
_ZN9rocsolver6v33100L18trti2_kernel_smallILi44EfPKPfEEv13rocblas_fill_17rocblas_diagonal_T1_iil: ; @_ZN9rocsolver6v33100L18trti2_kernel_smallILi44EfPKPfEEv13rocblas_fill_17rocblas_diagonal_T1_iil
; %bb.0:
	s_mov_b32 s2, exec_lo
	v_cmpx_gt_u32_e32 44, v0
	s_cbranch_execz .LBB107_850
; %bb.1:
	s_clause 0x1
	s_load_b64 s[2:3], s[0:1], 0x10
	s_load_b128 s[4:7], s[0:1], 0x0
	s_wait_xcnt 0x0
	s_bfe_u32 s0, ttmp6, 0x4000c
	s_and_b32 s1, ttmp6, 15
	s_add_co_i32 s0, s0, 1
	s_getreg_b32 s8, hwreg(HW_REG_IB_STS2, 6, 4)
	s_mul_i32 s0, ttmp9, s0
	v_dual_mov_b32 v7, 0 :: v_dual_lshlrev_b32 v6, 2, v0
	s_add_co_i32 s0, s1, s0
	v_mov_b32_e32 v92, -1.0
	s_wait_kmcnt 0x0
	s_ashr_i32 s1, s2, 31
	s_cmp_eq_u32 s8, 0
	v_add3_u32 v8, s3, s3, v0
	s_cselect_b32 s8, ttmp9, s0
	s_mov_b32 s0, s2
	s_ashr_i32 s9, s8, 31
	s_lshl_b64 s[0:1], s[0:1], 2
	s_lshl_b64 s[8:9], s[8:9], 3
	v_add_nc_u32_e32 v10, s3, v8
	s_add_nc_u64 s[6:7], s[6:7], s[8:9]
	s_load_b64 s[6:7], s[6:7], 0x0
	s_delay_alu instid0(VALU_DEP_1) | instskip(NEXT) | instid1(VALU_DEP_1)
	v_add_nc_u32_e32 v12, s3, v10
	v_add_nc_u32_e32 v14, s3, v12
	s_delay_alu instid0(VALU_DEP_1) | instskip(NEXT) | instid1(VALU_DEP_1)
	v_add_nc_u32_e32 v16, s3, v14
	v_dual_ashrrev_i32 v11, 31, v10 :: v_dual_add_nc_u32 v18, s3, v16
	v_ashrrev_i32_e32 v13, 31, v12
	s_wait_kmcnt 0x0
	s_add_nc_u64 s[6:7], s[6:7], s[0:1]
	s_mov_b32 s0, s3
	flat_load_b32 v1, v0, s[6:7] scale_offset
	v_add_nc_u64_e32 v[2:3], s[6:7], v[6:7]
	s_ashr_i32 s1, s3, 31
	v_dual_add_nc_u32 v20, s3, v18 :: v_dual_ashrrev_i32 v9, 31, v8
	v_ashrrev_i32_e32 v15, 31, v14
	v_ashrrev_i32_e32 v19, 31, v18
	s_cmp_lg_u32 s5, 0x84
	s_delay_alu instid0(VALU_DEP_4) | instskip(SKIP_2) | instid1(VALU_DEP_1)
	v_lshl_add_u64 v[4:5], s[0:1], 2, v[2:3]
	v_add_nc_u32_e32 v22, s3, v20
	s_movk_i32 s1, 0x84
	v_add_nc_u32_e32 v24, s3, v22
	s_delay_alu instid0(VALU_DEP_1) | instskip(NEXT) | instid1(VALU_DEP_1)
	v_add_nc_u32_e32 v26, s3, v24
	v_dual_add_nc_u32 v28, s3, v26 :: v_dual_ashrrev_i32 v17, 31, v16
	s_delay_alu instid0(VALU_DEP_1) | instskip(NEXT) | instid1(VALU_DEP_1)
	v_dual_ashrrev_i32 v23, 31, v22 :: v_dual_add_nc_u32 v30, s3, v28
	v_dual_ashrrev_i32 v25, 31, v24 :: v_dual_ashrrev_i32 v31, 31, v30
	v_dual_add_nc_u32 v32, s3, v30 :: v_dual_ashrrev_i32 v21, 31, v20
	s_delay_alu instid0(VALU_DEP_1) | instskip(NEXT) | instid1(VALU_DEP_1)
	v_dual_ashrrev_i32 v27, 31, v26 :: v_dual_add_nc_u32 v34, s3, v32
	v_add_nc_u32_e32 v36, s3, v34
	s_delay_alu instid0(VALU_DEP_1) | instskip(NEXT) | instid1(VALU_DEP_1)
	v_add_nc_u32_e32 v38, s3, v36
	v_dual_add_nc_u32 v40, s3, v38 :: v_dual_ashrrev_i32 v29, 31, v28
	s_delay_alu instid0(VALU_DEP_1) | instskip(NEXT) | instid1(VALU_DEP_1)
	v_dual_ashrrev_i32 v35, 31, v34 :: v_dual_add_nc_u32 v42, s3, v40
	v_dual_ashrrev_i32 v37, 31, v36 :: v_dual_ashrrev_i32 v43, 31, v42
	v_dual_add_nc_u32 v44, s3, v42 :: v_dual_ashrrev_i32 v33, 31, v32
	s_delay_alu instid0(VALU_DEP_1) | instskip(NEXT) | instid1(VALU_DEP_1)
	v_dual_ashrrev_i32 v39, 31, v38 :: v_dual_add_nc_u32 v46, s3, v44
	;; [unrolled: 10-line block ×5, first 2 shown]
	v_add_nc_u32_e32 v84, s3, v82
	s_delay_alu instid0(VALU_DEP_1) | instskip(NEXT) | instid1(VALU_DEP_1)
	v_add_nc_u32_e32 v86, s3, v84
	v_dual_ashrrev_i32 v81, 31, v80 :: v_dual_ashrrev_i32 v87, 31, v86
	v_dual_add_nc_u32 v88, s3, v86 :: v_dual_ashrrev_i32 v77, 31, v76
	s_delay_alu instid0(VALU_DEP_1)
	v_dual_ashrrev_i32 v83, 31, v82 :: v_dual_add_nc_u32 v90, s3, v88
	v_ashrrev_i32_e32 v85, 31, v84
	v_ashrrev_i32_e32 v89, 31, v88
	s_cselect_b32 s3, -1, 0
	s_cmp_eq_u32 s5, 0x84
	v_ashrrev_i32_e32 v91, 31, v90
	s_wait_loadcnt_dscnt 0x0
	scratch_store_b32 off, v1, off
	flat_load_b32 v1, v[4:5]
	s_wait_loadcnt_dscnt 0x0
	scratch_store_b32 off, v1, off offset:4
	flat_load_b32 v1, v8, s[6:7] scale_offset
	s_wait_loadcnt_dscnt 0x0
	scratch_store_b32 off, v1, off offset:8
	flat_load_b32 v1, v10, s[6:7] scale_offset
	;; [unrolled: 3-line block ×42, first 2 shown]
	s_wait_loadcnt_dscnt 0x0
	scratch_store_b32 off, v1, off offset:172
	s_cbranch_scc1 .LBB107_3
; %bb.2:
	scratch_load_b32 v1, v0, off scale_offset
	s_wait_loadcnt 0x0
	v_div_scale_f32 v7, null, v1, v1, 1.0
	s_delay_alu instid0(VALU_DEP_1) | instskip(SKIP_1) | instid1(TRANS32_DEP_1)
	v_rcp_f32_e32 v92, v7
	v_nop
	v_fma_f32 v93, -v7, v92, 1.0
	s_delay_alu instid0(VALU_DEP_1) | instskip(SKIP_1) | instid1(VALU_DEP_1)
	v_fmac_f32_e32 v92, v93, v92
	v_div_scale_f32 v93, vcc_lo, 1.0, v1, 1.0
	v_mul_f32_e32 v94, v93, v92
	s_delay_alu instid0(VALU_DEP_1) | instskip(NEXT) | instid1(VALU_DEP_1)
	v_fma_f32 v95, -v7, v94, v93
	v_fmac_f32_e32 v94, v95, v92
	s_delay_alu instid0(VALU_DEP_1) | instskip(NEXT) | instid1(VALU_DEP_1)
	v_fma_f32 v7, -v7, v94, v93
	v_div_fmas_f32 v7, v7, v92, v94
	s_delay_alu instid0(VALU_DEP_1) | instskip(NEXT) | instid1(VALU_DEP_1)
	v_div_fixup_f32 v1, v7, v1, 1.0
	v_xor_b32_e32 v92, 0x80000000, v1
	scratch_store_b32 v0, v1, off scale_offset
.LBB107_3:
	s_wait_xcnt 0x0
	v_add_nc_u32_e32 v1, 0xb0, v6
	v_mov_b32_e32 v7, v6
	s_cmp_eq_u32 s4, 0x79
	s_mov_b32 s2, -1
	ds_store_b32 v6, v92
	s_cbranch_scc1 .LBB107_427
; %bb.4:
	scratch_load_b32 v92, off, off offset:168
	v_cmp_eq_u32_e64 s0, 43, v0
	s_movk_i32 s21, 0x44
	s_movk_i32 s22, 0x48
	;; [unrolled: 1-line block ×24, first 2 shown]
	s_wait_loadcnt 0x0
	ds_store_b32 v1, v92
	s_wait_storecnt_dscnt 0x0
	s_barrier_signal -1
	s_barrier_wait -1
	s_wait_xcnt 0x0
	s_and_saveexec_b32 s2, s0
	s_cbranch_execz .LBB107_10
; %bb.5:
	s_and_b32 vcc_lo, exec_lo, s3
	s_cbranch_vccz .LBB107_7
; %bb.6:
	scratch_load_b32 v92, v7, off
	ds_load_b32 v93, v1
	s_wait_loadcnt_dscnt 0x0
	v_mul_f32_e32 v92, v92, v93
	s_cbranch_execz .LBB107_8
	s_branch .LBB107_9
.LBB107_7:
                                        ; implicit-def: $vgpr92
.LBB107_8:
	ds_load_b32 v92, v1
.LBB107_9:
	v_mov_b32_e32 v93, 0
	ds_load_b32 v93, v93 offset:168
	s_wait_dscnt 0x0
	v_mul_f32_e32 v92, v92, v93
	scratch_store_b32 off, v92, off offset:168
.LBB107_10:
	s_wait_xcnt 0x0
	s_or_b32 exec_lo, exec_lo, s2
	scratch_load_b32 v92, off, off offset:164
	s_mov_b32 s38, s1
	v_cmp_lt_u32_e64 s1, 41, v0
	s_or_b32 s4, 0, 4
	s_or_b32 s5, 0, 8
	;; [unrolled: 1-line block ×3, first 2 shown]
	s_mov_b32 s2, 16
	s_mov_b32 s9, 20
	;; [unrolled: 1-line block ×13, first 2 shown]
	s_wait_loadcnt 0x0
	ds_store_b32 v1, v92
	s_wait_storecnt_dscnt 0x0
	s_barrier_signal -1
	s_barrier_wait -1
	s_wait_xcnt 0x0
	s_and_saveexec_b32 s47, s1
	s_cbranch_execz .LBB107_16
; %bb.11:
	s_and_not1_b32 vcc_lo, exec_lo, s3
	s_cbranch_vccnz .LBB107_13
; %bb.12:
	scratch_load_b32 v92, v7, off
	ds_load_b32 v93, v1
	s_wait_loadcnt_dscnt 0x0
	v_mul_f32_e32 v92, v92, v93
	s_cbranch_execz .LBB107_14
	s_branch .LBB107_15
.LBB107_13:
                                        ; implicit-def: $vgpr92
.LBB107_14:
	ds_load_b32 v92, v1
.LBB107_15:
	scratch_load_b32 v93, off, off offset:168
	v_mov_b32_e32 v94, 0
	ds_load_2addr_b32 v[94:95], v94 offset0:41 offset1:86
	s_wait_loadcnt_dscnt 0x0
	v_fma_f32 v93, v93, v95, v92
	s_delay_alu instid0(VALU_DEP_1) | instskip(NEXT) | instid1(VALU_DEP_1)
	v_cndmask_b32_e64 v92, v92, v93, s0
	v_mul_f32_e32 v92, v92, v94
	scratch_store_b32 off, v92, off offset:164
.LBB107_16:
	s_wait_xcnt 0x0
	s_or_b32 exec_lo, exec_lo, s47
	scratch_load_b32 v92, off, off offset:160
	v_cmp_lt_u32_e64 s0, 40, v0
	s_wait_loadcnt 0x0
	ds_store_b32 v1, v92
	s_wait_storecnt_dscnt 0x0
	s_barrier_signal -1
	s_barrier_wait -1
	s_wait_xcnt 0x0
	s_and_saveexec_b32 s47, s0
	s_cbranch_execz .LBB107_26
; %bb.17:
	s_and_not1_b32 vcc_lo, exec_lo, s3
	s_cbranch_vccnz .LBB107_19
; %bb.18:
	scratch_load_b32 v92, v7, off
	ds_load_b32 v93, v1
	s_wait_loadcnt_dscnt 0x0
	v_mul_f32_e32 v92, v92, v93
	s_cbranch_execz .LBB107_20
	s_branch .LBB107_21
.LBB107_19:
                                        ; implicit-def: $vgpr92
.LBB107_20:
	ds_load_b32 v92, v1
.LBB107_21:
	s_and_saveexec_b32 s48, s1
	s_cbranch_execz .LBB107_25
; %bb.22:
	v_subrev_nc_u32_e32 v93, 41, v0
	s_movk_i32 s49, 0x154
	s_mov_b32 s1, 0
.LBB107_23:                             ; =>This Inner Loop Header: Depth=1
	scratch_load_b32 v94, off, s46
	v_dual_mov_b32 v95, s49 :: v_dual_add_nc_u32 v93, -1, v93
	s_add_co_i32 s49, s49, 4
	s_wait_xcnt 0x0
	s_add_co_i32 s46, s46, 4
	ds_load_b32 v95, v95
	v_cmp_eq_u32_e32 vcc_lo, 0, v93
	s_or_b32 s1, vcc_lo, s1
	s_wait_loadcnt_dscnt 0x0
	v_fmac_f32_e32 v92, v94, v95
	s_and_not1_b32 exec_lo, exec_lo, s1
	s_cbranch_execnz .LBB107_23
; %bb.24:
	s_or_b32 exec_lo, exec_lo, s1
.LBB107_25:
	s_delay_alu instid0(SALU_CYCLE_1)
	s_or_b32 exec_lo, exec_lo, s48
	v_mov_b32_e32 v93, 0
	ds_load_b32 v93, v93 offset:160
	s_wait_dscnt 0x0
	v_mul_f32_e32 v92, v92, v93
	scratch_store_b32 off, v92, off offset:160
.LBB107_26:
	s_wait_xcnt 0x0
	s_or_b32 exec_lo, exec_lo, s47
	scratch_load_b32 v92, off, off offset:156
	v_cmp_lt_u32_e64 s1, 39, v0
	s_wait_loadcnt 0x0
	ds_store_b32 v1, v92
	s_wait_storecnt_dscnt 0x0
	s_barrier_signal -1
	s_barrier_wait -1
	s_wait_xcnt 0x0
	s_and_saveexec_b32 s46, s1
	s_cbranch_execz .LBB107_36
; %bb.27:
	s_and_not1_b32 vcc_lo, exec_lo, s3
	s_cbranch_vccnz .LBB107_29
; %bb.28:
	scratch_load_b32 v92, v7, off
	ds_load_b32 v93, v1
	s_wait_loadcnt_dscnt 0x0
	v_mul_f32_e32 v92, v92, v93
	s_cbranch_execz .LBB107_30
	s_branch .LBB107_31
.LBB107_29:
                                        ; implicit-def: $vgpr92
.LBB107_30:
	ds_load_b32 v92, v1
.LBB107_31:
	s_and_saveexec_b32 s47, s0
	s_cbranch_execz .LBB107_35
; %bb.32:
	v_subrev_nc_u32_e32 v93, 40, v0
	s_movk_i32 s48, 0x150
	s_mov_b32 s0, 0
.LBB107_33:                             ; =>This Inner Loop Header: Depth=1
	scratch_load_b32 v94, off, s45
	v_dual_mov_b32 v95, s48 :: v_dual_add_nc_u32 v93, -1, v93
	s_add_co_i32 s48, s48, 4
	s_wait_xcnt 0x0
	s_add_co_i32 s45, s45, 4
	ds_load_b32 v95, v95
	v_cmp_eq_u32_e32 vcc_lo, 0, v93
	s_or_b32 s0, vcc_lo, s0
	s_wait_loadcnt_dscnt 0x0
	v_fmac_f32_e32 v92, v94, v95
	s_and_not1_b32 exec_lo, exec_lo, s0
	s_cbranch_execnz .LBB107_33
; %bb.34:
	s_or_b32 exec_lo, exec_lo, s0
.LBB107_35:
	s_delay_alu instid0(SALU_CYCLE_1)
	s_or_b32 exec_lo, exec_lo, s47
	v_mov_b32_e32 v93, 0
	ds_load_b32 v93, v93 offset:156
	s_wait_dscnt 0x0
	v_mul_f32_e32 v92, v92, v93
	scratch_store_b32 off, v92, off offset:156
.LBB107_36:
	;; [unrolled: 57-line block ×8, first 2 shown]
	s_wait_xcnt 0x0
	s_or_b32 exec_lo, exec_lo, s40
	scratch_load_b32 v92, off, off offset:128
	v_cmp_lt_u32_e64 s0, 32, v0
	s_wait_loadcnt 0x0
	ds_store_b32 v1, v92
	s_wait_storecnt_dscnt 0x0
	s_barrier_signal -1
	s_barrier_wait -1
	s_wait_xcnt 0x0
	s_and_saveexec_b32 s39, s0
	s_cbranch_execz .LBB107_106
; %bb.97:
	s_and_not1_b32 vcc_lo, exec_lo, s3
	s_cbranch_vccnz .LBB107_99
; %bb.98:
	scratch_load_b32 v92, v7, off
	ds_load_b32 v93, v1
	s_wait_loadcnt_dscnt 0x0
	v_mul_f32_e32 v92, v92, v93
	s_cbranch_execz .LBB107_100
	s_branch .LBB107_101
.LBB107_99:
                                        ; implicit-def: $vgpr92
.LBB107_100:
	ds_load_b32 v92, v1
.LBB107_101:
	s_and_saveexec_b32 s40, s1
	s_cbranch_execz .LBB107_105
; %bb.102:
	v_subrev_nc_u32_e32 v93, 33, v0
	s_movk_i32 s41, 0x134
	s_mov_b32 s1, 0
.LBB107_103:                            ; =>This Inner Loop Header: Depth=1
	scratch_load_b32 v94, off, s38
	v_dual_mov_b32 v95, s41 :: v_dual_add_nc_u32 v93, -1, v93
	s_add_co_i32 s41, s41, 4
	s_wait_xcnt 0x0
	s_add_co_i32 s38, s38, 4
	ds_load_b32 v95, v95
	v_cmp_eq_u32_e32 vcc_lo, 0, v93
	s_or_b32 s1, vcc_lo, s1
	s_wait_loadcnt_dscnt 0x0
	v_fmac_f32_e32 v92, v94, v95
	s_and_not1_b32 exec_lo, exec_lo, s1
	s_cbranch_execnz .LBB107_103
; %bb.104:
	s_or_b32 exec_lo, exec_lo, s1
.LBB107_105:
	s_delay_alu instid0(SALU_CYCLE_1)
	s_or_b32 exec_lo, exec_lo, s40
	v_mov_b32_e32 v93, 0
	ds_load_b32 v93, v93 offset:128
	s_wait_dscnt 0x0
	v_mul_f32_e32 v92, v92, v93
	scratch_store_b32 off, v92, off offset:128
.LBB107_106:
	s_wait_xcnt 0x0
	s_or_b32 exec_lo, exec_lo, s39
	scratch_load_b32 v92, off, off offset:124
	v_cmp_lt_u32_e64 s1, 31, v0
	s_wait_loadcnt 0x0
	ds_store_b32 v1, v92
	s_wait_storecnt_dscnt 0x0
	s_barrier_signal -1
	s_barrier_wait -1
	s_wait_xcnt 0x0
	s_and_saveexec_b32 s38, s1
	s_cbranch_execz .LBB107_116
; %bb.107:
	s_and_not1_b32 vcc_lo, exec_lo, s3
	s_cbranch_vccnz .LBB107_109
; %bb.108:
	scratch_load_b32 v92, v7, off
	ds_load_b32 v93, v1
	s_wait_loadcnt_dscnt 0x0
	v_mul_f32_e32 v92, v92, v93
	s_cbranch_execz .LBB107_110
	s_branch .LBB107_111
.LBB107_109:
                                        ; implicit-def: $vgpr92
.LBB107_110:
	ds_load_b32 v92, v1
.LBB107_111:
	s_and_saveexec_b32 s39, s0
	s_cbranch_execz .LBB107_115
; %bb.112:
	v_subrev_nc_u32_e32 v93, 32, v0
	s_movk_i32 s40, 0x130
	s_mov_b32 s0, 0
.LBB107_113:                            ; =>This Inner Loop Header: Depth=1
	scratch_load_b32 v94, off, s37
	v_dual_mov_b32 v95, s40 :: v_dual_add_nc_u32 v93, -1, v93
	s_add_co_i32 s40, s40, 4
	s_wait_xcnt 0x0
	s_add_co_i32 s37, s37, 4
	ds_load_b32 v95, v95
	v_cmp_eq_u32_e32 vcc_lo, 0, v93
	s_or_b32 s0, vcc_lo, s0
	s_wait_loadcnt_dscnt 0x0
	v_fmac_f32_e32 v92, v94, v95
	s_and_not1_b32 exec_lo, exec_lo, s0
	s_cbranch_execnz .LBB107_113
; %bb.114:
	s_or_b32 exec_lo, exec_lo, s0
.LBB107_115:
	s_delay_alu instid0(SALU_CYCLE_1)
	s_or_b32 exec_lo, exec_lo, s39
	v_mov_b32_e32 v93, 0
	ds_load_b32 v93, v93 offset:124
	s_wait_dscnt 0x0
	v_mul_f32_e32 v92, v92, v93
	scratch_store_b32 off, v92, off offset:124
.LBB107_116:
	;; [unrolled: 57-line block ×17, first 2 shown]
	s_wait_xcnt 0x0
	s_or_b32 exec_lo, exec_lo, s22
	scratch_load_b32 v92, off, off offset:60
	v_cmp_lt_u32_e64 s1, 15, v0
	s_wait_loadcnt 0x0
	ds_store_b32 v1, v92
	s_wait_storecnt_dscnt 0x0
	s_barrier_signal -1
	s_barrier_wait -1
	s_wait_xcnt 0x0
	s_and_saveexec_b32 s21, s1
	s_cbranch_execz .LBB107_276
; %bb.267:
	s_and_not1_b32 vcc_lo, exec_lo, s3
	s_cbranch_vccnz .LBB107_269
; %bb.268:
	scratch_load_b32 v92, v7, off
	ds_load_b32 v93, v1
	s_wait_loadcnt_dscnt 0x0
	v_mul_f32_e32 v92, v92, v93
	s_cbranch_execz .LBB107_270
	s_branch .LBB107_271
.LBB107_269:
                                        ; implicit-def: $vgpr92
.LBB107_270:
	ds_load_b32 v92, v1
.LBB107_271:
	s_and_saveexec_b32 s22, s0
	s_cbranch_execz .LBB107_275
; %bb.272:
	v_add_nc_u32_e32 v93, -16, v0
	s_movk_i32 s23, 0xf0
	s_mov_b32 s0, 0
.LBB107_273:                            ; =>This Inner Loop Header: Depth=1
	scratch_load_b32 v94, off, s20
	v_dual_mov_b32 v95, s23 :: v_dual_add_nc_u32 v93, -1, v93
	s_add_co_i32 s23, s23, 4
	s_wait_xcnt 0x0
	s_add_co_i32 s20, s20, 4
	ds_load_b32 v95, v95
	v_cmp_eq_u32_e32 vcc_lo, 0, v93
	s_or_b32 s0, vcc_lo, s0
	s_wait_loadcnt_dscnt 0x0
	v_fmac_f32_e32 v92, v94, v95
	s_and_not1_b32 exec_lo, exec_lo, s0
	s_cbranch_execnz .LBB107_273
; %bb.274:
	s_or_b32 exec_lo, exec_lo, s0
.LBB107_275:
	s_delay_alu instid0(SALU_CYCLE_1)
	s_or_b32 exec_lo, exec_lo, s22
	v_mov_b32_e32 v93, 0
	ds_load_b32 v93, v93 offset:60
	s_wait_dscnt 0x0
	v_mul_f32_e32 v92, v92, v93
	scratch_store_b32 off, v92, off offset:60
.LBB107_276:
	s_wait_xcnt 0x0
	s_or_b32 exec_lo, exec_lo, s21
	scratch_load_b32 v92, off, off offset:56
	v_cmp_lt_u32_e64 s0, 14, v0
	s_wait_loadcnt 0x0
	ds_store_b32 v1, v92
	s_wait_storecnt_dscnt 0x0
	s_barrier_signal -1
	s_barrier_wait -1
	s_wait_xcnt 0x0
	s_and_saveexec_b32 s20, s0
	s_cbranch_execz .LBB107_286
; %bb.277:
	s_and_not1_b32 vcc_lo, exec_lo, s3
	s_cbranch_vccnz .LBB107_279
; %bb.278:
	scratch_load_b32 v92, v7, off
	ds_load_b32 v93, v1
	s_wait_loadcnt_dscnt 0x0
	v_mul_f32_e32 v92, v92, v93
	s_cbranch_execz .LBB107_280
	s_branch .LBB107_281
.LBB107_279:
                                        ; implicit-def: $vgpr92
.LBB107_280:
	ds_load_b32 v92, v1
.LBB107_281:
	s_and_saveexec_b32 s21, s1
	s_cbranch_execz .LBB107_285
; %bb.282:
	v_add_nc_u32_e32 v93, -15, v0
	s_movk_i32 s22, 0xec
	s_mov_b32 s1, 0
.LBB107_283:                            ; =>This Inner Loop Header: Depth=1
	scratch_load_b32 v94, off, s19
	v_dual_mov_b32 v95, s22 :: v_dual_add_nc_u32 v93, -1, v93
	s_add_co_i32 s22, s22, 4
	s_wait_xcnt 0x0
	s_add_co_i32 s19, s19, 4
	ds_load_b32 v95, v95
	v_cmp_eq_u32_e32 vcc_lo, 0, v93
	s_or_b32 s1, vcc_lo, s1
	s_wait_loadcnt_dscnt 0x0
	v_fmac_f32_e32 v92, v94, v95
	s_and_not1_b32 exec_lo, exec_lo, s1
	s_cbranch_execnz .LBB107_283
; %bb.284:
	s_or_b32 exec_lo, exec_lo, s1
.LBB107_285:
	s_delay_alu instid0(SALU_CYCLE_1)
	s_or_b32 exec_lo, exec_lo, s21
	v_mov_b32_e32 v93, 0
	ds_load_b32 v93, v93 offset:56
	s_wait_dscnt 0x0
	v_mul_f32_e32 v92, v92, v93
	scratch_store_b32 off, v92, off offset:56
.LBB107_286:
	;; [unrolled: 57-line block ×15, first 2 shown]
	s_wait_xcnt 0x0
	s_or_b32 exec_lo, exec_lo, s1
	scratch_load_b32 v92, off, off
	s_mov_b32 s2, 0
	s_mov_b32 s1, exec_lo
	s_wait_loadcnt 0x0
	ds_store_b32 v1, v92
	s_wait_storecnt_dscnt 0x0
	s_barrier_signal -1
	s_barrier_wait -1
	s_wait_xcnt 0x0
	v_cmpx_ne_u32_e32 0, v0
	s_cbranch_execz .LBB107_426
; %bb.417:
	s_and_not1_b32 vcc_lo, exec_lo, s3
	s_cbranch_vccnz .LBB107_419
; %bb.418:
	scratch_load_b32 v92, v7, off
	ds_load_b32 v93, v1
	s_wait_loadcnt_dscnt 0x0
	v_mul_f32_e32 v92, v92, v93
	s_cbranch_execz .LBB107_420
	s_branch .LBB107_421
.LBB107_419:
                                        ; implicit-def: $vgpr92
.LBB107_420:
	ds_load_b32 v92, v1
.LBB107_421:
	s_and_saveexec_b32 s5, s0
	s_cbranch_execz .LBB107_425
; %bb.422:
	v_add_nc_u32_e32 v93, -1, v0
	s_movk_i32 s8, 0xb4
	s_mov_b32 s0, 0
.LBB107_423:                            ; =>This Inner Loop Header: Depth=1
	scratch_load_b32 v94, off, s4
	v_dual_mov_b32 v95, s8 :: v_dual_add_nc_u32 v93, -1, v93
	s_add_co_i32 s8, s8, 4
	s_wait_xcnt 0x0
	s_add_co_i32 s4, s4, 4
	ds_load_b32 v95, v95
	v_cmp_eq_u32_e32 vcc_lo, 0, v93
	s_or_b32 s0, vcc_lo, s0
	s_wait_loadcnt_dscnt 0x0
	v_fmac_f32_e32 v92, v94, v95
	s_and_not1_b32 exec_lo, exec_lo, s0
	s_cbranch_execnz .LBB107_423
; %bb.424:
	s_or_b32 exec_lo, exec_lo, s0
.LBB107_425:
	s_delay_alu instid0(SALU_CYCLE_1)
	s_or_b32 exec_lo, exec_lo, s5
	v_mov_b32_e32 v93, 0
	ds_load_b32 v93, v93
	s_wait_dscnt 0x0
	v_mul_f32_e32 v92, v92, v93
	scratch_store_b32 off, v92, off
.LBB107_426:
	s_wait_xcnt 0x0
	s_or_b32 exec_lo, exec_lo, s1
.LBB107_427:
	v_lshl_add_u64 v[132:133], v[8:9], 2, s[6:7]
	v_lshl_add_u64 v[130:131], v[10:11], 2, s[6:7]
	;; [unrolled: 1-line block ×42, first 2 shown]
	s_and_b32 vcc_lo, exec_lo, s2
	s_cbranch_vccz .LBB107_849
; %bb.428:
	scratch_load_b32 v50, off, off offset:4
	v_cmp_eq_u32_e64 s0, 0, v0
	s_wait_loadcnt 0x0
	ds_store_b32 v1, v50
	s_wait_storecnt_dscnt 0x0
	s_barrier_signal -1
	s_barrier_wait -1
	s_wait_xcnt 0x0
	s_and_saveexec_b32 s1, s0
	s_cbranch_execz .LBB107_434
; %bb.429:
	s_and_b32 vcc_lo, exec_lo, s3
	s_cbranch_vccz .LBB107_431
; %bb.430:
	scratch_load_b32 v50, v7, off
	ds_load_b32 v51, v1
	s_wait_loadcnt_dscnt 0x0
	v_mul_f32_e32 v50, v50, v51
	s_cbranch_execz .LBB107_432
	s_branch .LBB107_433
.LBB107_431:
                                        ; implicit-def: $vgpr50
.LBB107_432:
	ds_load_b32 v50, v1
.LBB107_433:
	v_mov_b32_e32 v51, 0
	ds_load_b32 v51, v51 offset:4
	s_wait_dscnt 0x0
	v_mul_f32_e32 v50, v50, v51
	scratch_store_b32 off, v50, off offset:4
.LBB107_434:
	s_wait_xcnt 0x0
	s_or_b32 exec_lo, exec_lo, s1
	scratch_load_b32 v51, off, off offset:8
	v_cndmask_b32_e64 v50, 0, 1, s3
	s_mov_b32 s1, exec_lo
	s_wait_loadcnt 0x0
	ds_store_b32 v1, v51
	s_wait_storecnt_dscnt 0x0
	s_barrier_signal -1
	s_barrier_wait -1
	s_wait_xcnt 0x0
	v_cmpx_gt_u32_e32 2, v0
	s_cbranch_execz .LBB107_440
; %bb.435:
	s_and_not1_b32 vcc_lo, exec_lo, s3
	s_cbranch_vccnz .LBB107_437
; %bb.436:
	scratch_load_b32 v51, v7, off
	ds_load_b32 v52, v1
	s_wait_loadcnt_dscnt 0x0
	v_mul_f32_e32 v51, v51, v52
	s_cbranch_execz .LBB107_438
	s_branch .LBB107_439
.LBB107_437:
                                        ; implicit-def: $vgpr51
.LBB107_438:
	ds_load_b32 v51, v1
.LBB107_439:
	scratch_load_b32 v54, off, off offset:4
	v_mov_b32_e32 v52, 0
	ds_load_2addr_b32 v[52:53], v52 offset0:2 offset1:45
	s_wait_loadcnt_dscnt 0x0
	v_fma_f32 v53, v54, v53, v51
	s_delay_alu instid0(VALU_DEP_1) | instskip(NEXT) | instid1(VALU_DEP_1)
	v_cndmask_b32_e64 v51, v51, v53, s0
	v_mul_f32_e32 v51, v51, v52
	scratch_store_b32 off, v51, off offset:8
.LBB107_440:
	s_wait_xcnt 0x0
	s_or_b32 exec_lo, exec_lo, s1
	scratch_load_b32 v51, off, off offset:12
	s_mov_b32 s1, exec_lo
	s_wait_loadcnt 0x0
	ds_store_b32 v1, v51
	s_wait_storecnt_dscnt 0x0
	s_barrier_signal -1
	s_barrier_wait -1
	s_wait_xcnt 0x0
	v_cmpx_gt_u32_e32 3, v0
	s_cbranch_execz .LBB107_448
; %bb.441:
	v_cmp_ne_u32_e32 vcc_lo, 1, v50
	s_cbranch_vccnz .LBB107_443
; %bb.442:
	scratch_load_b32 v51, v7, off
	ds_load_b32 v52, v1
	s_wait_loadcnt_dscnt 0x0
	v_mul_f32_e32 v51, v51, v52
	s_cbranch_execz .LBB107_444
	s_branch .LBB107_445
.LBB107_443:
                                        ; implicit-def: $vgpr51
.LBB107_444:
	ds_load_b32 v51, v1
.LBB107_445:
	s_mov_b32 s2, exec_lo
	v_cmpx_ne_u32_e32 2, v0
	s_cbranch_execz .LBB107_447
; %bb.446:
	scratch_load_b32 v52, v7, off offset:4
	scratch_load_b32 v53, off, off offset:8
	ds_load_b32 v54, v1 offset:4
	v_mov_b32_e32 v55, 0
	ds_load_b32 v55, v55 offset:184
	s_wait_loadcnt_dscnt 0x101
	v_fmac_f32_e32 v51, v52, v54
	s_wait_loadcnt_dscnt 0x0
	s_delay_alu instid0(VALU_DEP_1) | instskip(NEXT) | instid1(VALU_DEP_1)
	v_fma_f32 v52, v53, v55, v51
	v_cndmask_b32_e64 v51, v51, v52, s0
.LBB107_447:
	s_or_b32 exec_lo, exec_lo, s2
	v_mov_b32_e32 v52, 0
	ds_load_b32 v52, v52 offset:12
	s_wait_dscnt 0x0
	v_mul_f32_e32 v51, v51, v52
	scratch_store_b32 off, v51, off offset:12
.LBB107_448:
	s_wait_xcnt 0x0
	s_or_b32 exec_lo, exec_lo, s1
	scratch_load_b32 v51, off, off offset:16
	s_mov_b32 s0, exec_lo
	s_wait_loadcnt 0x0
	ds_store_b32 v1, v51
	s_wait_storecnt_dscnt 0x0
	s_barrier_signal -1
	s_barrier_wait -1
	s_wait_xcnt 0x0
	v_cmpx_gt_u32_e32 4, v0
	s_cbranch_execz .LBB107_458
; %bb.449:
	v_cmp_ne_u32_e32 vcc_lo, 1, v50
	s_cbranch_vccnz .LBB107_451
; %bb.450:
	scratch_load_b32 v51, v7, off
	ds_load_b32 v52, v1
	s_wait_loadcnt_dscnt 0x0
	v_mul_f32_e32 v51, v51, v52
	s_cbranch_execz .LBB107_452
	s_branch .LBB107_453
.LBB107_451:
                                        ; implicit-def: $vgpr51
.LBB107_452:
	ds_load_b32 v51, v1
.LBB107_453:
	s_mov_b32 s1, exec_lo
	v_cmpx_ne_u32_e32 3, v0
	s_cbranch_execz .LBB107_457
; %bb.454:
	v_add_nc_u32_e32 v52, 0xb4, v6
	v_add3_u32 v53, 0, v6, 4
	v_mov_b32_e32 v54, v0
	s_mov_b32 s2, 0
.LBB107_455:                            ; =>This Inner Loop Header: Depth=1
	scratch_load_b32 v55, v53, off
	ds_load_b32 v56, v52
	v_dual_add_nc_u32 v54, 1, v54 :: v_dual_add_nc_u32 v52, 4, v52
	s_wait_xcnt 0x0
	v_add_nc_u32_e32 v53, 4, v53
	s_delay_alu instid0(VALU_DEP_2)
	v_cmp_lt_u32_e32 vcc_lo, 2, v54
	s_or_b32 s2, vcc_lo, s2
	s_wait_loadcnt_dscnt 0x0
	v_fmac_f32_e32 v51, v55, v56
	s_and_not1_b32 exec_lo, exec_lo, s2
	s_cbranch_execnz .LBB107_455
; %bb.456:
	s_or_b32 exec_lo, exec_lo, s2
.LBB107_457:
	s_delay_alu instid0(SALU_CYCLE_1)
	s_or_b32 exec_lo, exec_lo, s1
	v_mov_b32_e32 v52, 0
	ds_load_b32 v52, v52 offset:16
	s_wait_dscnt 0x0
	v_mul_f32_e32 v51, v51, v52
	scratch_store_b32 off, v51, off offset:16
.LBB107_458:
	s_wait_xcnt 0x0
	s_or_b32 exec_lo, exec_lo, s0
	scratch_load_b32 v51, off, off offset:20
	s_mov_b32 s0, exec_lo
	s_wait_loadcnt 0x0
	ds_store_b32 v1, v51
	s_wait_storecnt_dscnt 0x0
	s_barrier_signal -1
	s_barrier_wait -1
	s_wait_xcnt 0x0
	v_cmpx_gt_u32_e32 5, v0
	s_cbranch_execz .LBB107_468
; %bb.459:
	v_cmp_ne_u32_e32 vcc_lo, 1, v50
	s_cbranch_vccnz .LBB107_461
; %bb.460:
	scratch_load_b32 v51, v7, off
	ds_load_b32 v52, v1
	s_wait_loadcnt_dscnt 0x0
	v_mul_f32_e32 v51, v51, v52
	s_cbranch_execz .LBB107_462
	s_branch .LBB107_463
.LBB107_461:
                                        ; implicit-def: $vgpr51
.LBB107_462:
	ds_load_b32 v51, v1
.LBB107_463:
	s_mov_b32 s1, exec_lo
	v_cmpx_ne_u32_e32 4, v0
	s_cbranch_execz .LBB107_467
; %bb.464:
	v_add_nc_u32_e32 v52, 0xb4, v6
	v_add3_u32 v53, 0, v6, 4
	v_mov_b32_e32 v54, v0
	s_mov_b32 s2, 0
.LBB107_465:                            ; =>This Inner Loop Header: Depth=1
	scratch_load_b32 v55, v53, off
	ds_load_b32 v56, v52
	v_dual_add_nc_u32 v54, 1, v54 :: v_dual_add_nc_u32 v52, 4, v52
	s_wait_xcnt 0x0
	v_add_nc_u32_e32 v53, 4, v53
	s_delay_alu instid0(VALU_DEP_2)
	v_cmp_lt_u32_e32 vcc_lo, 3, v54
	s_or_b32 s2, vcc_lo, s2
	s_wait_loadcnt_dscnt 0x0
	v_fmac_f32_e32 v51, v55, v56
	s_and_not1_b32 exec_lo, exec_lo, s2
	s_cbranch_execnz .LBB107_465
; %bb.466:
	s_or_b32 exec_lo, exec_lo, s2
.LBB107_467:
	s_delay_alu instid0(SALU_CYCLE_1)
	s_or_b32 exec_lo, exec_lo, s1
	v_mov_b32_e32 v52, 0
	ds_load_b32 v52, v52 offset:20
	s_wait_dscnt 0x0
	v_mul_f32_e32 v51, v51, v52
	scratch_store_b32 off, v51, off offset:20
.LBB107_468:
	;; [unrolled: 59-line block ×38, first 2 shown]
	s_wait_xcnt 0x0
	s_or_b32 exec_lo, exec_lo, s0
	scratch_load_b32 v51, off, off offset:168
	v_cmp_gt_u32_e64 s0, 42, v0
	s_wait_loadcnt 0x0
	ds_store_b32 v1, v51
	s_wait_storecnt_dscnt 0x0
	s_barrier_signal -1
	s_barrier_wait -1
	s_wait_xcnt 0x0
	s_and_saveexec_b32 s1, s0
	s_cbranch_execz .LBB107_838
; %bb.829:
	v_cmp_ne_u32_e32 vcc_lo, 1, v50
	s_cbranch_vccnz .LBB107_831
; %bb.830:
	scratch_load_b32 v51, v7, off
	ds_load_b32 v52, v1
	s_wait_loadcnt_dscnt 0x0
	v_mul_f32_e32 v51, v51, v52
	s_cbranch_execz .LBB107_832
	s_branch .LBB107_833
.LBB107_831:
                                        ; implicit-def: $vgpr51
.LBB107_832:
	ds_load_b32 v51, v1
.LBB107_833:
	s_mov_b32 s2, exec_lo
	v_cmpx_ne_u32_e32 41, v0
	s_cbranch_execz .LBB107_837
; %bb.834:
	v_add_nc_u32_e32 v52, 0xb4, v6
	v_add3_u32 v53, 0, v6, 4
	v_mov_b32_e32 v54, v0
	s_mov_b32 s3, 0
.LBB107_835:                            ; =>This Inner Loop Header: Depth=1
	scratch_load_b32 v55, v53, off
	ds_load_b32 v56, v52
	v_dual_add_nc_u32 v54, 1, v54 :: v_dual_add_nc_u32 v52, 4, v52
	s_wait_xcnt 0x0
	v_add_nc_u32_e32 v53, 4, v53
	s_delay_alu instid0(VALU_DEP_2)
	v_cmp_lt_u32_e32 vcc_lo, 40, v54
	s_or_b32 s3, vcc_lo, s3
	s_wait_loadcnt_dscnt 0x0
	v_fmac_f32_e32 v51, v55, v56
	s_and_not1_b32 exec_lo, exec_lo, s3
	s_cbranch_execnz .LBB107_835
; %bb.836:
	s_or_b32 exec_lo, exec_lo, s3
.LBB107_837:
	s_delay_alu instid0(SALU_CYCLE_1)
	s_or_b32 exec_lo, exec_lo, s2
	v_mov_b32_e32 v52, 0
	ds_load_b32 v52, v52 offset:168
	s_wait_dscnt 0x0
	v_mul_f32_e32 v51, v51, v52
	scratch_store_b32 off, v51, off offset:168
.LBB107_838:
	s_wait_xcnt 0x0
	s_or_b32 exec_lo, exec_lo, s1
	scratch_load_b32 v51, off, off offset:172
	s_mov_b32 s1, exec_lo
	s_wait_loadcnt 0x0
	ds_store_b32 v1, v51
	s_wait_storecnt_dscnt 0x0
	s_barrier_signal -1
	s_barrier_wait -1
	s_wait_xcnt 0x0
	v_cmpx_ne_u32_e32 43, v0
	s_cbranch_execz .LBB107_848
; %bb.839:
	v_cmp_ne_u32_e32 vcc_lo, 1, v50
	s_cbranch_vccnz .LBB107_841
; %bb.840:
	scratch_load_b32 v7, v7, off
	ds_load_b32 v50, v1
	s_wait_loadcnt_dscnt 0x0
	v_mul_f32_e32 v7, v7, v50
	s_cbranch_execz .LBB107_842
	s_branch .LBB107_843
.LBB107_841:
                                        ; implicit-def: $vgpr7
.LBB107_842:
	ds_load_b32 v7, v1
.LBB107_843:
	s_and_saveexec_b32 s2, s0
	s_cbranch_execz .LBB107_847
; %bb.844:
	v_add_nc_u32_e32 v1, 0xb4, v6
	v_add3_u32 v6, 0, v6, 4
	s_mov_b32 s0, 0
.LBB107_845:                            ; =>This Inner Loop Header: Depth=1
	scratch_load_b32 v50, v6, off
	ds_load_b32 v51, v1
	v_dual_add_nc_u32 v0, 1, v0 :: v_dual_add_nc_u32 v1, 4, v1
	s_wait_xcnt 0x0
	v_add_nc_u32_e32 v6, 4, v6
	s_delay_alu instid0(VALU_DEP_2)
	v_cmp_lt_u32_e32 vcc_lo, 41, v0
	s_or_b32 s0, vcc_lo, s0
	s_wait_loadcnt_dscnt 0x0
	v_fmac_f32_e32 v7, v50, v51
	s_and_not1_b32 exec_lo, exec_lo, s0
	s_cbranch_execnz .LBB107_845
; %bb.846:
	s_or_b32 exec_lo, exec_lo, s0
.LBB107_847:
	s_delay_alu instid0(SALU_CYCLE_1)
	s_or_b32 exec_lo, exec_lo, s2
	v_mov_b32_e32 v0, 0
	ds_load_b32 v0, v0 offset:172
	s_wait_dscnt 0x0
	v_mul_f32_e32 v0, v7, v0
	scratch_store_b32 off, v0, off offset:172
.LBB107_848:
	s_wait_xcnt 0x0
	s_or_b32 exec_lo, exec_lo, s1
.LBB107_849:
	scratch_load_b32 v0, off, off
	s_wait_loadcnt 0x0
	flat_store_b32 v[2:3], v0
	scratch_load_b32 v0, off, off offset:4
	s_wait_loadcnt 0x0
	flat_store_b32 v[4:5], v0
	scratch_load_b32 v0, off, off offset:8
	;; [unrolled: 3-line block ×43, first 2 shown]
	s_wait_loadcnt 0x0
	flat_store_b32 v[8:9], v0
.LBB107_850:
	s_sendmsg sendmsg(MSG_DEALLOC_VGPRS)
	s_endpgm
	.section	.rodata,"a",@progbits
	.p2align	6, 0x0
	.amdhsa_kernel _ZN9rocsolver6v33100L18trti2_kernel_smallILi44EfPKPfEEv13rocblas_fill_17rocblas_diagonal_T1_iil
		.amdhsa_group_segment_fixed_size 352
		.amdhsa_private_segment_fixed_size 192
		.amdhsa_kernarg_size 32
		.amdhsa_user_sgpr_count 2
		.amdhsa_user_sgpr_dispatch_ptr 0
		.amdhsa_user_sgpr_queue_ptr 0
		.amdhsa_user_sgpr_kernarg_segment_ptr 1
		.amdhsa_user_sgpr_dispatch_id 0
		.amdhsa_user_sgpr_kernarg_preload_length 0
		.amdhsa_user_sgpr_kernarg_preload_offset 0
		.amdhsa_user_sgpr_private_segment_size 0
		.amdhsa_wavefront_size32 1
		.amdhsa_uses_dynamic_stack 0
		.amdhsa_enable_private_segment 1
		.amdhsa_system_sgpr_workgroup_id_x 1
		.amdhsa_system_sgpr_workgroup_id_y 0
		.amdhsa_system_sgpr_workgroup_id_z 0
		.amdhsa_system_sgpr_workgroup_info 0
		.amdhsa_system_vgpr_workitem_id 0
		.amdhsa_next_free_vgpr 134
		.amdhsa_next_free_sgpr 50
		.amdhsa_named_barrier_count 0
		.amdhsa_reserve_vcc 1
		.amdhsa_float_round_mode_32 0
		.amdhsa_float_round_mode_16_64 0
		.amdhsa_float_denorm_mode_32 3
		.amdhsa_float_denorm_mode_16_64 3
		.amdhsa_fp16_overflow 0
		.amdhsa_memory_ordered 1
		.amdhsa_forward_progress 1
		.amdhsa_inst_pref_size 198
		.amdhsa_round_robin_scheduling 0
		.amdhsa_exception_fp_ieee_invalid_op 0
		.amdhsa_exception_fp_denorm_src 0
		.amdhsa_exception_fp_ieee_div_zero 0
		.amdhsa_exception_fp_ieee_overflow 0
		.amdhsa_exception_fp_ieee_underflow 0
		.amdhsa_exception_fp_ieee_inexact 0
		.amdhsa_exception_int_div_zero 0
	.end_amdhsa_kernel
	.section	.text._ZN9rocsolver6v33100L18trti2_kernel_smallILi44EfPKPfEEv13rocblas_fill_17rocblas_diagonal_T1_iil,"axG",@progbits,_ZN9rocsolver6v33100L18trti2_kernel_smallILi44EfPKPfEEv13rocblas_fill_17rocblas_diagonal_T1_iil,comdat
.Lfunc_end107:
	.size	_ZN9rocsolver6v33100L18trti2_kernel_smallILi44EfPKPfEEv13rocblas_fill_17rocblas_diagonal_T1_iil, .Lfunc_end107-_ZN9rocsolver6v33100L18trti2_kernel_smallILi44EfPKPfEEv13rocblas_fill_17rocblas_diagonal_T1_iil
                                        ; -- End function
	.set _ZN9rocsolver6v33100L18trti2_kernel_smallILi44EfPKPfEEv13rocblas_fill_17rocblas_diagonal_T1_iil.num_vgpr, 134
	.set _ZN9rocsolver6v33100L18trti2_kernel_smallILi44EfPKPfEEv13rocblas_fill_17rocblas_diagonal_T1_iil.num_agpr, 0
	.set _ZN9rocsolver6v33100L18trti2_kernel_smallILi44EfPKPfEEv13rocblas_fill_17rocblas_diagonal_T1_iil.numbered_sgpr, 50
	.set _ZN9rocsolver6v33100L18trti2_kernel_smallILi44EfPKPfEEv13rocblas_fill_17rocblas_diagonal_T1_iil.num_named_barrier, 0
	.set _ZN9rocsolver6v33100L18trti2_kernel_smallILi44EfPKPfEEv13rocblas_fill_17rocblas_diagonal_T1_iil.private_seg_size, 192
	.set _ZN9rocsolver6v33100L18trti2_kernel_smallILi44EfPKPfEEv13rocblas_fill_17rocblas_diagonal_T1_iil.uses_vcc, 1
	.set _ZN9rocsolver6v33100L18trti2_kernel_smallILi44EfPKPfEEv13rocblas_fill_17rocblas_diagonal_T1_iil.uses_flat_scratch, 0
	.set _ZN9rocsolver6v33100L18trti2_kernel_smallILi44EfPKPfEEv13rocblas_fill_17rocblas_diagonal_T1_iil.has_dyn_sized_stack, 0
	.set _ZN9rocsolver6v33100L18trti2_kernel_smallILi44EfPKPfEEv13rocblas_fill_17rocblas_diagonal_T1_iil.has_recursion, 0
	.set _ZN9rocsolver6v33100L18trti2_kernel_smallILi44EfPKPfEEv13rocblas_fill_17rocblas_diagonal_T1_iil.has_indirect_call, 0
	.section	.AMDGPU.csdata,"",@progbits
; Kernel info:
; codeLenInByte = 25328
; TotalNumSgprs: 52
; NumVgprs: 134
; ScratchSize: 192
; MemoryBound: 0
; FloatMode: 240
; IeeeMode: 1
; LDSByteSize: 352 bytes/workgroup (compile time only)
; SGPRBlocks: 0
; VGPRBlocks: 8
; NumSGPRsForWavesPerEU: 52
; NumVGPRsForWavesPerEU: 134
; NamedBarCnt: 0
; Occupancy: 7
; WaveLimiterHint : 1
; COMPUTE_PGM_RSRC2:SCRATCH_EN: 1
; COMPUTE_PGM_RSRC2:USER_SGPR: 2
; COMPUTE_PGM_RSRC2:TRAP_HANDLER: 0
; COMPUTE_PGM_RSRC2:TGID_X_EN: 1
; COMPUTE_PGM_RSRC2:TGID_Y_EN: 0
; COMPUTE_PGM_RSRC2:TGID_Z_EN: 0
; COMPUTE_PGM_RSRC2:TIDIG_COMP_CNT: 0
	.section	.text._ZN9rocsolver6v33100L18trti2_kernel_smallILi45EfPKPfEEv13rocblas_fill_17rocblas_diagonal_T1_iil,"axG",@progbits,_ZN9rocsolver6v33100L18trti2_kernel_smallILi45EfPKPfEEv13rocblas_fill_17rocblas_diagonal_T1_iil,comdat
	.globl	_ZN9rocsolver6v33100L18trti2_kernel_smallILi45EfPKPfEEv13rocblas_fill_17rocblas_diagonal_T1_iil ; -- Begin function _ZN9rocsolver6v33100L18trti2_kernel_smallILi45EfPKPfEEv13rocblas_fill_17rocblas_diagonal_T1_iil
	.p2align	8
	.type	_ZN9rocsolver6v33100L18trti2_kernel_smallILi45EfPKPfEEv13rocblas_fill_17rocblas_diagonal_T1_iil,@function
_ZN9rocsolver6v33100L18trti2_kernel_smallILi45EfPKPfEEv13rocblas_fill_17rocblas_diagonal_T1_iil: ; @_ZN9rocsolver6v33100L18trti2_kernel_smallILi45EfPKPfEEv13rocblas_fill_17rocblas_diagonal_T1_iil
; %bb.0:
	s_mov_b32 s2, exec_lo
	v_cmpx_gt_u32_e32 45, v0
	s_cbranch_execz .LBB108_870
; %bb.1:
	s_clause 0x1
	s_load_b64 s[8:9], s[0:1], 0x10
	s_load_b128 s[4:7], s[0:1], 0x0
	s_wait_xcnt 0x0
	s_bfe_u32 s0, ttmp6, 0x4000c
	s_and_b32 s1, ttmp6, 15
	s_add_co_i32 s0, s0, 1
	s_getreg_b32 s2, hwreg(HW_REG_IB_STS2, 6, 4)
	s_mul_i32 s0, ttmp9, s0
	v_dual_mov_b32 v7, 0 :: v_dual_lshlrev_b32 v6, 2, v0
	s_add_co_i32 s0, s1, s0
	v_mov_b32_e32 v94, -1.0
	s_wait_kmcnt 0x0
	s_ashr_i32 s1, s8, 31
	s_cmp_eq_u32 s2, 0
	v_add3_u32 v8, s9, s9, v0
	s_cselect_b32 s2, ttmp9, s0
	s_mov_b32 s0, s8
	s_ashr_i32 s3, s2, 31
	s_lshl_b64 s[0:1], s[0:1], 2
	s_lshl_b64 s[2:3], s[2:3], 3
	v_add_nc_u32_e32 v10, s9, v8
	s_add_nc_u64 s[2:3], s[6:7], s[2:3]
	s_load_b64 s[2:3], s[2:3], 0x0
	s_delay_alu instid0(VALU_DEP_1) | instskip(NEXT) | instid1(VALU_DEP_1)
	v_add_nc_u32_e32 v12, s9, v10
	v_add_nc_u32_e32 v14, s9, v12
	s_delay_alu instid0(VALU_DEP_1) | instskip(NEXT) | instid1(VALU_DEP_1)
	v_dual_add_nc_u32 v16, s9, v14 :: v_dual_ashrrev_i32 v9, 31, v8
	v_dual_ashrrev_i32 v11, 31, v10 :: v_dual_add_nc_u32 v18, s9, v16
	v_ashrrev_i32_e32 v17, 31, v16
	s_wait_kmcnt 0x0
	s_add_nc_u64 s[2:3], s[2:3], s[0:1]
	s_mov_b32 s0, s9
	flat_load_b32 v1, v0, s[2:3] scale_offset
	v_add_nc_u64_e32 v[2:3], s[2:3], v[6:7]
	s_ashr_i32 s1, s9, 31
	v_dual_add_nc_u32 v20, s9, v18 :: v_dual_ashrrev_i32 v13, 31, v12
	v_ashrrev_i32_e32 v15, 31, v14
	v_ashrrev_i32_e32 v19, 31, v18
	s_cmp_lg_u32 s5, 0x84
	s_delay_alu instid0(VALU_DEP_4) | instskip(SKIP_4) | instid1(VALU_DEP_1)
	v_lshl_add_u64 v[4:5], s[0:1], 2, v[2:3]
	v_add_nc_u32_e32 v22, s9, v20
	s_cselect_b32 s6, -1, 0
	s_cmp_eq_u32 s5, 0x84
	s_movk_i32 s1, 0x84
	v_add_nc_u32_e32 v24, s9, v22
	s_delay_alu instid0(VALU_DEP_1) | instskip(NEXT) | instid1(VALU_DEP_1)
	v_add_nc_u32_e32 v26, s9, v24
	v_dual_add_nc_u32 v28, s9, v26 :: v_dual_ashrrev_i32 v21, 31, v20
	s_delay_alu instid0(VALU_DEP_1) | instskip(NEXT) | instid1(VALU_DEP_1)
	v_dual_ashrrev_i32 v23, 31, v22 :: v_dual_add_nc_u32 v30, s9, v28
	v_dual_ashrrev_i32 v29, 31, v28 :: v_dual_ashrrev_i32 v31, 31, v30
	v_dual_add_nc_u32 v32, s9, v30 :: v_dual_ashrrev_i32 v25, 31, v24
	s_delay_alu instid0(VALU_DEP_1) | instskip(NEXT) | instid1(VALU_DEP_1)
	v_dual_ashrrev_i32 v27, 31, v26 :: v_dual_add_nc_u32 v34, s9, v32
	v_add_nc_u32_e32 v36, s9, v34
	s_delay_alu instid0(VALU_DEP_1) | instskip(NEXT) | instid1(VALU_DEP_1)
	v_add_nc_u32_e32 v38, s9, v36
	v_dual_add_nc_u32 v40, s9, v38 :: v_dual_ashrrev_i32 v33, 31, v32
	s_delay_alu instid0(VALU_DEP_1) | instskip(NEXT) | instid1(VALU_DEP_1)
	v_dual_ashrrev_i32 v35, 31, v34 :: v_dual_add_nc_u32 v42, s9, v40
	v_dual_ashrrev_i32 v41, 31, v40 :: v_dual_ashrrev_i32 v43, 31, v42
	v_dual_add_nc_u32 v44, s9, v42 :: v_dual_ashrrev_i32 v37, 31, v36
	s_delay_alu instid0(VALU_DEP_1) | instskip(NEXT) | instid1(VALU_DEP_1)
	v_dual_ashrrev_i32 v39, 31, v38 :: v_dual_add_nc_u32 v46, s9, v44
	;; [unrolled: 10-line block ×5, first 2 shown]
	v_add_nc_u32_e32 v84, s9, v82
	s_delay_alu instid0(VALU_DEP_1) | instskip(NEXT) | instid1(VALU_DEP_1)
	v_add_nc_u32_e32 v86, s9, v84
	v_dual_add_nc_u32 v88, s9, v86 :: v_dual_ashrrev_i32 v81, 31, v80
	s_delay_alu instid0(VALU_DEP_1) | instskip(NEXT) | instid1(VALU_DEP_1)
	v_dual_ashrrev_i32 v83, 31, v82 :: v_dual_add_nc_u32 v90, s9, v88
	v_dual_ashrrev_i32 v89, 31, v88 :: v_dual_ashrrev_i32 v91, 31, v90
	v_dual_add_nc_u32 v92, s9, v90 :: v_dual_ashrrev_i32 v85, 31, v84
	s_delay_alu instid0(VALU_DEP_1)
	v_dual_ashrrev_i32 v87, 31, v86 :: v_dual_ashrrev_i32 v93, 31, v92
	s_wait_loadcnt_dscnt 0x0
	scratch_store_b32 off, v1, off
	flat_load_b32 v1, v[4:5]
	s_wait_loadcnt_dscnt 0x0
	scratch_store_b32 off, v1, off offset:4
	flat_load_b32 v1, v8, s[2:3] scale_offset
	s_wait_loadcnt_dscnt 0x0
	scratch_store_b32 off, v1, off offset:8
	flat_load_b32 v1, v10, s[2:3] scale_offset
	;; [unrolled: 3-line block ×43, first 2 shown]
	s_wait_loadcnt_dscnt 0x0
	scratch_store_b32 off, v1, off offset:176
	s_cbranch_scc1 .LBB108_3
; %bb.2:
	scratch_load_b32 v1, v0, off scale_offset
	s_wait_loadcnt 0x0
	v_div_scale_f32 v7, null, v1, v1, 1.0
	s_delay_alu instid0(VALU_DEP_1) | instskip(SKIP_1) | instid1(TRANS32_DEP_1)
	v_rcp_f32_e32 v94, v7
	v_nop
	v_fma_f32 v95, -v7, v94, 1.0
	s_delay_alu instid0(VALU_DEP_1) | instskip(SKIP_1) | instid1(VALU_DEP_1)
	v_fmac_f32_e32 v94, v95, v94
	v_div_scale_f32 v95, vcc_lo, 1.0, v1, 1.0
	v_mul_f32_e32 v96, v95, v94
	s_delay_alu instid0(VALU_DEP_1) | instskip(NEXT) | instid1(VALU_DEP_1)
	v_fma_f32 v97, -v7, v96, v95
	v_fmac_f32_e32 v96, v97, v94
	s_delay_alu instid0(VALU_DEP_1) | instskip(NEXT) | instid1(VALU_DEP_1)
	v_fma_f32 v7, -v7, v96, v95
	v_div_fmas_f32 v7, v7, v94, v96
	s_delay_alu instid0(VALU_DEP_1) | instskip(NEXT) | instid1(VALU_DEP_1)
	v_div_fixup_f32 v1, v7, v1, 1.0
	v_xor_b32_e32 v94, 0x80000000, v1
	scratch_store_b32 v0, v1, off scale_offset
.LBB108_3:
	s_wait_xcnt 0x0
	v_add_nc_u32_e32 v1, 0xc0, v6
	v_mov_b32_e32 v7, v6
	s_cmp_eq_u32 s4, 0x79
	s_mov_b32 s5, -1
	ds_store_b32 v6, v94
	s_cbranch_scc1 .LBB108_437
; %bb.4:
	scratch_load_b32 v94, off, off offset:172
	v_cmp_eq_u32_e64 s0, 44, v0
	s_movk_i32 s21, 0x44
	s_movk_i32 s22, 0x48
	;; [unrolled: 1-line block ×25, first 2 shown]
	s_wait_loadcnt 0x0
	ds_store_b32 v1, v94
	s_wait_storecnt_dscnt 0x0
	s_barrier_signal -1
	s_barrier_wait -1
	s_wait_xcnt 0x0
	s_and_saveexec_b32 s4, s0
	s_cbranch_execz .LBB108_10
; %bb.5:
	s_and_b32 vcc_lo, exec_lo, s6
	s_cbranch_vccz .LBB108_7
; %bb.6:
	scratch_load_b32 v94, v7, off
	ds_load_b32 v95, v1
	s_wait_loadcnt_dscnt 0x0
	v_mul_f32_e32 v94, v94, v95
	s_cbranch_execz .LBB108_8
	s_branch .LBB108_9
.LBB108_7:
                                        ; implicit-def: $vgpr94
	s_and_not1_b32 vcc_lo, exec_lo, s5
	s_cbranch_vccnz .LBB108_9
.LBB108_8:
	ds_load_b32 v94, v1
.LBB108_9:
	v_mov_b32_e32 v95, 0
	ds_load_b32 v95, v95 offset:172
	s_wait_dscnt 0x0
	v_mul_f32_e32 v94, v94, v95
	scratch_store_b32 off, v94, off offset:172
.LBB108_10:
	s_wait_xcnt 0x0
	s_or_b32 exec_lo, exec_lo, s4
	scratch_load_b32 v94, off, off offset:168
	s_mov_b32 s38, s1
	v_cmp_lt_u32_e64 s1, 42, v0
	s_or_b32 s4, 0, 4
	s_or_b32 s5, 0, 8
	s_or_b32 s7, 0, 12
	s_mov_b32 s8, 16
	s_mov_b32 s9, 20
	s_mov_b32 s10, 24
	s_mov_b32 s11, 28
	s_mov_b32 s12, 32
	s_mov_b32 s13, 36
	s_mov_b32 s14, 40
	s_mov_b32 s15, 44
	s_mov_b32 s16, 48
	s_mov_b32 s17, 52
	s_mov_b32 s18, 56
	s_mov_b32 s19, 60
	s_mov_b32 s20, 64
	s_wait_loadcnt 0x0
	ds_store_b32 v1, v94
	s_wait_storecnt_dscnt 0x0
	s_barrier_signal -1
	s_barrier_wait -1
	s_wait_xcnt 0x0
	s_and_saveexec_b32 s48, s1
	s_cbranch_execz .LBB108_16
; %bb.11:
	s_and_not1_b32 vcc_lo, exec_lo, s6
	s_cbranch_vccnz .LBB108_13
; %bb.12:
	scratch_load_b32 v94, v7, off
	ds_load_b32 v95, v1
	s_wait_loadcnt_dscnt 0x0
	v_mul_f32_e32 v94, v94, v95
	s_cbranch_execz .LBB108_14
	s_branch .LBB108_15
.LBB108_13:
                                        ; implicit-def: $vgpr94
.LBB108_14:
	ds_load_b32 v94, v1
.LBB108_15:
	scratch_load_b32 v95, off, off offset:172
	v_mov_b32_e32 v96, 0
	ds_load_2addr_b32 v[96:97], v96 offset0:42 offset1:91
	s_wait_loadcnt_dscnt 0x0
	v_fma_f32 v95, v95, v97, v94
	s_delay_alu instid0(VALU_DEP_1) | instskip(NEXT) | instid1(VALU_DEP_1)
	v_cndmask_b32_e64 v94, v94, v95, s0
	v_mul_f32_e32 v94, v94, v96
	scratch_store_b32 off, v94, off offset:168
.LBB108_16:
	s_wait_xcnt 0x0
	s_or_b32 exec_lo, exec_lo, s48
	scratch_load_b32 v94, off, off offset:164
	v_cmp_lt_u32_e64 s0, 41, v0
	s_wait_loadcnt 0x0
	ds_store_b32 v1, v94
	s_wait_storecnt_dscnt 0x0
	s_barrier_signal -1
	s_barrier_wait -1
	s_wait_xcnt 0x0
	s_and_saveexec_b32 s48, s0
	s_cbranch_execz .LBB108_26
; %bb.17:
	s_and_not1_b32 vcc_lo, exec_lo, s6
	s_cbranch_vccnz .LBB108_19
; %bb.18:
	scratch_load_b32 v94, v7, off
	ds_load_b32 v95, v1
	s_wait_loadcnt_dscnt 0x0
	v_mul_f32_e32 v94, v94, v95
	s_cbranch_execz .LBB108_20
	s_branch .LBB108_21
.LBB108_19:
                                        ; implicit-def: $vgpr94
.LBB108_20:
	ds_load_b32 v94, v1
.LBB108_21:
	s_and_saveexec_b32 s49, s1
	s_cbranch_execz .LBB108_25
; %bb.22:
	v_subrev_nc_u32_e32 v95, 42, v0
	s_movk_i32 s50, 0x168
	s_mov_b32 s1, 0
.LBB108_23:                             ; =>This Inner Loop Header: Depth=1
	scratch_load_b32 v96, off, s47
	v_dual_mov_b32 v97, s50 :: v_dual_add_nc_u32 v95, -1, v95
	s_add_co_i32 s50, s50, 4
	s_wait_xcnt 0x0
	s_add_co_i32 s47, s47, 4
	ds_load_b32 v97, v97
	v_cmp_eq_u32_e32 vcc_lo, 0, v95
	s_or_b32 s1, vcc_lo, s1
	s_wait_loadcnt_dscnt 0x0
	v_fmac_f32_e32 v94, v96, v97
	s_and_not1_b32 exec_lo, exec_lo, s1
	s_cbranch_execnz .LBB108_23
; %bb.24:
	s_or_b32 exec_lo, exec_lo, s1
.LBB108_25:
	s_delay_alu instid0(SALU_CYCLE_1)
	s_or_b32 exec_lo, exec_lo, s49
	v_mov_b32_e32 v95, 0
	ds_load_b32 v95, v95 offset:164
	s_wait_dscnt 0x0
	v_mul_f32_e32 v94, v94, v95
	scratch_store_b32 off, v94, off offset:164
.LBB108_26:
	s_wait_xcnt 0x0
	s_or_b32 exec_lo, exec_lo, s48
	scratch_load_b32 v94, off, off offset:160
	v_cmp_lt_u32_e64 s1, 40, v0
	s_wait_loadcnt 0x0
	ds_store_b32 v1, v94
	s_wait_storecnt_dscnt 0x0
	s_barrier_signal -1
	s_barrier_wait -1
	s_wait_xcnt 0x0
	s_and_saveexec_b32 s47, s1
	s_cbranch_execz .LBB108_36
; %bb.27:
	s_and_not1_b32 vcc_lo, exec_lo, s6
	s_cbranch_vccnz .LBB108_29
; %bb.28:
	scratch_load_b32 v94, v7, off
	ds_load_b32 v95, v1
	s_wait_loadcnt_dscnt 0x0
	v_mul_f32_e32 v94, v94, v95
	s_cbranch_execz .LBB108_30
	s_branch .LBB108_31
.LBB108_29:
                                        ; implicit-def: $vgpr94
.LBB108_30:
	ds_load_b32 v94, v1
.LBB108_31:
	s_and_saveexec_b32 s48, s0
	s_cbranch_execz .LBB108_35
; %bb.32:
	v_subrev_nc_u32_e32 v95, 41, v0
	s_movk_i32 s49, 0x164
	s_mov_b32 s0, 0
.LBB108_33:                             ; =>This Inner Loop Header: Depth=1
	scratch_load_b32 v96, off, s46
	v_dual_mov_b32 v97, s49 :: v_dual_add_nc_u32 v95, -1, v95
	s_add_co_i32 s49, s49, 4
	s_wait_xcnt 0x0
	s_add_co_i32 s46, s46, 4
	ds_load_b32 v97, v97
	v_cmp_eq_u32_e32 vcc_lo, 0, v95
	s_or_b32 s0, vcc_lo, s0
	s_wait_loadcnt_dscnt 0x0
	v_fmac_f32_e32 v94, v96, v97
	s_and_not1_b32 exec_lo, exec_lo, s0
	s_cbranch_execnz .LBB108_33
; %bb.34:
	s_or_b32 exec_lo, exec_lo, s0
.LBB108_35:
	s_delay_alu instid0(SALU_CYCLE_1)
	s_or_b32 exec_lo, exec_lo, s48
	v_mov_b32_e32 v95, 0
	ds_load_b32 v95, v95 offset:160
	s_wait_dscnt 0x0
	v_mul_f32_e32 v94, v94, v95
	scratch_store_b32 off, v94, off offset:160
.LBB108_36:
	;; [unrolled: 57-line block ×8, first 2 shown]
	s_wait_xcnt 0x0
	s_or_b32 exec_lo, exec_lo, s41
	scratch_load_b32 v94, off, off offset:132
	v_cmp_lt_u32_e64 s0, 33, v0
	s_wait_loadcnt 0x0
	ds_store_b32 v1, v94
	s_wait_storecnt_dscnt 0x0
	s_barrier_signal -1
	s_barrier_wait -1
	s_wait_xcnt 0x0
	s_and_saveexec_b32 s40, s0
	s_cbranch_execz .LBB108_106
; %bb.97:
	s_and_not1_b32 vcc_lo, exec_lo, s6
	s_cbranch_vccnz .LBB108_99
; %bb.98:
	scratch_load_b32 v94, v7, off
	ds_load_b32 v95, v1
	s_wait_loadcnt_dscnt 0x0
	v_mul_f32_e32 v94, v94, v95
	s_cbranch_execz .LBB108_100
	s_branch .LBB108_101
.LBB108_99:
                                        ; implicit-def: $vgpr94
.LBB108_100:
	ds_load_b32 v94, v1
.LBB108_101:
	s_and_saveexec_b32 s41, s1
	s_cbranch_execz .LBB108_105
; %bb.102:
	v_subrev_nc_u32_e32 v95, 34, v0
	s_movk_i32 s42, 0x148
	s_mov_b32 s1, 0
.LBB108_103:                            ; =>This Inner Loop Header: Depth=1
	scratch_load_b32 v96, off, s39
	v_dual_mov_b32 v97, s42 :: v_dual_add_nc_u32 v95, -1, v95
	s_add_co_i32 s42, s42, 4
	s_wait_xcnt 0x0
	s_add_co_i32 s39, s39, 4
	ds_load_b32 v97, v97
	v_cmp_eq_u32_e32 vcc_lo, 0, v95
	s_or_b32 s1, vcc_lo, s1
	s_wait_loadcnt_dscnt 0x0
	v_fmac_f32_e32 v94, v96, v97
	s_and_not1_b32 exec_lo, exec_lo, s1
	s_cbranch_execnz .LBB108_103
; %bb.104:
	s_or_b32 exec_lo, exec_lo, s1
.LBB108_105:
	s_delay_alu instid0(SALU_CYCLE_1)
	s_or_b32 exec_lo, exec_lo, s41
	v_mov_b32_e32 v95, 0
	ds_load_b32 v95, v95 offset:132
	s_wait_dscnt 0x0
	v_mul_f32_e32 v94, v94, v95
	scratch_store_b32 off, v94, off offset:132
.LBB108_106:
	s_wait_xcnt 0x0
	s_or_b32 exec_lo, exec_lo, s40
	scratch_load_b32 v94, off, off offset:128
	v_cmp_lt_u32_e64 s1, 32, v0
	s_wait_loadcnt 0x0
	ds_store_b32 v1, v94
	s_wait_storecnt_dscnt 0x0
	s_barrier_signal -1
	s_barrier_wait -1
	s_wait_xcnt 0x0
	s_and_saveexec_b32 s39, s1
	s_cbranch_execz .LBB108_116
; %bb.107:
	s_and_not1_b32 vcc_lo, exec_lo, s6
	s_cbranch_vccnz .LBB108_109
; %bb.108:
	scratch_load_b32 v94, v7, off
	ds_load_b32 v95, v1
	s_wait_loadcnt_dscnt 0x0
	v_mul_f32_e32 v94, v94, v95
	s_cbranch_execz .LBB108_110
	s_branch .LBB108_111
.LBB108_109:
                                        ; implicit-def: $vgpr94
.LBB108_110:
	ds_load_b32 v94, v1
.LBB108_111:
	s_and_saveexec_b32 s40, s0
	s_cbranch_execz .LBB108_115
; %bb.112:
	v_subrev_nc_u32_e32 v95, 33, v0
	s_movk_i32 s41, 0x144
	s_mov_b32 s0, 0
.LBB108_113:                            ; =>This Inner Loop Header: Depth=1
	scratch_load_b32 v96, off, s38
	v_dual_mov_b32 v97, s41 :: v_dual_add_nc_u32 v95, -1, v95
	s_add_co_i32 s41, s41, 4
	s_wait_xcnt 0x0
	s_add_co_i32 s38, s38, 4
	ds_load_b32 v97, v97
	v_cmp_eq_u32_e32 vcc_lo, 0, v95
	s_or_b32 s0, vcc_lo, s0
	s_wait_loadcnt_dscnt 0x0
	v_fmac_f32_e32 v94, v96, v97
	s_and_not1_b32 exec_lo, exec_lo, s0
	s_cbranch_execnz .LBB108_113
; %bb.114:
	s_or_b32 exec_lo, exec_lo, s0
.LBB108_115:
	s_delay_alu instid0(SALU_CYCLE_1)
	s_or_b32 exec_lo, exec_lo, s40
	v_mov_b32_e32 v95, 0
	ds_load_b32 v95, v95 offset:128
	s_wait_dscnt 0x0
	v_mul_f32_e32 v94, v94, v95
	scratch_store_b32 off, v94, off offset:128
.LBB108_116:
	;; [unrolled: 57-line block ×18, first 2 shown]
	s_wait_xcnt 0x0
	s_or_b32 exec_lo, exec_lo, s22
	scratch_load_b32 v94, off, off offset:60
	v_cmp_lt_u32_e64 s0, 15, v0
	s_wait_loadcnt 0x0
	ds_store_b32 v1, v94
	s_wait_storecnt_dscnt 0x0
	s_barrier_signal -1
	s_barrier_wait -1
	s_wait_xcnt 0x0
	s_and_saveexec_b32 s21, s0
	s_cbranch_execz .LBB108_286
; %bb.277:
	s_and_not1_b32 vcc_lo, exec_lo, s6
	s_cbranch_vccnz .LBB108_279
; %bb.278:
	scratch_load_b32 v94, v7, off
	ds_load_b32 v95, v1
	s_wait_loadcnt_dscnt 0x0
	v_mul_f32_e32 v94, v94, v95
	s_cbranch_execz .LBB108_280
	s_branch .LBB108_281
.LBB108_279:
                                        ; implicit-def: $vgpr94
.LBB108_280:
	ds_load_b32 v94, v1
.LBB108_281:
	s_and_saveexec_b32 s22, s1
	s_cbranch_execz .LBB108_285
; %bb.282:
	v_add_nc_u32_e32 v95, -16, v0
	s_movk_i32 s23, 0x100
	s_mov_b32 s1, 0
.LBB108_283:                            ; =>This Inner Loop Header: Depth=1
	scratch_load_b32 v96, off, s20
	v_dual_mov_b32 v97, s23 :: v_dual_add_nc_u32 v95, -1, v95
	s_add_co_i32 s23, s23, 4
	s_wait_xcnt 0x0
	s_add_co_i32 s20, s20, 4
	ds_load_b32 v97, v97
	v_cmp_eq_u32_e32 vcc_lo, 0, v95
	s_or_b32 s1, vcc_lo, s1
	s_wait_loadcnt_dscnt 0x0
	v_fmac_f32_e32 v94, v96, v97
	s_and_not1_b32 exec_lo, exec_lo, s1
	s_cbranch_execnz .LBB108_283
; %bb.284:
	s_or_b32 exec_lo, exec_lo, s1
.LBB108_285:
	s_delay_alu instid0(SALU_CYCLE_1)
	s_or_b32 exec_lo, exec_lo, s22
	v_mov_b32_e32 v95, 0
	ds_load_b32 v95, v95 offset:60
	s_wait_dscnt 0x0
	v_mul_f32_e32 v94, v94, v95
	scratch_store_b32 off, v94, off offset:60
.LBB108_286:
	s_wait_xcnt 0x0
	s_or_b32 exec_lo, exec_lo, s21
	scratch_load_b32 v94, off, off offset:56
	v_cmp_lt_u32_e64 s1, 14, v0
	s_wait_loadcnt 0x0
	ds_store_b32 v1, v94
	s_wait_storecnt_dscnt 0x0
	s_barrier_signal -1
	s_barrier_wait -1
	s_wait_xcnt 0x0
	s_and_saveexec_b32 s20, s1
	s_cbranch_execz .LBB108_296
; %bb.287:
	s_and_not1_b32 vcc_lo, exec_lo, s6
	s_cbranch_vccnz .LBB108_289
; %bb.288:
	scratch_load_b32 v94, v7, off
	ds_load_b32 v95, v1
	s_wait_loadcnt_dscnt 0x0
	v_mul_f32_e32 v94, v94, v95
	s_cbranch_execz .LBB108_290
	s_branch .LBB108_291
.LBB108_289:
                                        ; implicit-def: $vgpr94
.LBB108_290:
	ds_load_b32 v94, v1
.LBB108_291:
	s_and_saveexec_b32 s21, s0
	s_cbranch_execz .LBB108_295
; %bb.292:
	v_add_nc_u32_e32 v95, -15, v0
	s_movk_i32 s22, 0xfc
	s_mov_b32 s0, 0
.LBB108_293:                            ; =>This Inner Loop Header: Depth=1
	scratch_load_b32 v96, off, s19
	v_dual_mov_b32 v97, s22 :: v_dual_add_nc_u32 v95, -1, v95
	s_add_co_i32 s22, s22, 4
	s_wait_xcnt 0x0
	s_add_co_i32 s19, s19, 4
	ds_load_b32 v97, v97
	v_cmp_eq_u32_e32 vcc_lo, 0, v95
	s_or_b32 s0, vcc_lo, s0
	s_wait_loadcnt_dscnt 0x0
	v_fmac_f32_e32 v94, v96, v97
	s_and_not1_b32 exec_lo, exec_lo, s0
	s_cbranch_execnz .LBB108_293
; %bb.294:
	s_or_b32 exec_lo, exec_lo, s0
.LBB108_295:
	s_delay_alu instid0(SALU_CYCLE_1)
	s_or_b32 exec_lo, exec_lo, s21
	v_mov_b32_e32 v95, 0
	ds_load_b32 v95, v95 offset:56
	s_wait_dscnt 0x0
	v_mul_f32_e32 v94, v94, v95
	scratch_store_b32 off, v94, off offset:56
.LBB108_296:
	;; [unrolled: 57-line block ×15, first 2 shown]
	s_wait_xcnt 0x0
	s_or_b32 exec_lo, exec_lo, s7
	scratch_load_b32 v94, off, off
	s_mov_b32 s5, 0
	s_mov_b32 s1, exec_lo
	s_wait_loadcnt 0x0
	ds_store_b32 v1, v94
	s_wait_storecnt_dscnt 0x0
	s_barrier_signal -1
	s_barrier_wait -1
	s_wait_xcnt 0x0
	v_cmpx_ne_u32_e32 0, v0
	s_cbranch_execz .LBB108_436
; %bb.427:
	s_and_not1_b32 vcc_lo, exec_lo, s6
	s_cbranch_vccnz .LBB108_429
; %bb.428:
	scratch_load_b32 v94, v7, off
	ds_load_b32 v95, v1
	s_wait_loadcnt_dscnt 0x0
	v_mul_f32_e32 v94, v94, v95
	s_cbranch_execz .LBB108_430
	s_branch .LBB108_431
.LBB108_429:
                                        ; implicit-def: $vgpr94
.LBB108_430:
	ds_load_b32 v94, v1
.LBB108_431:
	s_and_saveexec_b32 s7, s0
	s_cbranch_execz .LBB108_435
; %bb.432:
	v_add_nc_u32_e32 v95, -1, v0
	s_movk_i32 s8, 0xc4
	s_mov_b32 s0, 0
.LBB108_433:                            ; =>This Inner Loop Header: Depth=1
	scratch_load_b32 v96, off, s4
	v_dual_mov_b32 v97, s8 :: v_dual_add_nc_u32 v95, -1, v95
	s_add_co_i32 s8, s8, 4
	s_wait_xcnt 0x0
	s_add_co_i32 s4, s4, 4
	ds_load_b32 v97, v97
	v_cmp_eq_u32_e32 vcc_lo, 0, v95
	s_or_b32 s0, vcc_lo, s0
	s_wait_loadcnt_dscnt 0x0
	v_fmac_f32_e32 v94, v96, v97
	s_and_not1_b32 exec_lo, exec_lo, s0
	s_cbranch_execnz .LBB108_433
; %bb.434:
	s_or_b32 exec_lo, exec_lo, s0
.LBB108_435:
	s_delay_alu instid0(SALU_CYCLE_1)
	s_or_b32 exec_lo, exec_lo, s7
	v_mov_b32_e32 v95, 0
	ds_load_b32 v95, v95
	s_wait_dscnt 0x0
	v_mul_f32_e32 v94, v94, v95
	scratch_store_b32 off, v94, off
.LBB108_436:
	s_wait_xcnt 0x0
	s_or_b32 exec_lo, exec_lo, s1
.LBB108_437:
	v_lshl_add_u64 v[134:135], v[8:9], 2, s[2:3]
	v_lshl_add_u64 v[132:133], v[10:11], 2, s[2:3]
	v_lshl_add_u64 v[130:131], v[12:13], 2, s[2:3]
	v_lshl_add_u64 v[128:129], v[14:15], 2, s[2:3]
	v_lshl_add_u64 v[126:127], v[16:17], 2, s[2:3]
	v_lshl_add_u64 v[124:125], v[18:19], 2, s[2:3]
	v_lshl_add_u64 v[122:123], v[20:21], 2, s[2:3]
	v_lshl_add_u64 v[120:121], v[22:23], 2, s[2:3]
	v_lshl_add_u64 v[118:119], v[24:25], 2, s[2:3]
	v_lshl_add_u64 v[116:117], v[26:27], 2, s[2:3]
	v_lshl_add_u64 v[114:115], v[28:29], 2, s[2:3]
	v_lshl_add_u64 v[112:113], v[30:31], 2, s[2:3]
	v_lshl_add_u64 v[110:111], v[32:33], 2, s[2:3]
	v_lshl_add_u64 v[108:109], v[34:35], 2, s[2:3]
	v_lshl_add_u64 v[106:107], v[36:37], 2, s[2:3]
	v_lshl_add_u64 v[104:105], v[38:39], 2, s[2:3]
	v_lshl_add_u64 v[102:103], v[40:41], 2, s[2:3]
	v_lshl_add_u64 v[100:101], v[42:43], 2, s[2:3]
	v_lshl_add_u64 v[98:99], v[44:45], 2, s[2:3]
	v_lshl_add_u64 v[96:97], v[46:47], 2, s[2:3]
	v_lshl_add_u64 v[94:95], v[48:49], 2, s[2:3]
	v_lshl_add_u64 v[50:51], v[50:51], 2, s[2:3]
	v_lshl_add_u64 v[48:49], v[52:53], 2, s[2:3]
	v_lshl_add_u64 v[46:47], v[54:55], 2, s[2:3]
	v_lshl_add_u64 v[44:45], v[56:57], 2, s[2:3]
	v_lshl_add_u64 v[42:43], v[58:59], 2, s[2:3]
	v_lshl_add_u64 v[40:41], v[60:61], 2, s[2:3]
	v_lshl_add_u64 v[38:39], v[62:63], 2, s[2:3]
	v_lshl_add_u64 v[36:37], v[64:65], 2, s[2:3]
	v_lshl_add_u64 v[34:35], v[66:67], 2, s[2:3]
	v_lshl_add_u64 v[32:33], v[68:69], 2, s[2:3]
	v_lshl_add_u64 v[30:31], v[70:71], 2, s[2:3]
	v_lshl_add_u64 v[28:29], v[72:73], 2, s[2:3]
	v_lshl_add_u64 v[26:27], v[74:75], 2, s[2:3]
	v_lshl_add_u64 v[24:25], v[76:77], 2, s[2:3]
	v_lshl_add_u64 v[22:23], v[78:79], 2, s[2:3]
	v_lshl_add_u64 v[20:21], v[80:81], 2, s[2:3]
	v_lshl_add_u64 v[18:19], v[82:83], 2, s[2:3]
	v_lshl_add_u64 v[16:17], v[84:85], 2, s[2:3]
	v_lshl_add_u64 v[14:15], v[86:87], 2, s[2:3]
	v_lshl_add_u64 v[12:13], v[88:89], 2, s[2:3]
	v_lshl_add_u64 v[10:11], v[90:91], 2, s[2:3]
	v_lshl_add_u64 v[8:9], v[92:93], 2, s[2:3]
	s_and_b32 vcc_lo, exec_lo, s5
	s_cbranch_vccz .LBB108_869
; %bb.438:
	scratch_load_b32 v52, off, off offset:4
	v_cmp_eq_u32_e64 s0, 0, v0
	s_wait_loadcnt 0x0
	ds_store_b32 v1, v52
	s_wait_storecnt_dscnt 0x0
	s_barrier_signal -1
	s_barrier_wait -1
	s_wait_xcnt 0x0
	s_and_saveexec_b32 s1, s0
	s_cbranch_execz .LBB108_444
; %bb.439:
	s_and_b32 vcc_lo, exec_lo, s6
	s_cbranch_vccz .LBB108_441
; %bb.440:
	scratch_load_b32 v52, v7, off
	ds_load_b32 v53, v1
	s_wait_loadcnt_dscnt 0x0
	v_mul_f32_e32 v52, v52, v53
	s_cbranch_execz .LBB108_442
	s_branch .LBB108_443
.LBB108_441:
                                        ; implicit-def: $vgpr52
.LBB108_442:
	ds_load_b32 v52, v1
.LBB108_443:
	v_mov_b32_e32 v53, 0
	ds_load_b32 v53, v53 offset:4
	s_wait_dscnt 0x0
	v_mul_f32_e32 v52, v52, v53
	scratch_store_b32 off, v52, off offset:4
.LBB108_444:
	s_wait_xcnt 0x0
	s_or_b32 exec_lo, exec_lo, s1
	scratch_load_b32 v53, off, off offset:8
	v_cndmask_b32_e64 v52, 0, 1, s6
	s_mov_b32 s1, exec_lo
	s_wait_loadcnt 0x0
	ds_store_b32 v1, v53
	s_wait_storecnt_dscnt 0x0
	s_barrier_signal -1
	s_barrier_wait -1
	s_wait_xcnt 0x0
	v_cmpx_gt_u32_e32 2, v0
	s_cbranch_execz .LBB108_450
; %bb.445:
	s_and_not1_b32 vcc_lo, exec_lo, s6
	s_cbranch_vccnz .LBB108_447
; %bb.446:
	scratch_load_b32 v53, v7, off
	ds_load_b32 v54, v1
	s_wait_loadcnt_dscnt 0x0
	v_mul_f32_e32 v53, v53, v54
	s_cbranch_execz .LBB108_448
	s_branch .LBB108_449
.LBB108_447:
                                        ; implicit-def: $vgpr53
.LBB108_448:
	ds_load_b32 v53, v1
.LBB108_449:
	scratch_load_b32 v56, off, off offset:4
	v_mov_b32_e32 v54, 0
	ds_load_2addr_b32 v[54:55], v54 offset0:2 offset1:49
	s_wait_loadcnt_dscnt 0x0
	v_fma_f32 v55, v56, v55, v53
	s_delay_alu instid0(VALU_DEP_1) | instskip(NEXT) | instid1(VALU_DEP_1)
	v_cndmask_b32_e64 v53, v53, v55, s0
	v_mul_f32_e32 v53, v53, v54
	scratch_store_b32 off, v53, off offset:8
.LBB108_450:
	s_wait_xcnt 0x0
	s_or_b32 exec_lo, exec_lo, s1
	scratch_load_b32 v53, off, off offset:12
	s_mov_b32 s1, exec_lo
	s_wait_loadcnt 0x0
	ds_store_b32 v1, v53
	s_wait_storecnt_dscnt 0x0
	s_barrier_signal -1
	s_barrier_wait -1
	s_wait_xcnt 0x0
	v_cmpx_gt_u32_e32 3, v0
	s_cbranch_execz .LBB108_458
; %bb.451:
	v_cmp_ne_u32_e32 vcc_lo, 1, v52
	s_cbranch_vccnz .LBB108_453
; %bb.452:
	scratch_load_b32 v53, v7, off
	ds_load_b32 v54, v1
	s_wait_loadcnt_dscnt 0x0
	v_mul_f32_e32 v53, v53, v54
	s_cbranch_execz .LBB108_454
	s_branch .LBB108_455
.LBB108_453:
                                        ; implicit-def: $vgpr53
.LBB108_454:
	ds_load_b32 v53, v1
.LBB108_455:
	s_mov_b32 s2, exec_lo
	v_cmpx_ne_u32_e32 2, v0
	s_cbranch_execz .LBB108_457
; %bb.456:
	scratch_load_b32 v54, v7, off offset:4
	scratch_load_b32 v55, off, off offset:8
	ds_load_b32 v56, v1 offset:4
	v_mov_b32_e32 v57, 0
	ds_load_b32 v57, v57 offset:200
	s_wait_loadcnt_dscnt 0x101
	v_fmac_f32_e32 v53, v54, v56
	s_wait_loadcnt_dscnt 0x0
	s_delay_alu instid0(VALU_DEP_1) | instskip(NEXT) | instid1(VALU_DEP_1)
	v_fma_f32 v54, v55, v57, v53
	v_cndmask_b32_e64 v53, v53, v54, s0
.LBB108_457:
	s_or_b32 exec_lo, exec_lo, s2
	v_mov_b32_e32 v54, 0
	ds_load_b32 v54, v54 offset:12
	s_wait_dscnt 0x0
	v_mul_f32_e32 v53, v53, v54
	scratch_store_b32 off, v53, off offset:12
.LBB108_458:
	s_wait_xcnt 0x0
	s_or_b32 exec_lo, exec_lo, s1
	scratch_load_b32 v53, off, off offset:16
	s_mov_b32 s0, exec_lo
	s_wait_loadcnt 0x0
	ds_store_b32 v1, v53
	s_wait_storecnt_dscnt 0x0
	s_barrier_signal -1
	s_barrier_wait -1
	s_wait_xcnt 0x0
	v_cmpx_gt_u32_e32 4, v0
	s_cbranch_execz .LBB108_468
; %bb.459:
	v_cmp_ne_u32_e32 vcc_lo, 1, v52
	s_cbranch_vccnz .LBB108_461
; %bb.460:
	scratch_load_b32 v53, v7, off
	ds_load_b32 v54, v1
	s_wait_loadcnt_dscnt 0x0
	v_mul_f32_e32 v53, v53, v54
	s_cbranch_execz .LBB108_462
	s_branch .LBB108_463
.LBB108_461:
                                        ; implicit-def: $vgpr53
.LBB108_462:
	ds_load_b32 v53, v1
.LBB108_463:
	s_mov_b32 s1, exec_lo
	v_cmpx_ne_u32_e32 3, v0
	s_cbranch_execz .LBB108_467
; %bb.464:
	v_add_nc_u32_e32 v54, 0xc4, v6
	v_add3_u32 v55, 0, v6, 4
	v_mov_b32_e32 v56, v0
	s_mov_b32 s2, 0
.LBB108_465:                            ; =>This Inner Loop Header: Depth=1
	scratch_load_b32 v57, v55, off
	ds_load_b32 v58, v54
	v_dual_add_nc_u32 v56, 1, v56 :: v_dual_add_nc_u32 v54, 4, v54
	s_wait_xcnt 0x0
	v_add_nc_u32_e32 v55, 4, v55
	s_delay_alu instid0(VALU_DEP_2)
	v_cmp_lt_u32_e32 vcc_lo, 2, v56
	s_or_b32 s2, vcc_lo, s2
	s_wait_loadcnt_dscnt 0x0
	v_fmac_f32_e32 v53, v57, v58
	s_and_not1_b32 exec_lo, exec_lo, s2
	s_cbranch_execnz .LBB108_465
; %bb.466:
	s_or_b32 exec_lo, exec_lo, s2
.LBB108_467:
	s_delay_alu instid0(SALU_CYCLE_1)
	s_or_b32 exec_lo, exec_lo, s1
	v_mov_b32_e32 v54, 0
	ds_load_b32 v54, v54 offset:16
	s_wait_dscnt 0x0
	v_mul_f32_e32 v53, v53, v54
	scratch_store_b32 off, v53, off offset:16
.LBB108_468:
	s_wait_xcnt 0x0
	s_or_b32 exec_lo, exec_lo, s0
	scratch_load_b32 v53, off, off offset:20
	s_mov_b32 s0, exec_lo
	s_wait_loadcnt 0x0
	ds_store_b32 v1, v53
	s_wait_storecnt_dscnt 0x0
	s_barrier_signal -1
	s_barrier_wait -1
	s_wait_xcnt 0x0
	v_cmpx_gt_u32_e32 5, v0
	s_cbranch_execz .LBB108_478
; %bb.469:
	v_cmp_ne_u32_e32 vcc_lo, 1, v52
	s_cbranch_vccnz .LBB108_471
; %bb.470:
	scratch_load_b32 v53, v7, off
	ds_load_b32 v54, v1
	s_wait_loadcnt_dscnt 0x0
	v_mul_f32_e32 v53, v53, v54
	s_cbranch_execz .LBB108_472
	s_branch .LBB108_473
.LBB108_471:
                                        ; implicit-def: $vgpr53
.LBB108_472:
	ds_load_b32 v53, v1
.LBB108_473:
	s_mov_b32 s1, exec_lo
	v_cmpx_ne_u32_e32 4, v0
	s_cbranch_execz .LBB108_477
; %bb.474:
	v_add_nc_u32_e32 v54, 0xc4, v6
	v_add3_u32 v55, 0, v6, 4
	v_mov_b32_e32 v56, v0
	s_mov_b32 s2, 0
.LBB108_475:                            ; =>This Inner Loop Header: Depth=1
	scratch_load_b32 v57, v55, off
	ds_load_b32 v58, v54
	v_dual_add_nc_u32 v56, 1, v56 :: v_dual_add_nc_u32 v54, 4, v54
	s_wait_xcnt 0x0
	v_add_nc_u32_e32 v55, 4, v55
	s_delay_alu instid0(VALU_DEP_2)
	v_cmp_lt_u32_e32 vcc_lo, 3, v56
	s_or_b32 s2, vcc_lo, s2
	s_wait_loadcnt_dscnt 0x0
	v_fmac_f32_e32 v53, v57, v58
	s_and_not1_b32 exec_lo, exec_lo, s2
	s_cbranch_execnz .LBB108_475
; %bb.476:
	s_or_b32 exec_lo, exec_lo, s2
.LBB108_477:
	s_delay_alu instid0(SALU_CYCLE_1)
	s_or_b32 exec_lo, exec_lo, s1
	v_mov_b32_e32 v54, 0
	ds_load_b32 v54, v54 offset:20
	s_wait_dscnt 0x0
	v_mul_f32_e32 v53, v53, v54
	scratch_store_b32 off, v53, off offset:20
.LBB108_478:
	;; [unrolled: 59-line block ×39, first 2 shown]
	s_wait_xcnt 0x0
	s_or_b32 exec_lo, exec_lo, s0
	scratch_load_b32 v53, off, off offset:172
	v_cmp_gt_u32_e64 s0, 43, v0
	s_wait_loadcnt 0x0
	ds_store_b32 v1, v53
	s_wait_storecnt_dscnt 0x0
	s_barrier_signal -1
	s_barrier_wait -1
	s_wait_xcnt 0x0
	s_and_saveexec_b32 s1, s0
	s_cbranch_execz .LBB108_858
; %bb.849:
	v_cmp_ne_u32_e32 vcc_lo, 1, v52
	s_cbranch_vccnz .LBB108_851
; %bb.850:
	scratch_load_b32 v53, v7, off
	ds_load_b32 v54, v1
	s_wait_loadcnt_dscnt 0x0
	v_mul_f32_e32 v53, v53, v54
	s_cbranch_execz .LBB108_852
	s_branch .LBB108_853
.LBB108_851:
                                        ; implicit-def: $vgpr53
.LBB108_852:
	ds_load_b32 v53, v1
.LBB108_853:
	s_mov_b32 s2, exec_lo
	v_cmpx_ne_u32_e32 42, v0
	s_cbranch_execz .LBB108_857
; %bb.854:
	v_add_nc_u32_e32 v54, 0xc4, v6
	v_add3_u32 v55, 0, v6, 4
	v_mov_b32_e32 v56, v0
	s_mov_b32 s3, 0
.LBB108_855:                            ; =>This Inner Loop Header: Depth=1
	scratch_load_b32 v57, v55, off
	ds_load_b32 v58, v54
	v_dual_add_nc_u32 v56, 1, v56 :: v_dual_add_nc_u32 v54, 4, v54
	s_wait_xcnt 0x0
	v_add_nc_u32_e32 v55, 4, v55
	s_delay_alu instid0(VALU_DEP_2)
	v_cmp_lt_u32_e32 vcc_lo, 41, v56
	s_or_b32 s3, vcc_lo, s3
	s_wait_loadcnt_dscnt 0x0
	v_fmac_f32_e32 v53, v57, v58
	s_and_not1_b32 exec_lo, exec_lo, s3
	s_cbranch_execnz .LBB108_855
; %bb.856:
	s_or_b32 exec_lo, exec_lo, s3
.LBB108_857:
	s_delay_alu instid0(SALU_CYCLE_1)
	s_or_b32 exec_lo, exec_lo, s2
	v_mov_b32_e32 v54, 0
	ds_load_b32 v54, v54 offset:172
	s_wait_dscnt 0x0
	v_mul_f32_e32 v53, v53, v54
	scratch_store_b32 off, v53, off offset:172
.LBB108_858:
	s_wait_xcnt 0x0
	s_or_b32 exec_lo, exec_lo, s1
	scratch_load_b32 v53, off, off offset:176
	s_mov_b32 s1, exec_lo
	s_wait_loadcnt 0x0
	ds_store_b32 v1, v53
	s_wait_storecnt_dscnt 0x0
	s_barrier_signal -1
	s_barrier_wait -1
	s_wait_xcnt 0x0
	v_cmpx_ne_u32_e32 44, v0
	s_cbranch_execz .LBB108_868
; %bb.859:
	v_cmp_ne_u32_e32 vcc_lo, 1, v52
	s_cbranch_vccnz .LBB108_861
; %bb.860:
	scratch_load_b32 v7, v7, off
	ds_load_b32 v52, v1
	s_wait_loadcnt_dscnt 0x0
	v_mul_f32_e32 v7, v7, v52
	s_cbranch_execz .LBB108_862
	s_branch .LBB108_863
.LBB108_861:
                                        ; implicit-def: $vgpr7
.LBB108_862:
	ds_load_b32 v7, v1
.LBB108_863:
	s_and_saveexec_b32 s2, s0
	s_cbranch_execz .LBB108_867
; %bb.864:
	v_add_nc_u32_e32 v1, 0xc4, v6
	v_add3_u32 v6, 0, v6, 4
	s_mov_b32 s0, 0
.LBB108_865:                            ; =>This Inner Loop Header: Depth=1
	scratch_load_b32 v52, v6, off
	ds_load_b32 v53, v1
	v_dual_add_nc_u32 v0, 1, v0 :: v_dual_add_nc_u32 v1, 4, v1
	s_wait_xcnt 0x0
	v_add_nc_u32_e32 v6, 4, v6
	s_delay_alu instid0(VALU_DEP_2)
	v_cmp_lt_u32_e32 vcc_lo, 42, v0
	s_or_b32 s0, vcc_lo, s0
	s_wait_loadcnt_dscnt 0x0
	v_fmac_f32_e32 v7, v52, v53
	s_and_not1_b32 exec_lo, exec_lo, s0
	s_cbranch_execnz .LBB108_865
; %bb.866:
	s_or_b32 exec_lo, exec_lo, s0
.LBB108_867:
	s_delay_alu instid0(SALU_CYCLE_1)
	s_or_b32 exec_lo, exec_lo, s2
	v_mov_b32_e32 v0, 0
	ds_load_b32 v0, v0 offset:176
	s_wait_dscnt 0x0
	v_mul_f32_e32 v0, v7, v0
	scratch_store_b32 off, v0, off offset:176
.LBB108_868:
	s_wait_xcnt 0x0
	s_or_b32 exec_lo, exec_lo, s1
.LBB108_869:
	scratch_load_b32 v0, off, off
	s_wait_loadcnt 0x0
	flat_store_b32 v[2:3], v0
	scratch_load_b32 v0, off, off offset:4
	s_wait_loadcnt 0x0
	flat_store_b32 v[4:5], v0
	scratch_load_b32 v0, off, off offset:8
	;; [unrolled: 3-line block ×44, first 2 shown]
	s_wait_loadcnt 0x0
	flat_store_b32 v[8:9], v0
.LBB108_870:
	s_sendmsg sendmsg(MSG_DEALLOC_VGPRS)
	s_endpgm
	.section	.rodata,"a",@progbits
	.p2align	6, 0x0
	.amdhsa_kernel _ZN9rocsolver6v33100L18trti2_kernel_smallILi45EfPKPfEEv13rocblas_fill_17rocblas_diagonal_T1_iil
		.amdhsa_group_segment_fixed_size 372
		.amdhsa_private_segment_fixed_size 192
		.amdhsa_kernarg_size 32
		.amdhsa_user_sgpr_count 2
		.amdhsa_user_sgpr_dispatch_ptr 0
		.amdhsa_user_sgpr_queue_ptr 0
		.amdhsa_user_sgpr_kernarg_segment_ptr 1
		.amdhsa_user_sgpr_dispatch_id 0
		.amdhsa_user_sgpr_kernarg_preload_length 0
		.amdhsa_user_sgpr_kernarg_preload_offset 0
		.amdhsa_user_sgpr_private_segment_size 0
		.amdhsa_wavefront_size32 1
		.amdhsa_uses_dynamic_stack 0
		.amdhsa_enable_private_segment 1
		.amdhsa_system_sgpr_workgroup_id_x 1
		.amdhsa_system_sgpr_workgroup_id_y 0
		.amdhsa_system_sgpr_workgroup_id_z 0
		.amdhsa_system_sgpr_workgroup_info 0
		.amdhsa_system_vgpr_workitem_id 0
		.amdhsa_next_free_vgpr 136
		.amdhsa_next_free_sgpr 51
		.amdhsa_named_barrier_count 0
		.amdhsa_reserve_vcc 1
		.amdhsa_float_round_mode_32 0
		.amdhsa_float_round_mode_16_64 0
		.amdhsa_float_denorm_mode_32 3
		.amdhsa_float_denorm_mode_16_64 3
		.amdhsa_fp16_overflow 0
		.amdhsa_memory_ordered 1
		.amdhsa_forward_progress 1
		.amdhsa_inst_pref_size 203
		.amdhsa_round_robin_scheduling 0
		.amdhsa_exception_fp_ieee_invalid_op 0
		.amdhsa_exception_fp_denorm_src 0
		.amdhsa_exception_fp_ieee_div_zero 0
		.amdhsa_exception_fp_ieee_overflow 0
		.amdhsa_exception_fp_ieee_underflow 0
		.amdhsa_exception_fp_ieee_inexact 0
		.amdhsa_exception_int_div_zero 0
	.end_amdhsa_kernel
	.section	.text._ZN9rocsolver6v33100L18trti2_kernel_smallILi45EfPKPfEEv13rocblas_fill_17rocblas_diagonal_T1_iil,"axG",@progbits,_ZN9rocsolver6v33100L18trti2_kernel_smallILi45EfPKPfEEv13rocblas_fill_17rocblas_diagonal_T1_iil,comdat
.Lfunc_end108:
	.size	_ZN9rocsolver6v33100L18trti2_kernel_smallILi45EfPKPfEEv13rocblas_fill_17rocblas_diagonal_T1_iil, .Lfunc_end108-_ZN9rocsolver6v33100L18trti2_kernel_smallILi45EfPKPfEEv13rocblas_fill_17rocblas_diagonal_T1_iil
                                        ; -- End function
	.set _ZN9rocsolver6v33100L18trti2_kernel_smallILi45EfPKPfEEv13rocblas_fill_17rocblas_diagonal_T1_iil.num_vgpr, 136
	.set _ZN9rocsolver6v33100L18trti2_kernel_smallILi45EfPKPfEEv13rocblas_fill_17rocblas_diagonal_T1_iil.num_agpr, 0
	.set _ZN9rocsolver6v33100L18trti2_kernel_smallILi45EfPKPfEEv13rocblas_fill_17rocblas_diagonal_T1_iil.numbered_sgpr, 51
	.set _ZN9rocsolver6v33100L18trti2_kernel_smallILi45EfPKPfEEv13rocblas_fill_17rocblas_diagonal_T1_iil.num_named_barrier, 0
	.set _ZN9rocsolver6v33100L18trti2_kernel_smallILi45EfPKPfEEv13rocblas_fill_17rocblas_diagonal_T1_iil.private_seg_size, 192
	.set _ZN9rocsolver6v33100L18trti2_kernel_smallILi45EfPKPfEEv13rocblas_fill_17rocblas_diagonal_T1_iil.uses_vcc, 1
	.set _ZN9rocsolver6v33100L18trti2_kernel_smallILi45EfPKPfEEv13rocblas_fill_17rocblas_diagonal_T1_iil.uses_flat_scratch, 0
	.set _ZN9rocsolver6v33100L18trti2_kernel_smallILi45EfPKPfEEv13rocblas_fill_17rocblas_diagonal_T1_iil.has_dyn_sized_stack, 0
	.set _ZN9rocsolver6v33100L18trti2_kernel_smallILi45EfPKPfEEv13rocblas_fill_17rocblas_diagonal_T1_iil.has_recursion, 0
	.set _ZN9rocsolver6v33100L18trti2_kernel_smallILi45EfPKPfEEv13rocblas_fill_17rocblas_diagonal_T1_iil.has_indirect_call, 0
	.section	.AMDGPU.csdata,"",@progbits
; Kernel info:
; codeLenInByte = 25936
; TotalNumSgprs: 53
; NumVgprs: 136
; ScratchSize: 192
; MemoryBound: 0
; FloatMode: 240
; IeeeMode: 1
; LDSByteSize: 372 bytes/workgroup (compile time only)
; SGPRBlocks: 0
; VGPRBlocks: 8
; NumSGPRsForWavesPerEU: 53
; NumVGPRsForWavesPerEU: 136
; NamedBarCnt: 0
; Occupancy: 7
; WaveLimiterHint : 1
; COMPUTE_PGM_RSRC2:SCRATCH_EN: 1
; COMPUTE_PGM_RSRC2:USER_SGPR: 2
; COMPUTE_PGM_RSRC2:TRAP_HANDLER: 0
; COMPUTE_PGM_RSRC2:TGID_X_EN: 1
; COMPUTE_PGM_RSRC2:TGID_Y_EN: 0
; COMPUTE_PGM_RSRC2:TGID_Z_EN: 0
; COMPUTE_PGM_RSRC2:TIDIG_COMP_CNT: 0
	.section	.text._ZN9rocsolver6v33100L18trti2_kernel_smallILi46EfPKPfEEv13rocblas_fill_17rocblas_diagonal_T1_iil,"axG",@progbits,_ZN9rocsolver6v33100L18trti2_kernel_smallILi46EfPKPfEEv13rocblas_fill_17rocblas_diagonal_T1_iil,comdat
	.globl	_ZN9rocsolver6v33100L18trti2_kernel_smallILi46EfPKPfEEv13rocblas_fill_17rocblas_diagonal_T1_iil ; -- Begin function _ZN9rocsolver6v33100L18trti2_kernel_smallILi46EfPKPfEEv13rocblas_fill_17rocblas_diagonal_T1_iil
	.p2align	8
	.type	_ZN9rocsolver6v33100L18trti2_kernel_smallILi46EfPKPfEEv13rocblas_fill_17rocblas_diagonal_T1_iil,@function
_ZN9rocsolver6v33100L18trti2_kernel_smallILi46EfPKPfEEv13rocblas_fill_17rocblas_diagonal_T1_iil: ; @_ZN9rocsolver6v33100L18trti2_kernel_smallILi46EfPKPfEEv13rocblas_fill_17rocblas_diagonal_T1_iil
; %bb.0:
	s_mov_b32 s2, exec_lo
	v_cmpx_gt_u32_e32 46, v0
	s_cbranch_execz .LBB109_890
; %bb.1:
	s_clause 0x1
	s_load_b64 s[2:3], s[0:1], 0x10
	s_load_b128 s[4:7], s[0:1], 0x0
	s_wait_xcnt 0x0
	s_bfe_u32 s0, ttmp6, 0x4000c
	s_and_b32 s1, ttmp6, 15
	s_add_co_i32 s0, s0, 1
	s_getreg_b32 s8, hwreg(HW_REG_IB_STS2, 6, 4)
	s_mul_i32 s0, ttmp9, s0
	v_dual_mov_b32 v7, 0 :: v_dual_lshlrev_b32 v6, 2, v0
	s_add_co_i32 s0, s1, s0
	v_mov_b32_e32 v96, -1.0
	s_wait_kmcnt 0x0
	s_ashr_i32 s1, s2, 31
	s_cmp_eq_u32 s8, 0
	v_add3_u32 v8, s3, s3, v0
	s_cselect_b32 s8, ttmp9, s0
	s_mov_b32 s0, s2
	s_ashr_i32 s9, s8, 31
	s_lshl_b64 s[0:1], s[0:1], 2
	s_lshl_b64 s[8:9], s[8:9], 3
	v_add_nc_u32_e32 v10, s3, v8
	s_add_nc_u64 s[6:7], s[6:7], s[8:9]
	s_load_b64 s[6:7], s[6:7], 0x0
	s_delay_alu instid0(VALU_DEP_1) | instskip(NEXT) | instid1(VALU_DEP_1)
	v_add_nc_u32_e32 v12, s3, v10
	v_add_nc_u32_e32 v14, s3, v12
	s_delay_alu instid0(VALU_DEP_1) | instskip(NEXT) | instid1(VALU_DEP_1)
	v_add_nc_u32_e32 v16, s3, v14
	v_dual_ashrrev_i32 v11, 31, v10 :: v_dual_add_nc_u32 v18, s3, v16
	v_ashrrev_i32_e32 v13, 31, v12
	s_wait_kmcnt 0x0
	s_add_nc_u64 s[6:7], s[6:7], s[0:1]
	s_mov_b32 s0, s3
	flat_load_b32 v1, v0, s[6:7] scale_offset
	v_add_nc_u64_e32 v[2:3], s[6:7], v[6:7]
	s_ashr_i32 s1, s3, 31
	v_dual_add_nc_u32 v20, s3, v18 :: v_dual_ashrrev_i32 v9, 31, v8
	v_ashrrev_i32_e32 v15, 31, v14
	v_ashrrev_i32_e32 v19, 31, v18
	s_cmp_lg_u32 s5, 0x84
	s_delay_alu instid0(VALU_DEP_4) | instskip(SKIP_2) | instid1(VALU_DEP_1)
	v_lshl_add_u64 v[4:5], s[0:1], 2, v[2:3]
	v_add_nc_u32_e32 v22, s3, v20
	s_movk_i32 s1, 0x84
	v_add_nc_u32_e32 v24, s3, v22
	s_delay_alu instid0(VALU_DEP_1) | instskip(NEXT) | instid1(VALU_DEP_1)
	v_add_nc_u32_e32 v26, s3, v24
	v_dual_add_nc_u32 v28, s3, v26 :: v_dual_ashrrev_i32 v17, 31, v16
	s_delay_alu instid0(VALU_DEP_1) | instskip(NEXT) | instid1(VALU_DEP_1)
	v_dual_ashrrev_i32 v23, 31, v22 :: v_dual_add_nc_u32 v30, s3, v28
	v_dual_ashrrev_i32 v25, 31, v24 :: v_dual_ashrrev_i32 v31, 31, v30
	v_dual_add_nc_u32 v32, s3, v30 :: v_dual_ashrrev_i32 v21, 31, v20
	s_delay_alu instid0(VALU_DEP_1) | instskip(NEXT) | instid1(VALU_DEP_1)
	v_dual_ashrrev_i32 v27, 31, v26 :: v_dual_add_nc_u32 v34, s3, v32
	v_add_nc_u32_e32 v36, s3, v34
	s_delay_alu instid0(VALU_DEP_1) | instskip(NEXT) | instid1(VALU_DEP_1)
	v_add_nc_u32_e32 v38, s3, v36
	v_dual_add_nc_u32 v40, s3, v38 :: v_dual_ashrrev_i32 v29, 31, v28
	s_delay_alu instid0(VALU_DEP_1) | instskip(NEXT) | instid1(VALU_DEP_1)
	v_dual_ashrrev_i32 v35, 31, v34 :: v_dual_add_nc_u32 v42, s3, v40
	v_dual_ashrrev_i32 v37, 31, v36 :: v_dual_ashrrev_i32 v43, 31, v42
	v_dual_add_nc_u32 v44, s3, v42 :: v_dual_ashrrev_i32 v33, 31, v32
	s_delay_alu instid0(VALU_DEP_1) | instskip(NEXT) | instid1(VALU_DEP_1)
	v_dual_ashrrev_i32 v39, 31, v38 :: v_dual_add_nc_u32 v46, s3, v44
	;; [unrolled: 10-line block ×5, first 2 shown]
	v_add_nc_u32_e32 v84, s3, v82
	s_delay_alu instid0(VALU_DEP_1) | instskip(NEXT) | instid1(VALU_DEP_1)
	v_add_nc_u32_e32 v86, s3, v84
	v_dual_add_nc_u32 v88, s3, v86 :: v_dual_ashrrev_i32 v77, 31, v76
	s_delay_alu instid0(VALU_DEP_1) | instskip(NEXT) | instid1(VALU_DEP_1)
	v_dual_ashrrev_i32 v83, 31, v82 :: v_dual_add_nc_u32 v90, s3, v88
	v_dual_ashrrev_i32 v85, 31, v84 :: v_dual_ashrrev_i32 v91, 31, v90
	v_dual_add_nc_u32 v92, s3, v90 :: v_dual_ashrrev_i32 v81, 31, v80
	s_delay_alu instid0(VALU_DEP_1)
	v_dual_ashrrev_i32 v87, 31, v86 :: v_dual_add_nc_u32 v94, s3, v92
	v_ashrrev_i32_e32 v89, 31, v88
	v_ashrrev_i32_e32 v93, 31, v92
	s_cselect_b32 s3, -1, 0
	s_cmp_eq_u32 s5, 0x84
	v_ashrrev_i32_e32 v95, 31, v94
	s_wait_loadcnt_dscnt 0x0
	scratch_store_b32 off, v1, off
	flat_load_b32 v1, v[4:5]
	s_wait_loadcnt_dscnt 0x0
	scratch_store_b32 off, v1, off offset:4
	flat_load_b32 v1, v8, s[6:7] scale_offset
	s_wait_loadcnt_dscnt 0x0
	scratch_store_b32 off, v1, off offset:8
	flat_load_b32 v1, v10, s[6:7] scale_offset
	;; [unrolled: 3-line block ×44, first 2 shown]
	s_wait_loadcnt_dscnt 0x0
	scratch_store_b32 off, v1, off offset:180
	s_cbranch_scc1 .LBB109_3
; %bb.2:
	scratch_load_b32 v1, v0, off scale_offset
	s_wait_loadcnt 0x0
	v_div_scale_f32 v7, null, v1, v1, 1.0
	s_delay_alu instid0(VALU_DEP_1) | instskip(SKIP_1) | instid1(TRANS32_DEP_1)
	v_rcp_f32_e32 v96, v7
	v_nop
	v_fma_f32 v97, -v7, v96, 1.0
	s_delay_alu instid0(VALU_DEP_1) | instskip(SKIP_1) | instid1(VALU_DEP_1)
	v_fmac_f32_e32 v96, v97, v96
	v_div_scale_f32 v97, vcc_lo, 1.0, v1, 1.0
	v_mul_f32_e32 v98, v97, v96
	s_delay_alu instid0(VALU_DEP_1) | instskip(NEXT) | instid1(VALU_DEP_1)
	v_fma_f32 v99, -v7, v98, v97
	v_fmac_f32_e32 v98, v99, v96
	s_delay_alu instid0(VALU_DEP_1) | instskip(NEXT) | instid1(VALU_DEP_1)
	v_fma_f32 v7, -v7, v98, v97
	v_div_fmas_f32 v7, v7, v96, v98
	s_delay_alu instid0(VALU_DEP_1) | instskip(NEXT) | instid1(VALU_DEP_1)
	v_div_fixup_f32 v1, v7, v1, 1.0
	v_xor_b32_e32 v96, 0x80000000, v1
	scratch_store_b32 v0, v1, off scale_offset
.LBB109_3:
	s_wait_xcnt 0x0
	v_add_nc_u32_e32 v1, 0xc0, v6
	v_mov_b32_e32 v7, v6
	s_cmp_eq_u32 s4, 0x79
	s_mov_b32 s2, -1
	ds_store_b32 v6, v96
	s_cbranch_scc1 .LBB109_447
; %bb.4:
	scratch_load_b32 v96, off, off offset:176
	v_cmp_eq_u32_e64 s0, 45, v0
	s_movk_i32 s21, 0x44
	s_movk_i32 s22, 0x48
	s_movk_i32 s23, 0x4c
	s_movk_i32 s24, 0x50
	s_movk_i32 s25, 0x54
	s_movk_i32 s26, 0x58
	s_movk_i32 s27, 0x5c
	s_movk_i32 s28, 0x60
	s_movk_i32 s29, 0x64
	s_movk_i32 s30, 0x68
	s_movk_i32 s31, 0x6c
	s_movk_i32 s33, 0x70
	s_movk_i32 s34, 0x74
	s_movk_i32 s35, 0x78
	s_movk_i32 s36, 0x7c
	s_movk_i32 s37, 0x80
	s_movk_i32 s39, 0x88
	s_movk_i32 s40, 0x8c
	s_movk_i32 s41, 0x90
	s_movk_i32 s42, 0x94
	s_movk_i32 s43, 0x98
	s_movk_i32 s44, 0x9c
	s_movk_i32 s45, 0xa0
	s_movk_i32 s46, 0xa4
	s_movk_i32 s47, 0xa8
	s_movk_i32 s48, 0xac
	s_wait_loadcnt 0x0
	ds_store_b32 v1, v96
	s_wait_storecnt_dscnt 0x0
	s_barrier_signal -1
	s_barrier_wait -1
	s_wait_xcnt 0x0
	s_and_saveexec_b32 s2, s0
	s_cbranch_execz .LBB109_10
; %bb.5:
	s_and_b32 vcc_lo, exec_lo, s3
	s_cbranch_vccz .LBB109_7
; %bb.6:
	scratch_load_b32 v96, v7, off
	ds_load_b32 v97, v1
	s_wait_loadcnt_dscnt 0x0
	v_mul_f32_e32 v96, v96, v97
	s_cbranch_execz .LBB109_8
	s_branch .LBB109_9
.LBB109_7:
                                        ; implicit-def: $vgpr96
.LBB109_8:
	ds_load_b32 v96, v1
.LBB109_9:
	v_mov_b32_e32 v97, 0
	ds_load_b32 v97, v97 offset:176
	s_wait_dscnt 0x0
	v_mul_f32_e32 v96, v96, v97
	scratch_store_b32 off, v96, off offset:176
.LBB109_10:
	s_wait_xcnt 0x0
	s_or_b32 exec_lo, exec_lo, s2
	scratch_load_b32 v96, off, off offset:172
	s_mov_b32 s38, s1
	v_cmp_lt_u32_e64 s1, 43, v0
	s_or_b32 s4, 0, 4
	s_or_b32 s5, 0, 8
	;; [unrolled: 1-line block ×3, first 2 shown]
	s_mov_b32 s2, 16
	s_mov_b32 s9, 20
	;; [unrolled: 1-line block ×13, first 2 shown]
	s_wait_loadcnt 0x0
	ds_store_b32 v1, v96
	s_wait_storecnt_dscnt 0x0
	s_barrier_signal -1
	s_barrier_wait -1
	s_wait_xcnt 0x0
	s_and_saveexec_b32 s49, s1
	s_cbranch_execz .LBB109_16
; %bb.11:
	s_and_not1_b32 vcc_lo, exec_lo, s3
	s_cbranch_vccnz .LBB109_13
; %bb.12:
	scratch_load_b32 v96, v7, off
	ds_load_b32 v97, v1
	s_wait_loadcnt_dscnt 0x0
	v_mul_f32_e32 v96, v96, v97
	s_cbranch_execz .LBB109_14
	s_branch .LBB109_15
.LBB109_13:
                                        ; implicit-def: $vgpr96
.LBB109_14:
	ds_load_b32 v96, v1
.LBB109_15:
	scratch_load_b32 v97, off, off offset:176
	v_mov_b32_e32 v98, 0
	ds_load_2addr_b32 v[98:99], v98 offset0:43 offset1:92
	s_wait_loadcnt_dscnt 0x0
	v_fma_f32 v97, v97, v99, v96
	s_delay_alu instid0(VALU_DEP_1) | instskip(NEXT) | instid1(VALU_DEP_1)
	v_cndmask_b32_e64 v96, v96, v97, s0
	v_mul_f32_e32 v96, v96, v98
	scratch_store_b32 off, v96, off offset:172
.LBB109_16:
	s_wait_xcnt 0x0
	s_or_b32 exec_lo, exec_lo, s49
	scratch_load_b32 v96, off, off offset:168
	v_cmp_lt_u32_e64 s0, 42, v0
	s_wait_loadcnt 0x0
	ds_store_b32 v1, v96
	s_wait_storecnt_dscnt 0x0
	s_barrier_signal -1
	s_barrier_wait -1
	s_wait_xcnt 0x0
	s_and_saveexec_b32 s49, s0
	s_cbranch_execz .LBB109_26
; %bb.17:
	s_and_not1_b32 vcc_lo, exec_lo, s3
	s_cbranch_vccnz .LBB109_19
; %bb.18:
	scratch_load_b32 v96, v7, off
	ds_load_b32 v97, v1
	s_wait_loadcnt_dscnt 0x0
	v_mul_f32_e32 v96, v96, v97
	s_cbranch_execz .LBB109_20
	s_branch .LBB109_21
.LBB109_19:
                                        ; implicit-def: $vgpr96
.LBB109_20:
	ds_load_b32 v96, v1
.LBB109_21:
	s_and_saveexec_b32 s50, s1
	s_cbranch_execz .LBB109_25
; %bb.22:
	v_subrev_nc_u32_e32 v97, 43, v0
	s_movk_i32 s51, 0x16c
	s_mov_b32 s1, 0
.LBB109_23:                             ; =>This Inner Loop Header: Depth=1
	scratch_load_b32 v98, off, s48
	v_dual_mov_b32 v99, s51 :: v_dual_add_nc_u32 v97, -1, v97
	s_add_co_i32 s51, s51, 4
	s_wait_xcnt 0x0
	s_add_co_i32 s48, s48, 4
	ds_load_b32 v99, v99
	v_cmp_eq_u32_e32 vcc_lo, 0, v97
	s_or_b32 s1, vcc_lo, s1
	s_wait_loadcnt_dscnt 0x0
	v_fmac_f32_e32 v96, v98, v99
	s_and_not1_b32 exec_lo, exec_lo, s1
	s_cbranch_execnz .LBB109_23
; %bb.24:
	s_or_b32 exec_lo, exec_lo, s1
.LBB109_25:
	s_delay_alu instid0(SALU_CYCLE_1)
	s_or_b32 exec_lo, exec_lo, s50
	v_mov_b32_e32 v97, 0
	ds_load_b32 v97, v97 offset:168
	s_wait_dscnt 0x0
	v_mul_f32_e32 v96, v96, v97
	scratch_store_b32 off, v96, off offset:168
.LBB109_26:
	s_wait_xcnt 0x0
	s_or_b32 exec_lo, exec_lo, s49
	scratch_load_b32 v96, off, off offset:164
	v_cmp_lt_u32_e64 s1, 41, v0
	s_wait_loadcnt 0x0
	ds_store_b32 v1, v96
	s_wait_storecnt_dscnt 0x0
	s_barrier_signal -1
	s_barrier_wait -1
	s_wait_xcnt 0x0
	s_and_saveexec_b32 s48, s1
	s_cbranch_execz .LBB109_36
; %bb.27:
	s_and_not1_b32 vcc_lo, exec_lo, s3
	s_cbranch_vccnz .LBB109_29
; %bb.28:
	scratch_load_b32 v96, v7, off
	ds_load_b32 v97, v1
	s_wait_loadcnt_dscnt 0x0
	v_mul_f32_e32 v96, v96, v97
	s_cbranch_execz .LBB109_30
	s_branch .LBB109_31
.LBB109_29:
                                        ; implicit-def: $vgpr96
.LBB109_30:
	ds_load_b32 v96, v1
.LBB109_31:
	s_and_saveexec_b32 s49, s0
	s_cbranch_execz .LBB109_35
; %bb.32:
	v_subrev_nc_u32_e32 v97, 42, v0
	s_movk_i32 s50, 0x168
	s_mov_b32 s0, 0
.LBB109_33:                             ; =>This Inner Loop Header: Depth=1
	scratch_load_b32 v98, off, s47
	v_dual_mov_b32 v99, s50 :: v_dual_add_nc_u32 v97, -1, v97
	s_add_co_i32 s50, s50, 4
	s_wait_xcnt 0x0
	s_add_co_i32 s47, s47, 4
	ds_load_b32 v99, v99
	v_cmp_eq_u32_e32 vcc_lo, 0, v97
	s_or_b32 s0, vcc_lo, s0
	s_wait_loadcnt_dscnt 0x0
	v_fmac_f32_e32 v96, v98, v99
	s_and_not1_b32 exec_lo, exec_lo, s0
	s_cbranch_execnz .LBB109_33
; %bb.34:
	s_or_b32 exec_lo, exec_lo, s0
.LBB109_35:
	s_delay_alu instid0(SALU_CYCLE_1)
	s_or_b32 exec_lo, exec_lo, s49
	v_mov_b32_e32 v97, 0
	ds_load_b32 v97, v97 offset:164
	s_wait_dscnt 0x0
	v_mul_f32_e32 v96, v96, v97
	scratch_store_b32 off, v96, off offset:164
.LBB109_36:
	;; [unrolled: 57-line block ×8, first 2 shown]
	s_wait_xcnt 0x0
	s_or_b32 exec_lo, exec_lo, s42
	scratch_load_b32 v96, off, off offset:136
	v_cmp_lt_u32_e64 s0, 34, v0
	s_wait_loadcnt 0x0
	ds_store_b32 v1, v96
	s_wait_storecnt_dscnt 0x0
	s_barrier_signal -1
	s_barrier_wait -1
	s_wait_xcnt 0x0
	s_and_saveexec_b32 s41, s0
	s_cbranch_execz .LBB109_106
; %bb.97:
	s_and_not1_b32 vcc_lo, exec_lo, s3
	s_cbranch_vccnz .LBB109_99
; %bb.98:
	scratch_load_b32 v96, v7, off
	ds_load_b32 v97, v1
	s_wait_loadcnt_dscnt 0x0
	v_mul_f32_e32 v96, v96, v97
	s_cbranch_execz .LBB109_100
	s_branch .LBB109_101
.LBB109_99:
                                        ; implicit-def: $vgpr96
.LBB109_100:
	ds_load_b32 v96, v1
.LBB109_101:
	s_and_saveexec_b32 s42, s1
	s_cbranch_execz .LBB109_105
; %bb.102:
	v_subrev_nc_u32_e32 v97, 35, v0
	s_movk_i32 s43, 0x14c
	s_mov_b32 s1, 0
.LBB109_103:                            ; =>This Inner Loop Header: Depth=1
	scratch_load_b32 v98, off, s40
	v_dual_mov_b32 v99, s43 :: v_dual_add_nc_u32 v97, -1, v97
	s_add_co_i32 s43, s43, 4
	s_wait_xcnt 0x0
	s_add_co_i32 s40, s40, 4
	ds_load_b32 v99, v99
	v_cmp_eq_u32_e32 vcc_lo, 0, v97
	s_or_b32 s1, vcc_lo, s1
	s_wait_loadcnt_dscnt 0x0
	v_fmac_f32_e32 v96, v98, v99
	s_and_not1_b32 exec_lo, exec_lo, s1
	s_cbranch_execnz .LBB109_103
; %bb.104:
	s_or_b32 exec_lo, exec_lo, s1
.LBB109_105:
	s_delay_alu instid0(SALU_CYCLE_1)
	s_or_b32 exec_lo, exec_lo, s42
	v_mov_b32_e32 v97, 0
	ds_load_b32 v97, v97 offset:136
	s_wait_dscnt 0x0
	v_mul_f32_e32 v96, v96, v97
	scratch_store_b32 off, v96, off offset:136
.LBB109_106:
	s_wait_xcnt 0x0
	s_or_b32 exec_lo, exec_lo, s41
	scratch_load_b32 v96, off, off offset:132
	v_cmp_lt_u32_e64 s1, 33, v0
	s_wait_loadcnt 0x0
	ds_store_b32 v1, v96
	s_wait_storecnt_dscnt 0x0
	s_barrier_signal -1
	s_barrier_wait -1
	s_wait_xcnt 0x0
	s_and_saveexec_b32 s40, s1
	s_cbranch_execz .LBB109_116
; %bb.107:
	s_and_not1_b32 vcc_lo, exec_lo, s3
	s_cbranch_vccnz .LBB109_109
; %bb.108:
	scratch_load_b32 v96, v7, off
	ds_load_b32 v97, v1
	s_wait_loadcnt_dscnt 0x0
	v_mul_f32_e32 v96, v96, v97
	s_cbranch_execz .LBB109_110
	s_branch .LBB109_111
.LBB109_109:
                                        ; implicit-def: $vgpr96
.LBB109_110:
	ds_load_b32 v96, v1
.LBB109_111:
	s_and_saveexec_b32 s41, s0
	s_cbranch_execz .LBB109_115
; %bb.112:
	v_subrev_nc_u32_e32 v97, 34, v0
	s_movk_i32 s42, 0x148
	s_mov_b32 s0, 0
.LBB109_113:                            ; =>This Inner Loop Header: Depth=1
	scratch_load_b32 v98, off, s39
	v_dual_mov_b32 v99, s42 :: v_dual_add_nc_u32 v97, -1, v97
	s_add_co_i32 s42, s42, 4
	s_wait_xcnt 0x0
	s_add_co_i32 s39, s39, 4
	ds_load_b32 v99, v99
	v_cmp_eq_u32_e32 vcc_lo, 0, v97
	s_or_b32 s0, vcc_lo, s0
	s_wait_loadcnt_dscnt 0x0
	v_fmac_f32_e32 v96, v98, v99
	s_and_not1_b32 exec_lo, exec_lo, s0
	s_cbranch_execnz .LBB109_113
; %bb.114:
	s_or_b32 exec_lo, exec_lo, s0
.LBB109_115:
	s_delay_alu instid0(SALU_CYCLE_1)
	s_or_b32 exec_lo, exec_lo, s41
	v_mov_b32_e32 v97, 0
	ds_load_b32 v97, v97 offset:132
	s_wait_dscnt 0x0
	v_mul_f32_e32 v96, v96, v97
	scratch_store_b32 off, v96, off offset:132
.LBB109_116:
	s_wait_xcnt 0x0
	s_or_b32 exec_lo, exec_lo, s40
	scratch_load_b32 v96, off, off offset:128
	v_cmp_lt_u32_e64 s0, 32, v0
	s_wait_loadcnt 0x0
	ds_store_b32 v1, v96
	s_wait_storecnt_dscnt 0x0
	s_barrier_signal -1
	s_barrier_wait -1
	s_wait_xcnt 0x0
	s_and_saveexec_b32 s39, s0
	s_cbranch_execz .LBB109_126
; %bb.117:
	s_and_not1_b32 vcc_lo, exec_lo, s3
	s_cbranch_vccnz .LBB109_119
; %bb.118:
	scratch_load_b32 v96, v7, off
	ds_load_b32 v97, v1
	s_wait_loadcnt_dscnt 0x0
	v_mul_f32_e32 v96, v96, v97
	s_cbranch_execz .LBB109_120
	s_branch .LBB109_121
.LBB109_119:
                                        ; implicit-def: $vgpr96
.LBB109_120:
	ds_load_b32 v96, v1
.LBB109_121:
	s_and_saveexec_b32 s40, s1
	s_cbranch_execz .LBB109_125
; %bb.122:
	v_subrev_nc_u32_e32 v97, 33, v0
	s_movk_i32 s41, 0x144
	s_mov_b32 s1, 0
.LBB109_123:                            ; =>This Inner Loop Header: Depth=1
	scratch_load_b32 v98, off, s38
	v_dual_mov_b32 v99, s41 :: v_dual_add_nc_u32 v97, -1, v97
	s_add_co_i32 s41, s41, 4
	s_wait_xcnt 0x0
	s_add_co_i32 s38, s38, 4
	ds_load_b32 v99, v99
	v_cmp_eq_u32_e32 vcc_lo, 0, v97
	s_or_b32 s1, vcc_lo, s1
	s_wait_loadcnt_dscnt 0x0
	v_fmac_f32_e32 v96, v98, v99
	s_and_not1_b32 exec_lo, exec_lo, s1
	s_cbranch_execnz .LBB109_123
; %bb.124:
	s_or_b32 exec_lo, exec_lo, s1
.LBB109_125:
	s_delay_alu instid0(SALU_CYCLE_1)
	s_or_b32 exec_lo, exec_lo, s40
	v_mov_b32_e32 v97, 0
	ds_load_b32 v97, v97 offset:128
	s_wait_dscnt 0x0
	v_mul_f32_e32 v96, v96, v97
	scratch_store_b32 off, v96, off offset:128
.LBB109_126:
	s_wait_xcnt 0x0
	s_or_b32 exec_lo, exec_lo, s39
	scratch_load_b32 v96, off, off offset:124
	v_cmp_lt_u32_e64 s1, 31, v0
	s_wait_loadcnt 0x0
	ds_store_b32 v1, v96
	s_wait_storecnt_dscnt 0x0
	s_barrier_signal -1
	s_barrier_wait -1
	s_wait_xcnt 0x0
	s_and_saveexec_b32 s38, s1
	s_cbranch_execz .LBB109_136
; %bb.127:
	s_and_not1_b32 vcc_lo, exec_lo, s3
	s_cbranch_vccnz .LBB109_129
; %bb.128:
	scratch_load_b32 v96, v7, off
	ds_load_b32 v97, v1
	s_wait_loadcnt_dscnt 0x0
	v_mul_f32_e32 v96, v96, v97
	s_cbranch_execz .LBB109_130
	s_branch .LBB109_131
.LBB109_129:
                                        ; implicit-def: $vgpr96
.LBB109_130:
	ds_load_b32 v96, v1
.LBB109_131:
	s_and_saveexec_b32 s39, s0
	s_cbranch_execz .LBB109_135
; %bb.132:
	v_subrev_nc_u32_e32 v97, 32, v0
	s_movk_i32 s40, 0x140
	s_mov_b32 s0, 0
.LBB109_133:                            ; =>This Inner Loop Header: Depth=1
	scratch_load_b32 v98, off, s37
	v_dual_mov_b32 v99, s40 :: v_dual_add_nc_u32 v97, -1, v97
	s_add_co_i32 s40, s40, 4
	s_wait_xcnt 0x0
	s_add_co_i32 s37, s37, 4
	ds_load_b32 v99, v99
	v_cmp_eq_u32_e32 vcc_lo, 0, v97
	s_or_b32 s0, vcc_lo, s0
	s_wait_loadcnt_dscnt 0x0
	v_fmac_f32_e32 v96, v98, v99
	s_and_not1_b32 exec_lo, exec_lo, s0
	s_cbranch_execnz .LBB109_133
; %bb.134:
	s_or_b32 exec_lo, exec_lo, s0
.LBB109_135:
	s_delay_alu instid0(SALU_CYCLE_1)
	s_or_b32 exec_lo, exec_lo, s39
	v_mov_b32_e32 v97, 0
	ds_load_b32 v97, v97 offset:124
	s_wait_dscnt 0x0
	v_mul_f32_e32 v96, v96, v97
	scratch_store_b32 off, v96, off offset:124
.LBB109_136:
	s_wait_xcnt 0x0
	s_or_b32 exec_lo, exec_lo, s38
	scratch_load_b32 v96, off, off offset:120
	v_cmp_lt_u32_e64 s0, 30, v0
	s_wait_loadcnt 0x0
	ds_store_b32 v1, v96
	s_wait_storecnt_dscnt 0x0
	s_barrier_signal -1
	s_barrier_wait -1
	s_wait_xcnt 0x0
	s_and_saveexec_b32 s37, s0
	s_cbranch_execz .LBB109_146
; %bb.137:
	s_and_not1_b32 vcc_lo, exec_lo, s3
	s_cbranch_vccnz .LBB109_139
; %bb.138:
	scratch_load_b32 v96, v7, off
	ds_load_b32 v97, v1
	s_wait_loadcnt_dscnt 0x0
	v_mul_f32_e32 v96, v96, v97
	s_cbranch_execz .LBB109_140
	s_branch .LBB109_141
.LBB109_139:
                                        ; implicit-def: $vgpr96
.LBB109_140:
	ds_load_b32 v96, v1
.LBB109_141:
	s_and_saveexec_b32 s38, s1
	s_cbranch_execz .LBB109_145
; %bb.142:
	v_subrev_nc_u32_e32 v97, 31, v0
	s_movk_i32 s39, 0x13c
	s_mov_b32 s1, 0
.LBB109_143:                            ; =>This Inner Loop Header: Depth=1
	scratch_load_b32 v98, off, s36
	v_dual_mov_b32 v99, s39 :: v_dual_add_nc_u32 v97, -1, v97
	s_add_co_i32 s39, s39, 4
	s_wait_xcnt 0x0
	s_add_co_i32 s36, s36, 4
	ds_load_b32 v99, v99
	v_cmp_eq_u32_e32 vcc_lo, 0, v97
	s_or_b32 s1, vcc_lo, s1
	s_wait_loadcnt_dscnt 0x0
	v_fmac_f32_e32 v96, v98, v99
	s_and_not1_b32 exec_lo, exec_lo, s1
	s_cbranch_execnz .LBB109_143
; %bb.144:
	s_or_b32 exec_lo, exec_lo, s1
.LBB109_145:
	s_delay_alu instid0(SALU_CYCLE_1)
	s_or_b32 exec_lo, exec_lo, s38
	v_mov_b32_e32 v97, 0
	ds_load_b32 v97, v97 offset:120
	s_wait_dscnt 0x0
	v_mul_f32_e32 v96, v96, v97
	scratch_store_b32 off, v96, off offset:120
.LBB109_146:
	s_wait_xcnt 0x0
	s_or_b32 exec_lo, exec_lo, s37
	scratch_load_b32 v96, off, off offset:116
	v_cmp_lt_u32_e64 s1, 29, v0
	s_wait_loadcnt 0x0
	ds_store_b32 v1, v96
	s_wait_storecnt_dscnt 0x0
	s_barrier_signal -1
	s_barrier_wait -1
	s_wait_xcnt 0x0
	s_and_saveexec_b32 s36, s1
	s_cbranch_execz .LBB109_156
; %bb.147:
	s_and_not1_b32 vcc_lo, exec_lo, s3
	s_cbranch_vccnz .LBB109_149
; %bb.148:
	scratch_load_b32 v96, v7, off
	ds_load_b32 v97, v1
	s_wait_loadcnt_dscnt 0x0
	v_mul_f32_e32 v96, v96, v97
	s_cbranch_execz .LBB109_150
	s_branch .LBB109_151
.LBB109_149:
                                        ; implicit-def: $vgpr96
.LBB109_150:
	ds_load_b32 v96, v1
.LBB109_151:
	s_and_saveexec_b32 s37, s0
	s_cbranch_execz .LBB109_155
; %bb.152:
	v_subrev_nc_u32_e32 v97, 30, v0
	s_movk_i32 s38, 0x138
	s_mov_b32 s0, 0
.LBB109_153:                            ; =>This Inner Loop Header: Depth=1
	scratch_load_b32 v98, off, s35
	v_dual_mov_b32 v99, s38 :: v_dual_add_nc_u32 v97, -1, v97
	s_add_co_i32 s38, s38, 4
	s_wait_xcnt 0x0
	s_add_co_i32 s35, s35, 4
	ds_load_b32 v99, v99
	v_cmp_eq_u32_e32 vcc_lo, 0, v97
	s_or_b32 s0, vcc_lo, s0
	s_wait_loadcnt_dscnt 0x0
	v_fmac_f32_e32 v96, v98, v99
	s_and_not1_b32 exec_lo, exec_lo, s0
	s_cbranch_execnz .LBB109_153
; %bb.154:
	s_or_b32 exec_lo, exec_lo, s0
.LBB109_155:
	s_delay_alu instid0(SALU_CYCLE_1)
	s_or_b32 exec_lo, exec_lo, s37
	v_mov_b32_e32 v97, 0
	ds_load_b32 v97, v97 offset:116
	s_wait_dscnt 0x0
	v_mul_f32_e32 v96, v96, v97
	scratch_store_b32 off, v96, off offset:116
.LBB109_156:
	s_wait_xcnt 0x0
	s_or_b32 exec_lo, exec_lo, s36
	scratch_load_b32 v96, off, off offset:112
	v_cmp_lt_u32_e64 s0, 28, v0
	s_wait_loadcnt 0x0
	ds_store_b32 v1, v96
	s_wait_storecnt_dscnt 0x0
	s_barrier_signal -1
	s_barrier_wait -1
	s_wait_xcnt 0x0
	s_and_saveexec_b32 s35, s0
	s_cbranch_execz .LBB109_166
; %bb.157:
	s_and_not1_b32 vcc_lo, exec_lo, s3
	s_cbranch_vccnz .LBB109_159
; %bb.158:
	scratch_load_b32 v96, v7, off
	ds_load_b32 v97, v1
	s_wait_loadcnt_dscnt 0x0
	v_mul_f32_e32 v96, v96, v97
	s_cbranch_execz .LBB109_160
	s_branch .LBB109_161
.LBB109_159:
                                        ; implicit-def: $vgpr96
.LBB109_160:
	ds_load_b32 v96, v1
.LBB109_161:
	s_and_saveexec_b32 s36, s1
	s_cbranch_execz .LBB109_165
; %bb.162:
	v_subrev_nc_u32_e32 v97, 29, v0
	s_movk_i32 s37, 0x134
	s_mov_b32 s1, 0
.LBB109_163:                            ; =>This Inner Loop Header: Depth=1
	scratch_load_b32 v98, off, s34
	v_dual_mov_b32 v99, s37 :: v_dual_add_nc_u32 v97, -1, v97
	s_add_co_i32 s37, s37, 4
	s_wait_xcnt 0x0
	s_add_co_i32 s34, s34, 4
	ds_load_b32 v99, v99
	v_cmp_eq_u32_e32 vcc_lo, 0, v97
	s_or_b32 s1, vcc_lo, s1
	s_wait_loadcnt_dscnt 0x0
	v_fmac_f32_e32 v96, v98, v99
	s_and_not1_b32 exec_lo, exec_lo, s1
	s_cbranch_execnz .LBB109_163
; %bb.164:
	s_or_b32 exec_lo, exec_lo, s1
.LBB109_165:
	s_delay_alu instid0(SALU_CYCLE_1)
	s_or_b32 exec_lo, exec_lo, s36
	v_mov_b32_e32 v97, 0
	ds_load_b32 v97, v97 offset:112
	s_wait_dscnt 0x0
	v_mul_f32_e32 v96, v96, v97
	scratch_store_b32 off, v96, off offset:112
.LBB109_166:
	s_wait_xcnt 0x0
	s_or_b32 exec_lo, exec_lo, s35
	scratch_load_b32 v96, off, off offset:108
	v_cmp_lt_u32_e64 s1, 27, v0
	s_wait_loadcnt 0x0
	ds_store_b32 v1, v96
	s_wait_storecnt_dscnt 0x0
	s_barrier_signal -1
	s_barrier_wait -1
	s_wait_xcnt 0x0
	s_and_saveexec_b32 s34, s1
	s_cbranch_execz .LBB109_176
; %bb.167:
	s_and_not1_b32 vcc_lo, exec_lo, s3
	s_cbranch_vccnz .LBB109_169
; %bb.168:
	scratch_load_b32 v96, v7, off
	ds_load_b32 v97, v1
	s_wait_loadcnt_dscnt 0x0
	v_mul_f32_e32 v96, v96, v97
	s_cbranch_execz .LBB109_170
	s_branch .LBB109_171
.LBB109_169:
                                        ; implicit-def: $vgpr96
.LBB109_170:
	ds_load_b32 v96, v1
.LBB109_171:
	s_and_saveexec_b32 s35, s0
	s_cbranch_execz .LBB109_175
; %bb.172:
	v_subrev_nc_u32_e32 v97, 28, v0
	s_movk_i32 s36, 0x130
	s_mov_b32 s0, 0
.LBB109_173:                            ; =>This Inner Loop Header: Depth=1
	scratch_load_b32 v98, off, s33
	v_dual_mov_b32 v99, s36 :: v_dual_add_nc_u32 v97, -1, v97
	s_add_co_i32 s36, s36, 4
	s_wait_xcnt 0x0
	s_add_co_i32 s33, s33, 4
	ds_load_b32 v99, v99
	v_cmp_eq_u32_e32 vcc_lo, 0, v97
	s_or_b32 s0, vcc_lo, s0
	s_wait_loadcnt_dscnt 0x0
	v_fmac_f32_e32 v96, v98, v99
	s_and_not1_b32 exec_lo, exec_lo, s0
	s_cbranch_execnz .LBB109_173
; %bb.174:
	s_or_b32 exec_lo, exec_lo, s0
.LBB109_175:
	s_delay_alu instid0(SALU_CYCLE_1)
	s_or_b32 exec_lo, exec_lo, s35
	v_mov_b32_e32 v97, 0
	ds_load_b32 v97, v97 offset:108
	s_wait_dscnt 0x0
	v_mul_f32_e32 v96, v96, v97
	scratch_store_b32 off, v96, off offset:108
.LBB109_176:
	s_wait_xcnt 0x0
	s_or_b32 exec_lo, exec_lo, s34
	scratch_load_b32 v96, off, off offset:104
	v_cmp_lt_u32_e64 s0, 26, v0
	s_wait_loadcnt 0x0
	ds_store_b32 v1, v96
	s_wait_storecnt_dscnt 0x0
	s_barrier_signal -1
	s_barrier_wait -1
	s_wait_xcnt 0x0
	s_and_saveexec_b32 s33, s0
	s_cbranch_execz .LBB109_186
; %bb.177:
	s_and_not1_b32 vcc_lo, exec_lo, s3
	s_cbranch_vccnz .LBB109_179
; %bb.178:
	scratch_load_b32 v96, v7, off
	ds_load_b32 v97, v1
	s_wait_loadcnt_dscnt 0x0
	v_mul_f32_e32 v96, v96, v97
	s_cbranch_execz .LBB109_180
	s_branch .LBB109_181
.LBB109_179:
                                        ; implicit-def: $vgpr96
.LBB109_180:
	ds_load_b32 v96, v1
.LBB109_181:
	s_and_saveexec_b32 s34, s1
	s_cbranch_execz .LBB109_185
; %bb.182:
	v_subrev_nc_u32_e32 v97, 27, v0
	s_movk_i32 s35, 0x12c
	s_mov_b32 s1, 0
.LBB109_183:                            ; =>This Inner Loop Header: Depth=1
	scratch_load_b32 v98, off, s31
	v_dual_mov_b32 v99, s35 :: v_dual_add_nc_u32 v97, -1, v97
	s_add_co_i32 s35, s35, 4
	s_wait_xcnt 0x0
	s_add_co_i32 s31, s31, 4
	ds_load_b32 v99, v99
	v_cmp_eq_u32_e32 vcc_lo, 0, v97
	s_or_b32 s1, vcc_lo, s1
	s_wait_loadcnt_dscnt 0x0
	v_fmac_f32_e32 v96, v98, v99
	s_and_not1_b32 exec_lo, exec_lo, s1
	s_cbranch_execnz .LBB109_183
; %bb.184:
	s_or_b32 exec_lo, exec_lo, s1
.LBB109_185:
	s_delay_alu instid0(SALU_CYCLE_1)
	s_or_b32 exec_lo, exec_lo, s34
	v_mov_b32_e32 v97, 0
	ds_load_b32 v97, v97 offset:104
	s_wait_dscnt 0x0
	v_mul_f32_e32 v96, v96, v97
	scratch_store_b32 off, v96, off offset:104
.LBB109_186:
	s_wait_xcnt 0x0
	s_or_b32 exec_lo, exec_lo, s33
	scratch_load_b32 v96, off, off offset:100
	v_cmp_lt_u32_e64 s1, 25, v0
	s_wait_loadcnt 0x0
	ds_store_b32 v1, v96
	s_wait_storecnt_dscnt 0x0
	s_barrier_signal -1
	s_barrier_wait -1
	s_wait_xcnt 0x0
	s_and_saveexec_b32 s31, s1
	s_cbranch_execz .LBB109_196
; %bb.187:
	s_and_not1_b32 vcc_lo, exec_lo, s3
	s_cbranch_vccnz .LBB109_189
; %bb.188:
	scratch_load_b32 v96, v7, off
	ds_load_b32 v97, v1
	s_wait_loadcnt_dscnt 0x0
	v_mul_f32_e32 v96, v96, v97
	s_cbranch_execz .LBB109_190
	s_branch .LBB109_191
.LBB109_189:
                                        ; implicit-def: $vgpr96
.LBB109_190:
	ds_load_b32 v96, v1
.LBB109_191:
	s_and_saveexec_b32 s33, s0
	s_cbranch_execz .LBB109_195
; %bb.192:
	v_subrev_nc_u32_e32 v97, 26, v0
	s_movk_i32 s34, 0x128
	s_mov_b32 s0, 0
.LBB109_193:                            ; =>This Inner Loop Header: Depth=1
	scratch_load_b32 v98, off, s30
	v_dual_mov_b32 v99, s34 :: v_dual_add_nc_u32 v97, -1, v97
	s_add_co_i32 s34, s34, 4
	s_wait_xcnt 0x0
	s_add_co_i32 s30, s30, 4
	ds_load_b32 v99, v99
	v_cmp_eq_u32_e32 vcc_lo, 0, v97
	s_or_b32 s0, vcc_lo, s0
	s_wait_loadcnt_dscnt 0x0
	v_fmac_f32_e32 v96, v98, v99
	s_and_not1_b32 exec_lo, exec_lo, s0
	s_cbranch_execnz .LBB109_193
; %bb.194:
	s_or_b32 exec_lo, exec_lo, s0
.LBB109_195:
	s_delay_alu instid0(SALU_CYCLE_1)
	s_or_b32 exec_lo, exec_lo, s33
	v_mov_b32_e32 v97, 0
	ds_load_b32 v97, v97 offset:100
	s_wait_dscnt 0x0
	v_mul_f32_e32 v96, v96, v97
	scratch_store_b32 off, v96, off offset:100
.LBB109_196:
	s_wait_xcnt 0x0
	s_or_b32 exec_lo, exec_lo, s31
	scratch_load_b32 v96, off, off offset:96
	v_cmp_lt_u32_e64 s0, 24, v0
	s_wait_loadcnt 0x0
	ds_store_b32 v1, v96
	s_wait_storecnt_dscnt 0x0
	s_barrier_signal -1
	s_barrier_wait -1
	s_wait_xcnt 0x0
	s_and_saveexec_b32 s30, s0
	s_cbranch_execz .LBB109_206
; %bb.197:
	s_and_not1_b32 vcc_lo, exec_lo, s3
	s_cbranch_vccnz .LBB109_199
; %bb.198:
	scratch_load_b32 v96, v7, off
	ds_load_b32 v97, v1
	s_wait_loadcnt_dscnt 0x0
	v_mul_f32_e32 v96, v96, v97
	s_cbranch_execz .LBB109_200
	s_branch .LBB109_201
.LBB109_199:
                                        ; implicit-def: $vgpr96
.LBB109_200:
	ds_load_b32 v96, v1
.LBB109_201:
	s_and_saveexec_b32 s31, s1
	s_cbranch_execz .LBB109_205
; %bb.202:
	v_subrev_nc_u32_e32 v97, 25, v0
	s_movk_i32 s33, 0x124
	s_mov_b32 s1, 0
.LBB109_203:                            ; =>This Inner Loop Header: Depth=1
	scratch_load_b32 v98, off, s29
	v_dual_mov_b32 v99, s33 :: v_dual_add_nc_u32 v97, -1, v97
	s_add_co_i32 s33, s33, 4
	s_wait_xcnt 0x0
	s_add_co_i32 s29, s29, 4
	ds_load_b32 v99, v99
	v_cmp_eq_u32_e32 vcc_lo, 0, v97
	s_or_b32 s1, vcc_lo, s1
	s_wait_loadcnt_dscnt 0x0
	v_fmac_f32_e32 v96, v98, v99
	s_and_not1_b32 exec_lo, exec_lo, s1
	s_cbranch_execnz .LBB109_203
; %bb.204:
	s_or_b32 exec_lo, exec_lo, s1
.LBB109_205:
	s_delay_alu instid0(SALU_CYCLE_1)
	s_or_b32 exec_lo, exec_lo, s31
	v_mov_b32_e32 v97, 0
	ds_load_b32 v97, v97 offset:96
	s_wait_dscnt 0x0
	v_mul_f32_e32 v96, v96, v97
	scratch_store_b32 off, v96, off offset:96
.LBB109_206:
	s_wait_xcnt 0x0
	s_or_b32 exec_lo, exec_lo, s30
	scratch_load_b32 v96, off, off offset:92
	v_cmp_lt_u32_e64 s1, 23, v0
	s_wait_loadcnt 0x0
	ds_store_b32 v1, v96
	s_wait_storecnt_dscnt 0x0
	s_barrier_signal -1
	s_barrier_wait -1
	s_wait_xcnt 0x0
	s_and_saveexec_b32 s29, s1
	s_cbranch_execz .LBB109_216
; %bb.207:
	s_and_not1_b32 vcc_lo, exec_lo, s3
	s_cbranch_vccnz .LBB109_209
; %bb.208:
	scratch_load_b32 v96, v7, off
	ds_load_b32 v97, v1
	s_wait_loadcnt_dscnt 0x0
	v_mul_f32_e32 v96, v96, v97
	s_cbranch_execz .LBB109_210
	s_branch .LBB109_211
.LBB109_209:
                                        ; implicit-def: $vgpr96
.LBB109_210:
	ds_load_b32 v96, v1
.LBB109_211:
	s_and_saveexec_b32 s30, s0
	s_cbranch_execz .LBB109_215
; %bb.212:
	v_subrev_nc_u32_e32 v97, 24, v0
	s_movk_i32 s31, 0x120
	s_mov_b32 s0, 0
.LBB109_213:                            ; =>This Inner Loop Header: Depth=1
	scratch_load_b32 v98, off, s28
	v_dual_mov_b32 v99, s31 :: v_dual_add_nc_u32 v97, -1, v97
	s_add_co_i32 s31, s31, 4
	s_wait_xcnt 0x0
	s_add_co_i32 s28, s28, 4
	ds_load_b32 v99, v99
	v_cmp_eq_u32_e32 vcc_lo, 0, v97
	s_or_b32 s0, vcc_lo, s0
	s_wait_loadcnt_dscnt 0x0
	v_fmac_f32_e32 v96, v98, v99
	s_and_not1_b32 exec_lo, exec_lo, s0
	s_cbranch_execnz .LBB109_213
; %bb.214:
	s_or_b32 exec_lo, exec_lo, s0
.LBB109_215:
	s_delay_alu instid0(SALU_CYCLE_1)
	s_or_b32 exec_lo, exec_lo, s30
	v_mov_b32_e32 v97, 0
	ds_load_b32 v97, v97 offset:92
	s_wait_dscnt 0x0
	v_mul_f32_e32 v96, v96, v97
	scratch_store_b32 off, v96, off offset:92
.LBB109_216:
	s_wait_xcnt 0x0
	s_or_b32 exec_lo, exec_lo, s29
	scratch_load_b32 v96, off, off offset:88
	v_cmp_lt_u32_e64 s0, 22, v0
	s_wait_loadcnt 0x0
	ds_store_b32 v1, v96
	s_wait_storecnt_dscnt 0x0
	s_barrier_signal -1
	s_barrier_wait -1
	s_wait_xcnt 0x0
	s_and_saveexec_b32 s28, s0
	s_cbranch_execz .LBB109_226
; %bb.217:
	s_and_not1_b32 vcc_lo, exec_lo, s3
	s_cbranch_vccnz .LBB109_219
; %bb.218:
	scratch_load_b32 v96, v7, off
	ds_load_b32 v97, v1
	s_wait_loadcnt_dscnt 0x0
	v_mul_f32_e32 v96, v96, v97
	s_cbranch_execz .LBB109_220
	s_branch .LBB109_221
.LBB109_219:
                                        ; implicit-def: $vgpr96
.LBB109_220:
	ds_load_b32 v96, v1
.LBB109_221:
	s_and_saveexec_b32 s29, s1
	s_cbranch_execz .LBB109_225
; %bb.222:
	v_subrev_nc_u32_e32 v97, 23, v0
	s_movk_i32 s30, 0x11c
	s_mov_b32 s1, 0
.LBB109_223:                            ; =>This Inner Loop Header: Depth=1
	scratch_load_b32 v98, off, s27
	v_dual_mov_b32 v99, s30 :: v_dual_add_nc_u32 v97, -1, v97
	s_add_co_i32 s30, s30, 4
	s_wait_xcnt 0x0
	s_add_co_i32 s27, s27, 4
	ds_load_b32 v99, v99
	v_cmp_eq_u32_e32 vcc_lo, 0, v97
	s_or_b32 s1, vcc_lo, s1
	s_wait_loadcnt_dscnt 0x0
	v_fmac_f32_e32 v96, v98, v99
	s_and_not1_b32 exec_lo, exec_lo, s1
	s_cbranch_execnz .LBB109_223
; %bb.224:
	s_or_b32 exec_lo, exec_lo, s1
.LBB109_225:
	s_delay_alu instid0(SALU_CYCLE_1)
	s_or_b32 exec_lo, exec_lo, s29
	v_mov_b32_e32 v97, 0
	ds_load_b32 v97, v97 offset:88
	s_wait_dscnt 0x0
	v_mul_f32_e32 v96, v96, v97
	scratch_store_b32 off, v96, off offset:88
.LBB109_226:
	s_wait_xcnt 0x0
	s_or_b32 exec_lo, exec_lo, s28
	scratch_load_b32 v96, off, off offset:84
	v_cmp_lt_u32_e64 s1, 21, v0
	s_wait_loadcnt 0x0
	ds_store_b32 v1, v96
	s_wait_storecnt_dscnt 0x0
	s_barrier_signal -1
	s_barrier_wait -1
	s_wait_xcnt 0x0
	s_and_saveexec_b32 s27, s1
	s_cbranch_execz .LBB109_236
; %bb.227:
	s_and_not1_b32 vcc_lo, exec_lo, s3
	s_cbranch_vccnz .LBB109_229
; %bb.228:
	scratch_load_b32 v96, v7, off
	ds_load_b32 v97, v1
	s_wait_loadcnt_dscnt 0x0
	v_mul_f32_e32 v96, v96, v97
	s_cbranch_execz .LBB109_230
	s_branch .LBB109_231
.LBB109_229:
                                        ; implicit-def: $vgpr96
.LBB109_230:
	ds_load_b32 v96, v1
.LBB109_231:
	s_and_saveexec_b32 s28, s0
	s_cbranch_execz .LBB109_235
; %bb.232:
	v_subrev_nc_u32_e32 v97, 22, v0
	s_movk_i32 s29, 0x118
	s_mov_b32 s0, 0
.LBB109_233:                            ; =>This Inner Loop Header: Depth=1
	scratch_load_b32 v98, off, s26
	v_dual_mov_b32 v99, s29 :: v_dual_add_nc_u32 v97, -1, v97
	s_add_co_i32 s29, s29, 4
	s_wait_xcnt 0x0
	s_add_co_i32 s26, s26, 4
	ds_load_b32 v99, v99
	v_cmp_eq_u32_e32 vcc_lo, 0, v97
	s_or_b32 s0, vcc_lo, s0
	s_wait_loadcnt_dscnt 0x0
	v_fmac_f32_e32 v96, v98, v99
	s_and_not1_b32 exec_lo, exec_lo, s0
	s_cbranch_execnz .LBB109_233
; %bb.234:
	s_or_b32 exec_lo, exec_lo, s0
.LBB109_235:
	s_delay_alu instid0(SALU_CYCLE_1)
	s_or_b32 exec_lo, exec_lo, s28
	v_mov_b32_e32 v97, 0
	ds_load_b32 v97, v97 offset:84
	s_wait_dscnt 0x0
	v_mul_f32_e32 v96, v96, v97
	scratch_store_b32 off, v96, off offset:84
.LBB109_236:
	s_wait_xcnt 0x0
	s_or_b32 exec_lo, exec_lo, s27
	scratch_load_b32 v96, off, off offset:80
	v_cmp_lt_u32_e64 s0, 20, v0
	s_wait_loadcnt 0x0
	ds_store_b32 v1, v96
	s_wait_storecnt_dscnt 0x0
	s_barrier_signal -1
	s_barrier_wait -1
	s_wait_xcnt 0x0
	s_and_saveexec_b32 s26, s0
	s_cbranch_execz .LBB109_246
; %bb.237:
	s_and_not1_b32 vcc_lo, exec_lo, s3
	s_cbranch_vccnz .LBB109_239
; %bb.238:
	scratch_load_b32 v96, v7, off
	ds_load_b32 v97, v1
	s_wait_loadcnt_dscnt 0x0
	v_mul_f32_e32 v96, v96, v97
	s_cbranch_execz .LBB109_240
	s_branch .LBB109_241
.LBB109_239:
                                        ; implicit-def: $vgpr96
.LBB109_240:
	ds_load_b32 v96, v1
.LBB109_241:
	s_and_saveexec_b32 s27, s1
	s_cbranch_execz .LBB109_245
; %bb.242:
	v_subrev_nc_u32_e32 v97, 21, v0
	s_movk_i32 s28, 0x114
	s_mov_b32 s1, 0
.LBB109_243:                            ; =>This Inner Loop Header: Depth=1
	scratch_load_b32 v98, off, s25
	v_dual_mov_b32 v99, s28 :: v_dual_add_nc_u32 v97, -1, v97
	s_add_co_i32 s28, s28, 4
	s_wait_xcnt 0x0
	s_add_co_i32 s25, s25, 4
	ds_load_b32 v99, v99
	v_cmp_eq_u32_e32 vcc_lo, 0, v97
	s_or_b32 s1, vcc_lo, s1
	s_wait_loadcnt_dscnt 0x0
	v_fmac_f32_e32 v96, v98, v99
	s_and_not1_b32 exec_lo, exec_lo, s1
	s_cbranch_execnz .LBB109_243
; %bb.244:
	s_or_b32 exec_lo, exec_lo, s1
.LBB109_245:
	s_delay_alu instid0(SALU_CYCLE_1)
	s_or_b32 exec_lo, exec_lo, s27
	v_mov_b32_e32 v97, 0
	ds_load_b32 v97, v97 offset:80
	s_wait_dscnt 0x0
	v_mul_f32_e32 v96, v96, v97
	scratch_store_b32 off, v96, off offset:80
.LBB109_246:
	s_wait_xcnt 0x0
	s_or_b32 exec_lo, exec_lo, s26
	scratch_load_b32 v96, off, off offset:76
	v_cmp_lt_u32_e64 s1, 19, v0
	s_wait_loadcnt 0x0
	ds_store_b32 v1, v96
	s_wait_storecnt_dscnt 0x0
	s_barrier_signal -1
	s_barrier_wait -1
	s_wait_xcnt 0x0
	s_and_saveexec_b32 s25, s1
	s_cbranch_execz .LBB109_256
; %bb.247:
	s_and_not1_b32 vcc_lo, exec_lo, s3
	s_cbranch_vccnz .LBB109_249
; %bb.248:
	scratch_load_b32 v96, v7, off
	ds_load_b32 v97, v1
	s_wait_loadcnt_dscnt 0x0
	v_mul_f32_e32 v96, v96, v97
	s_cbranch_execz .LBB109_250
	s_branch .LBB109_251
.LBB109_249:
                                        ; implicit-def: $vgpr96
.LBB109_250:
	ds_load_b32 v96, v1
.LBB109_251:
	s_and_saveexec_b32 s26, s0
	s_cbranch_execz .LBB109_255
; %bb.252:
	v_subrev_nc_u32_e32 v97, 20, v0
	s_movk_i32 s27, 0x110
	s_mov_b32 s0, 0
.LBB109_253:                            ; =>This Inner Loop Header: Depth=1
	scratch_load_b32 v98, off, s24
	v_dual_mov_b32 v99, s27 :: v_dual_add_nc_u32 v97, -1, v97
	s_add_co_i32 s27, s27, 4
	s_wait_xcnt 0x0
	s_add_co_i32 s24, s24, 4
	ds_load_b32 v99, v99
	v_cmp_eq_u32_e32 vcc_lo, 0, v97
	s_or_b32 s0, vcc_lo, s0
	s_wait_loadcnt_dscnt 0x0
	v_fmac_f32_e32 v96, v98, v99
	s_and_not1_b32 exec_lo, exec_lo, s0
	s_cbranch_execnz .LBB109_253
; %bb.254:
	s_or_b32 exec_lo, exec_lo, s0
.LBB109_255:
	s_delay_alu instid0(SALU_CYCLE_1)
	s_or_b32 exec_lo, exec_lo, s26
	v_mov_b32_e32 v97, 0
	ds_load_b32 v97, v97 offset:76
	s_wait_dscnt 0x0
	v_mul_f32_e32 v96, v96, v97
	scratch_store_b32 off, v96, off offset:76
.LBB109_256:
	s_wait_xcnt 0x0
	s_or_b32 exec_lo, exec_lo, s25
	scratch_load_b32 v96, off, off offset:72
	v_cmp_lt_u32_e64 s0, 18, v0
	s_wait_loadcnt 0x0
	ds_store_b32 v1, v96
	s_wait_storecnt_dscnt 0x0
	s_barrier_signal -1
	s_barrier_wait -1
	s_wait_xcnt 0x0
	s_and_saveexec_b32 s24, s0
	s_cbranch_execz .LBB109_266
; %bb.257:
	s_and_not1_b32 vcc_lo, exec_lo, s3
	s_cbranch_vccnz .LBB109_259
; %bb.258:
	scratch_load_b32 v96, v7, off
	ds_load_b32 v97, v1
	s_wait_loadcnt_dscnt 0x0
	v_mul_f32_e32 v96, v96, v97
	s_cbranch_execz .LBB109_260
	s_branch .LBB109_261
.LBB109_259:
                                        ; implicit-def: $vgpr96
.LBB109_260:
	ds_load_b32 v96, v1
.LBB109_261:
	s_and_saveexec_b32 s25, s1
	s_cbranch_execz .LBB109_265
; %bb.262:
	v_subrev_nc_u32_e32 v97, 19, v0
	s_movk_i32 s26, 0x10c
	s_mov_b32 s1, 0
.LBB109_263:                            ; =>This Inner Loop Header: Depth=1
	scratch_load_b32 v98, off, s23
	v_dual_mov_b32 v99, s26 :: v_dual_add_nc_u32 v97, -1, v97
	s_add_co_i32 s26, s26, 4
	s_wait_xcnt 0x0
	s_add_co_i32 s23, s23, 4
	ds_load_b32 v99, v99
	v_cmp_eq_u32_e32 vcc_lo, 0, v97
	s_or_b32 s1, vcc_lo, s1
	s_wait_loadcnt_dscnt 0x0
	v_fmac_f32_e32 v96, v98, v99
	s_and_not1_b32 exec_lo, exec_lo, s1
	s_cbranch_execnz .LBB109_263
; %bb.264:
	s_or_b32 exec_lo, exec_lo, s1
.LBB109_265:
	s_delay_alu instid0(SALU_CYCLE_1)
	s_or_b32 exec_lo, exec_lo, s25
	v_mov_b32_e32 v97, 0
	ds_load_b32 v97, v97 offset:72
	s_wait_dscnt 0x0
	v_mul_f32_e32 v96, v96, v97
	scratch_store_b32 off, v96, off offset:72
.LBB109_266:
	s_wait_xcnt 0x0
	s_or_b32 exec_lo, exec_lo, s24
	scratch_load_b32 v96, off, off offset:68
	v_cmp_lt_u32_e64 s1, 17, v0
	s_wait_loadcnt 0x0
	ds_store_b32 v1, v96
	s_wait_storecnt_dscnt 0x0
	s_barrier_signal -1
	s_barrier_wait -1
	s_wait_xcnt 0x0
	s_and_saveexec_b32 s23, s1
	s_cbranch_execz .LBB109_276
; %bb.267:
	s_and_not1_b32 vcc_lo, exec_lo, s3
	s_cbranch_vccnz .LBB109_269
; %bb.268:
	scratch_load_b32 v96, v7, off
	ds_load_b32 v97, v1
	s_wait_loadcnt_dscnt 0x0
	v_mul_f32_e32 v96, v96, v97
	s_cbranch_execz .LBB109_270
	s_branch .LBB109_271
.LBB109_269:
                                        ; implicit-def: $vgpr96
.LBB109_270:
	ds_load_b32 v96, v1
.LBB109_271:
	s_and_saveexec_b32 s24, s0
	s_cbranch_execz .LBB109_275
; %bb.272:
	v_subrev_nc_u32_e32 v97, 18, v0
	s_movk_i32 s25, 0x108
	s_mov_b32 s0, 0
.LBB109_273:                            ; =>This Inner Loop Header: Depth=1
	scratch_load_b32 v98, off, s22
	v_dual_mov_b32 v99, s25 :: v_dual_add_nc_u32 v97, -1, v97
	s_add_co_i32 s25, s25, 4
	s_wait_xcnt 0x0
	s_add_co_i32 s22, s22, 4
	ds_load_b32 v99, v99
	v_cmp_eq_u32_e32 vcc_lo, 0, v97
	s_or_b32 s0, vcc_lo, s0
	s_wait_loadcnt_dscnt 0x0
	v_fmac_f32_e32 v96, v98, v99
	s_and_not1_b32 exec_lo, exec_lo, s0
	s_cbranch_execnz .LBB109_273
; %bb.274:
	s_or_b32 exec_lo, exec_lo, s0
.LBB109_275:
	s_delay_alu instid0(SALU_CYCLE_1)
	s_or_b32 exec_lo, exec_lo, s24
	v_mov_b32_e32 v97, 0
	ds_load_b32 v97, v97 offset:68
	s_wait_dscnt 0x0
	v_mul_f32_e32 v96, v96, v97
	scratch_store_b32 off, v96, off offset:68
.LBB109_276:
	s_wait_xcnt 0x0
	s_or_b32 exec_lo, exec_lo, s23
	scratch_load_b32 v96, off, off offset:64
	v_cmp_lt_u32_e64 s0, 16, v0
	s_wait_loadcnt 0x0
	ds_store_b32 v1, v96
	s_wait_storecnt_dscnt 0x0
	s_barrier_signal -1
	s_barrier_wait -1
	s_wait_xcnt 0x0
	s_and_saveexec_b32 s22, s0
	s_cbranch_execz .LBB109_286
; %bb.277:
	s_and_not1_b32 vcc_lo, exec_lo, s3
	s_cbranch_vccnz .LBB109_279
; %bb.278:
	scratch_load_b32 v96, v7, off
	ds_load_b32 v97, v1
	s_wait_loadcnt_dscnt 0x0
	v_mul_f32_e32 v96, v96, v97
	s_cbranch_execz .LBB109_280
	s_branch .LBB109_281
.LBB109_279:
                                        ; implicit-def: $vgpr96
.LBB109_280:
	ds_load_b32 v96, v1
.LBB109_281:
	s_and_saveexec_b32 s23, s1
	s_cbranch_execz .LBB109_285
; %bb.282:
	v_subrev_nc_u32_e32 v97, 17, v0
	s_movk_i32 s24, 0x104
	s_mov_b32 s1, 0
.LBB109_283:                            ; =>This Inner Loop Header: Depth=1
	scratch_load_b32 v98, off, s21
	v_dual_mov_b32 v99, s24 :: v_dual_add_nc_u32 v97, -1, v97
	s_add_co_i32 s24, s24, 4
	s_wait_xcnt 0x0
	s_add_co_i32 s21, s21, 4
	ds_load_b32 v99, v99
	v_cmp_eq_u32_e32 vcc_lo, 0, v97
	s_or_b32 s1, vcc_lo, s1
	s_wait_loadcnt_dscnt 0x0
	v_fmac_f32_e32 v96, v98, v99
	s_and_not1_b32 exec_lo, exec_lo, s1
	s_cbranch_execnz .LBB109_283
; %bb.284:
	s_or_b32 exec_lo, exec_lo, s1
.LBB109_285:
	s_delay_alu instid0(SALU_CYCLE_1)
	s_or_b32 exec_lo, exec_lo, s23
	v_mov_b32_e32 v97, 0
	ds_load_b32 v97, v97 offset:64
	s_wait_dscnt 0x0
	v_mul_f32_e32 v96, v96, v97
	scratch_store_b32 off, v96, off offset:64
.LBB109_286:
	s_wait_xcnt 0x0
	s_or_b32 exec_lo, exec_lo, s22
	scratch_load_b32 v96, off, off offset:60
	v_cmp_lt_u32_e64 s1, 15, v0
	s_wait_loadcnt 0x0
	ds_store_b32 v1, v96
	s_wait_storecnt_dscnt 0x0
	s_barrier_signal -1
	s_barrier_wait -1
	s_wait_xcnt 0x0
	s_and_saveexec_b32 s21, s1
	s_cbranch_execz .LBB109_296
; %bb.287:
	s_and_not1_b32 vcc_lo, exec_lo, s3
	s_cbranch_vccnz .LBB109_289
; %bb.288:
	scratch_load_b32 v96, v7, off
	ds_load_b32 v97, v1
	s_wait_loadcnt_dscnt 0x0
	v_mul_f32_e32 v96, v96, v97
	s_cbranch_execz .LBB109_290
	s_branch .LBB109_291
.LBB109_289:
                                        ; implicit-def: $vgpr96
.LBB109_290:
	ds_load_b32 v96, v1
.LBB109_291:
	s_and_saveexec_b32 s22, s0
	s_cbranch_execz .LBB109_295
; %bb.292:
	v_add_nc_u32_e32 v97, -16, v0
	s_movk_i32 s23, 0x100
	s_mov_b32 s0, 0
.LBB109_293:                            ; =>This Inner Loop Header: Depth=1
	scratch_load_b32 v98, off, s20
	v_dual_mov_b32 v99, s23 :: v_dual_add_nc_u32 v97, -1, v97
	s_add_co_i32 s23, s23, 4
	s_wait_xcnt 0x0
	s_add_co_i32 s20, s20, 4
	ds_load_b32 v99, v99
	v_cmp_eq_u32_e32 vcc_lo, 0, v97
	s_or_b32 s0, vcc_lo, s0
	s_wait_loadcnt_dscnt 0x0
	v_fmac_f32_e32 v96, v98, v99
	s_and_not1_b32 exec_lo, exec_lo, s0
	s_cbranch_execnz .LBB109_293
; %bb.294:
	s_or_b32 exec_lo, exec_lo, s0
.LBB109_295:
	s_delay_alu instid0(SALU_CYCLE_1)
	s_or_b32 exec_lo, exec_lo, s22
	v_mov_b32_e32 v97, 0
	ds_load_b32 v97, v97 offset:60
	s_wait_dscnt 0x0
	v_mul_f32_e32 v96, v96, v97
	scratch_store_b32 off, v96, off offset:60
.LBB109_296:
	s_wait_xcnt 0x0
	s_or_b32 exec_lo, exec_lo, s21
	scratch_load_b32 v96, off, off offset:56
	v_cmp_lt_u32_e64 s0, 14, v0
	s_wait_loadcnt 0x0
	ds_store_b32 v1, v96
	s_wait_storecnt_dscnt 0x0
	s_barrier_signal -1
	s_barrier_wait -1
	s_wait_xcnt 0x0
	s_and_saveexec_b32 s20, s0
	s_cbranch_execz .LBB109_306
; %bb.297:
	s_and_not1_b32 vcc_lo, exec_lo, s3
	s_cbranch_vccnz .LBB109_299
; %bb.298:
	scratch_load_b32 v96, v7, off
	ds_load_b32 v97, v1
	s_wait_loadcnt_dscnt 0x0
	v_mul_f32_e32 v96, v96, v97
	s_cbranch_execz .LBB109_300
	s_branch .LBB109_301
.LBB109_299:
                                        ; implicit-def: $vgpr96
.LBB109_300:
	ds_load_b32 v96, v1
.LBB109_301:
	s_and_saveexec_b32 s21, s1
	s_cbranch_execz .LBB109_305
; %bb.302:
	v_add_nc_u32_e32 v97, -15, v0
	s_movk_i32 s22, 0xfc
	s_mov_b32 s1, 0
.LBB109_303:                            ; =>This Inner Loop Header: Depth=1
	scratch_load_b32 v98, off, s19
	v_dual_mov_b32 v99, s22 :: v_dual_add_nc_u32 v97, -1, v97
	s_add_co_i32 s22, s22, 4
	s_wait_xcnt 0x0
	s_add_co_i32 s19, s19, 4
	ds_load_b32 v99, v99
	v_cmp_eq_u32_e32 vcc_lo, 0, v97
	s_or_b32 s1, vcc_lo, s1
	s_wait_loadcnt_dscnt 0x0
	v_fmac_f32_e32 v96, v98, v99
	s_and_not1_b32 exec_lo, exec_lo, s1
	s_cbranch_execnz .LBB109_303
; %bb.304:
	s_or_b32 exec_lo, exec_lo, s1
.LBB109_305:
	s_delay_alu instid0(SALU_CYCLE_1)
	s_or_b32 exec_lo, exec_lo, s21
	v_mov_b32_e32 v97, 0
	ds_load_b32 v97, v97 offset:56
	s_wait_dscnt 0x0
	v_mul_f32_e32 v96, v96, v97
	scratch_store_b32 off, v96, off offset:56
.LBB109_306:
	;; [unrolled: 57-line block ×15, first 2 shown]
	s_wait_xcnt 0x0
	s_or_b32 exec_lo, exec_lo, s1
	scratch_load_b32 v96, off, off
	s_mov_b32 s2, 0
	s_mov_b32 s1, exec_lo
	s_wait_loadcnt 0x0
	ds_store_b32 v1, v96
	s_wait_storecnt_dscnt 0x0
	s_barrier_signal -1
	s_barrier_wait -1
	s_wait_xcnt 0x0
	v_cmpx_ne_u32_e32 0, v0
	s_cbranch_execz .LBB109_446
; %bb.437:
	s_and_not1_b32 vcc_lo, exec_lo, s3
	s_cbranch_vccnz .LBB109_439
; %bb.438:
	scratch_load_b32 v96, v7, off
	ds_load_b32 v97, v1
	s_wait_loadcnt_dscnt 0x0
	v_mul_f32_e32 v96, v96, v97
	s_cbranch_execz .LBB109_440
	s_branch .LBB109_441
.LBB109_439:
                                        ; implicit-def: $vgpr96
.LBB109_440:
	ds_load_b32 v96, v1
.LBB109_441:
	s_and_saveexec_b32 s5, s0
	s_cbranch_execz .LBB109_445
; %bb.442:
	v_add_nc_u32_e32 v97, -1, v0
	s_movk_i32 s8, 0xc4
	s_mov_b32 s0, 0
.LBB109_443:                            ; =>This Inner Loop Header: Depth=1
	scratch_load_b32 v98, off, s4
	v_dual_mov_b32 v99, s8 :: v_dual_add_nc_u32 v97, -1, v97
	s_add_co_i32 s8, s8, 4
	s_wait_xcnt 0x0
	s_add_co_i32 s4, s4, 4
	ds_load_b32 v99, v99
	v_cmp_eq_u32_e32 vcc_lo, 0, v97
	s_or_b32 s0, vcc_lo, s0
	s_wait_loadcnt_dscnt 0x0
	v_fmac_f32_e32 v96, v98, v99
	s_and_not1_b32 exec_lo, exec_lo, s0
	s_cbranch_execnz .LBB109_443
; %bb.444:
	s_or_b32 exec_lo, exec_lo, s0
.LBB109_445:
	s_delay_alu instid0(SALU_CYCLE_1)
	s_or_b32 exec_lo, exec_lo, s5
	v_mov_b32_e32 v97, 0
	ds_load_b32 v97, v97
	s_wait_dscnt 0x0
	v_mul_f32_e32 v96, v96, v97
	scratch_store_b32 off, v96, off
.LBB109_446:
	s_wait_xcnt 0x0
	s_or_b32 exec_lo, exec_lo, s1
.LBB109_447:
	v_lshl_add_u64 v[138:139], v[8:9], 2, s[6:7]
	v_lshl_add_u64 v[136:137], v[10:11], 2, s[6:7]
	;; [unrolled: 1-line block ×44, first 2 shown]
	s_and_b32 vcc_lo, exec_lo, s2
	s_cbranch_vccz .LBB109_889
; %bb.448:
	scratch_load_b32 v52, off, off offset:4
	v_cmp_eq_u32_e64 s0, 0, v0
	s_wait_loadcnt 0x0
	ds_store_b32 v1, v52
	s_wait_storecnt_dscnt 0x0
	s_barrier_signal -1
	s_barrier_wait -1
	s_wait_xcnt 0x0
	s_and_saveexec_b32 s1, s0
	s_cbranch_execz .LBB109_454
; %bb.449:
	s_and_b32 vcc_lo, exec_lo, s3
	s_cbranch_vccz .LBB109_451
; %bb.450:
	scratch_load_b32 v52, v7, off
	ds_load_b32 v53, v1
	s_wait_loadcnt_dscnt 0x0
	v_mul_f32_e32 v52, v52, v53
	s_cbranch_execz .LBB109_452
	s_branch .LBB109_453
.LBB109_451:
                                        ; implicit-def: $vgpr52
.LBB109_452:
	ds_load_b32 v52, v1
.LBB109_453:
	v_mov_b32_e32 v53, 0
	ds_load_b32 v53, v53 offset:4
	s_wait_dscnt 0x0
	v_mul_f32_e32 v52, v52, v53
	scratch_store_b32 off, v52, off offset:4
.LBB109_454:
	s_wait_xcnt 0x0
	s_or_b32 exec_lo, exec_lo, s1
	scratch_load_b32 v53, off, off offset:8
	v_cndmask_b32_e64 v52, 0, 1, s3
	s_mov_b32 s1, exec_lo
	s_wait_loadcnt 0x0
	ds_store_b32 v1, v53
	s_wait_storecnt_dscnt 0x0
	s_barrier_signal -1
	s_barrier_wait -1
	s_wait_xcnt 0x0
	v_cmpx_gt_u32_e32 2, v0
	s_cbranch_execz .LBB109_460
; %bb.455:
	s_and_not1_b32 vcc_lo, exec_lo, s3
	s_cbranch_vccnz .LBB109_457
; %bb.456:
	scratch_load_b32 v53, v7, off
	ds_load_b32 v54, v1
	s_wait_loadcnt_dscnt 0x0
	v_mul_f32_e32 v53, v53, v54
	s_cbranch_execz .LBB109_458
	s_branch .LBB109_459
.LBB109_457:
                                        ; implicit-def: $vgpr53
.LBB109_458:
	ds_load_b32 v53, v1
.LBB109_459:
	scratch_load_b32 v56, off, off offset:4
	v_mov_b32_e32 v54, 0
	ds_load_2addr_b32 v[54:55], v54 offset0:2 offset1:49
	s_wait_loadcnt_dscnt 0x0
	v_fma_f32 v55, v56, v55, v53
	s_delay_alu instid0(VALU_DEP_1) | instskip(NEXT) | instid1(VALU_DEP_1)
	v_cndmask_b32_e64 v53, v53, v55, s0
	v_mul_f32_e32 v53, v53, v54
	scratch_store_b32 off, v53, off offset:8
.LBB109_460:
	s_wait_xcnt 0x0
	s_or_b32 exec_lo, exec_lo, s1
	scratch_load_b32 v53, off, off offset:12
	s_mov_b32 s1, exec_lo
	s_wait_loadcnt 0x0
	ds_store_b32 v1, v53
	s_wait_storecnt_dscnt 0x0
	s_barrier_signal -1
	s_barrier_wait -1
	s_wait_xcnt 0x0
	v_cmpx_gt_u32_e32 3, v0
	s_cbranch_execz .LBB109_468
; %bb.461:
	v_cmp_ne_u32_e32 vcc_lo, 1, v52
	s_cbranch_vccnz .LBB109_463
; %bb.462:
	scratch_load_b32 v53, v7, off
	ds_load_b32 v54, v1
	s_wait_loadcnt_dscnt 0x0
	v_mul_f32_e32 v53, v53, v54
	s_cbranch_execz .LBB109_464
	s_branch .LBB109_465
.LBB109_463:
                                        ; implicit-def: $vgpr53
.LBB109_464:
	ds_load_b32 v53, v1
.LBB109_465:
	s_mov_b32 s2, exec_lo
	v_cmpx_ne_u32_e32 2, v0
	s_cbranch_execz .LBB109_467
; %bb.466:
	scratch_load_b32 v54, v7, off offset:4
	scratch_load_b32 v55, off, off offset:8
	ds_load_b32 v56, v1 offset:4
	v_mov_b32_e32 v57, 0
	ds_load_b32 v57, v57 offset:200
	s_wait_loadcnt_dscnt 0x101
	v_fmac_f32_e32 v53, v54, v56
	s_wait_loadcnt_dscnt 0x0
	s_delay_alu instid0(VALU_DEP_1) | instskip(NEXT) | instid1(VALU_DEP_1)
	v_fma_f32 v54, v55, v57, v53
	v_cndmask_b32_e64 v53, v53, v54, s0
.LBB109_467:
	s_or_b32 exec_lo, exec_lo, s2
	v_mov_b32_e32 v54, 0
	ds_load_b32 v54, v54 offset:12
	s_wait_dscnt 0x0
	v_mul_f32_e32 v53, v53, v54
	scratch_store_b32 off, v53, off offset:12
.LBB109_468:
	s_wait_xcnt 0x0
	s_or_b32 exec_lo, exec_lo, s1
	scratch_load_b32 v53, off, off offset:16
	s_mov_b32 s0, exec_lo
	s_wait_loadcnt 0x0
	ds_store_b32 v1, v53
	s_wait_storecnt_dscnt 0x0
	s_barrier_signal -1
	s_barrier_wait -1
	s_wait_xcnt 0x0
	v_cmpx_gt_u32_e32 4, v0
	s_cbranch_execz .LBB109_478
; %bb.469:
	v_cmp_ne_u32_e32 vcc_lo, 1, v52
	s_cbranch_vccnz .LBB109_471
; %bb.470:
	scratch_load_b32 v53, v7, off
	ds_load_b32 v54, v1
	s_wait_loadcnt_dscnt 0x0
	v_mul_f32_e32 v53, v53, v54
	s_cbranch_execz .LBB109_472
	s_branch .LBB109_473
.LBB109_471:
                                        ; implicit-def: $vgpr53
.LBB109_472:
	ds_load_b32 v53, v1
.LBB109_473:
	s_mov_b32 s1, exec_lo
	v_cmpx_ne_u32_e32 3, v0
	s_cbranch_execz .LBB109_477
; %bb.474:
	v_add_nc_u32_e32 v54, 0xc4, v6
	v_add3_u32 v55, 0, v6, 4
	v_mov_b32_e32 v56, v0
	s_mov_b32 s2, 0
.LBB109_475:                            ; =>This Inner Loop Header: Depth=1
	scratch_load_b32 v57, v55, off
	ds_load_b32 v58, v54
	v_dual_add_nc_u32 v56, 1, v56 :: v_dual_add_nc_u32 v54, 4, v54
	s_wait_xcnt 0x0
	v_add_nc_u32_e32 v55, 4, v55
	s_delay_alu instid0(VALU_DEP_2)
	v_cmp_lt_u32_e32 vcc_lo, 2, v56
	s_or_b32 s2, vcc_lo, s2
	s_wait_loadcnt_dscnt 0x0
	v_fmac_f32_e32 v53, v57, v58
	s_and_not1_b32 exec_lo, exec_lo, s2
	s_cbranch_execnz .LBB109_475
; %bb.476:
	s_or_b32 exec_lo, exec_lo, s2
.LBB109_477:
	s_delay_alu instid0(SALU_CYCLE_1)
	s_or_b32 exec_lo, exec_lo, s1
	v_mov_b32_e32 v54, 0
	ds_load_b32 v54, v54 offset:16
	s_wait_dscnt 0x0
	v_mul_f32_e32 v53, v53, v54
	scratch_store_b32 off, v53, off offset:16
.LBB109_478:
	s_wait_xcnt 0x0
	s_or_b32 exec_lo, exec_lo, s0
	scratch_load_b32 v53, off, off offset:20
	s_mov_b32 s0, exec_lo
	s_wait_loadcnt 0x0
	ds_store_b32 v1, v53
	s_wait_storecnt_dscnt 0x0
	s_barrier_signal -1
	s_barrier_wait -1
	s_wait_xcnt 0x0
	v_cmpx_gt_u32_e32 5, v0
	s_cbranch_execz .LBB109_488
; %bb.479:
	v_cmp_ne_u32_e32 vcc_lo, 1, v52
	s_cbranch_vccnz .LBB109_481
; %bb.480:
	scratch_load_b32 v53, v7, off
	ds_load_b32 v54, v1
	s_wait_loadcnt_dscnt 0x0
	v_mul_f32_e32 v53, v53, v54
	s_cbranch_execz .LBB109_482
	s_branch .LBB109_483
.LBB109_481:
                                        ; implicit-def: $vgpr53
.LBB109_482:
	ds_load_b32 v53, v1
.LBB109_483:
	s_mov_b32 s1, exec_lo
	v_cmpx_ne_u32_e32 4, v0
	s_cbranch_execz .LBB109_487
; %bb.484:
	v_add_nc_u32_e32 v54, 0xc4, v6
	v_add3_u32 v55, 0, v6, 4
	v_mov_b32_e32 v56, v0
	s_mov_b32 s2, 0
.LBB109_485:                            ; =>This Inner Loop Header: Depth=1
	scratch_load_b32 v57, v55, off
	ds_load_b32 v58, v54
	v_dual_add_nc_u32 v56, 1, v56 :: v_dual_add_nc_u32 v54, 4, v54
	s_wait_xcnt 0x0
	v_add_nc_u32_e32 v55, 4, v55
	s_delay_alu instid0(VALU_DEP_2)
	v_cmp_lt_u32_e32 vcc_lo, 3, v56
	s_or_b32 s2, vcc_lo, s2
	s_wait_loadcnt_dscnt 0x0
	v_fmac_f32_e32 v53, v57, v58
	s_and_not1_b32 exec_lo, exec_lo, s2
	s_cbranch_execnz .LBB109_485
; %bb.486:
	s_or_b32 exec_lo, exec_lo, s2
.LBB109_487:
	s_delay_alu instid0(SALU_CYCLE_1)
	s_or_b32 exec_lo, exec_lo, s1
	v_mov_b32_e32 v54, 0
	ds_load_b32 v54, v54 offset:20
	s_wait_dscnt 0x0
	v_mul_f32_e32 v53, v53, v54
	scratch_store_b32 off, v53, off offset:20
.LBB109_488:
	s_wait_xcnt 0x0
	s_or_b32 exec_lo, exec_lo, s0
	scratch_load_b32 v53, off, off offset:24
	s_mov_b32 s0, exec_lo
	s_wait_loadcnt 0x0
	ds_store_b32 v1, v53
	s_wait_storecnt_dscnt 0x0
	s_barrier_signal -1
	s_barrier_wait -1
	s_wait_xcnt 0x0
	v_cmpx_gt_u32_e32 6, v0
	s_cbranch_execz .LBB109_498
; %bb.489:
	v_cmp_ne_u32_e32 vcc_lo, 1, v52
	s_cbranch_vccnz .LBB109_491
; %bb.490:
	scratch_load_b32 v53, v7, off
	ds_load_b32 v54, v1
	s_wait_loadcnt_dscnt 0x0
	v_mul_f32_e32 v53, v53, v54
	s_cbranch_execz .LBB109_492
	s_branch .LBB109_493
.LBB109_491:
                                        ; implicit-def: $vgpr53
.LBB109_492:
	ds_load_b32 v53, v1
.LBB109_493:
	s_mov_b32 s1, exec_lo
	v_cmpx_ne_u32_e32 5, v0
	s_cbranch_execz .LBB109_497
; %bb.494:
	v_add_nc_u32_e32 v54, 0xc4, v6
	v_add3_u32 v55, 0, v6, 4
	v_mov_b32_e32 v56, v0
	s_mov_b32 s2, 0
.LBB109_495:                            ; =>This Inner Loop Header: Depth=1
	scratch_load_b32 v57, v55, off
	ds_load_b32 v58, v54
	v_dual_add_nc_u32 v56, 1, v56 :: v_dual_add_nc_u32 v54, 4, v54
	s_wait_xcnt 0x0
	v_add_nc_u32_e32 v55, 4, v55
	s_delay_alu instid0(VALU_DEP_2)
	v_cmp_lt_u32_e32 vcc_lo, 4, v56
	s_or_b32 s2, vcc_lo, s2
	s_wait_loadcnt_dscnt 0x0
	v_fmac_f32_e32 v53, v57, v58
	s_and_not1_b32 exec_lo, exec_lo, s2
	s_cbranch_execnz .LBB109_495
; %bb.496:
	s_or_b32 exec_lo, exec_lo, s2
.LBB109_497:
	s_delay_alu instid0(SALU_CYCLE_1)
	s_or_b32 exec_lo, exec_lo, s1
	v_mov_b32_e32 v54, 0
	ds_load_b32 v54, v54 offset:24
	s_wait_dscnt 0x0
	v_mul_f32_e32 v53, v53, v54
	scratch_store_b32 off, v53, off offset:24
.LBB109_498:
	s_wait_xcnt 0x0
	s_or_b32 exec_lo, exec_lo, s0
	scratch_load_b32 v53, off, off offset:28
	s_mov_b32 s0, exec_lo
	s_wait_loadcnt 0x0
	ds_store_b32 v1, v53
	s_wait_storecnt_dscnt 0x0
	s_barrier_signal -1
	s_barrier_wait -1
	s_wait_xcnt 0x0
	v_cmpx_gt_u32_e32 7, v0
	s_cbranch_execz .LBB109_508
; %bb.499:
	v_cmp_ne_u32_e32 vcc_lo, 1, v52
	s_cbranch_vccnz .LBB109_501
; %bb.500:
	scratch_load_b32 v53, v7, off
	ds_load_b32 v54, v1
	s_wait_loadcnt_dscnt 0x0
	v_mul_f32_e32 v53, v53, v54
	s_cbranch_execz .LBB109_502
	s_branch .LBB109_503
.LBB109_501:
                                        ; implicit-def: $vgpr53
.LBB109_502:
	ds_load_b32 v53, v1
.LBB109_503:
	s_mov_b32 s1, exec_lo
	v_cmpx_ne_u32_e32 6, v0
	s_cbranch_execz .LBB109_507
; %bb.504:
	v_add_nc_u32_e32 v54, 0xc4, v6
	v_add3_u32 v55, 0, v6, 4
	v_mov_b32_e32 v56, v0
	s_mov_b32 s2, 0
.LBB109_505:                            ; =>This Inner Loop Header: Depth=1
	scratch_load_b32 v57, v55, off
	ds_load_b32 v58, v54
	v_dual_add_nc_u32 v56, 1, v56 :: v_dual_add_nc_u32 v54, 4, v54
	s_wait_xcnt 0x0
	v_add_nc_u32_e32 v55, 4, v55
	s_delay_alu instid0(VALU_DEP_2)
	v_cmp_lt_u32_e32 vcc_lo, 5, v56
	s_or_b32 s2, vcc_lo, s2
	s_wait_loadcnt_dscnt 0x0
	v_fmac_f32_e32 v53, v57, v58
	s_and_not1_b32 exec_lo, exec_lo, s2
	s_cbranch_execnz .LBB109_505
; %bb.506:
	s_or_b32 exec_lo, exec_lo, s2
.LBB109_507:
	s_delay_alu instid0(SALU_CYCLE_1)
	s_or_b32 exec_lo, exec_lo, s1
	v_mov_b32_e32 v54, 0
	ds_load_b32 v54, v54 offset:28
	s_wait_dscnt 0x0
	v_mul_f32_e32 v53, v53, v54
	scratch_store_b32 off, v53, off offset:28
.LBB109_508:
	s_wait_xcnt 0x0
	s_or_b32 exec_lo, exec_lo, s0
	scratch_load_b32 v53, off, off offset:32
	s_mov_b32 s0, exec_lo
	s_wait_loadcnt 0x0
	ds_store_b32 v1, v53
	s_wait_storecnt_dscnt 0x0
	s_barrier_signal -1
	s_barrier_wait -1
	s_wait_xcnt 0x0
	v_cmpx_gt_u32_e32 8, v0
	s_cbranch_execz .LBB109_518
; %bb.509:
	v_cmp_ne_u32_e32 vcc_lo, 1, v52
	s_cbranch_vccnz .LBB109_511
; %bb.510:
	scratch_load_b32 v53, v7, off
	ds_load_b32 v54, v1
	s_wait_loadcnt_dscnt 0x0
	v_mul_f32_e32 v53, v53, v54
	s_cbranch_execz .LBB109_512
	s_branch .LBB109_513
.LBB109_511:
                                        ; implicit-def: $vgpr53
.LBB109_512:
	ds_load_b32 v53, v1
.LBB109_513:
	s_mov_b32 s1, exec_lo
	v_cmpx_ne_u32_e32 7, v0
	s_cbranch_execz .LBB109_517
; %bb.514:
	v_add_nc_u32_e32 v54, 0xc4, v6
	v_add3_u32 v55, 0, v6, 4
	v_mov_b32_e32 v56, v0
	s_mov_b32 s2, 0
.LBB109_515:                            ; =>This Inner Loop Header: Depth=1
	scratch_load_b32 v57, v55, off
	ds_load_b32 v58, v54
	v_dual_add_nc_u32 v56, 1, v56 :: v_dual_add_nc_u32 v54, 4, v54
	s_wait_xcnt 0x0
	v_add_nc_u32_e32 v55, 4, v55
	s_delay_alu instid0(VALU_DEP_2)
	v_cmp_lt_u32_e32 vcc_lo, 6, v56
	s_or_b32 s2, vcc_lo, s2
	s_wait_loadcnt_dscnt 0x0
	v_fmac_f32_e32 v53, v57, v58
	s_and_not1_b32 exec_lo, exec_lo, s2
	s_cbranch_execnz .LBB109_515
; %bb.516:
	s_or_b32 exec_lo, exec_lo, s2
.LBB109_517:
	s_delay_alu instid0(SALU_CYCLE_1)
	s_or_b32 exec_lo, exec_lo, s1
	v_mov_b32_e32 v54, 0
	ds_load_b32 v54, v54 offset:32
	s_wait_dscnt 0x0
	v_mul_f32_e32 v53, v53, v54
	scratch_store_b32 off, v53, off offset:32
.LBB109_518:
	s_wait_xcnt 0x0
	s_or_b32 exec_lo, exec_lo, s0
	scratch_load_b32 v53, off, off offset:36
	s_mov_b32 s0, exec_lo
	s_wait_loadcnt 0x0
	ds_store_b32 v1, v53
	s_wait_storecnt_dscnt 0x0
	s_barrier_signal -1
	s_barrier_wait -1
	s_wait_xcnt 0x0
	v_cmpx_gt_u32_e32 9, v0
	s_cbranch_execz .LBB109_528
; %bb.519:
	v_cmp_ne_u32_e32 vcc_lo, 1, v52
	s_cbranch_vccnz .LBB109_521
; %bb.520:
	scratch_load_b32 v53, v7, off
	ds_load_b32 v54, v1
	s_wait_loadcnt_dscnt 0x0
	v_mul_f32_e32 v53, v53, v54
	s_cbranch_execz .LBB109_522
	s_branch .LBB109_523
.LBB109_521:
                                        ; implicit-def: $vgpr53
.LBB109_522:
	ds_load_b32 v53, v1
.LBB109_523:
	s_mov_b32 s1, exec_lo
	v_cmpx_ne_u32_e32 8, v0
	s_cbranch_execz .LBB109_527
; %bb.524:
	v_add_nc_u32_e32 v54, 0xc4, v6
	v_add3_u32 v55, 0, v6, 4
	v_mov_b32_e32 v56, v0
	s_mov_b32 s2, 0
.LBB109_525:                            ; =>This Inner Loop Header: Depth=1
	scratch_load_b32 v57, v55, off
	ds_load_b32 v58, v54
	v_dual_add_nc_u32 v56, 1, v56 :: v_dual_add_nc_u32 v54, 4, v54
	s_wait_xcnt 0x0
	v_add_nc_u32_e32 v55, 4, v55
	s_delay_alu instid0(VALU_DEP_2)
	v_cmp_lt_u32_e32 vcc_lo, 7, v56
	s_or_b32 s2, vcc_lo, s2
	s_wait_loadcnt_dscnt 0x0
	v_fmac_f32_e32 v53, v57, v58
	s_and_not1_b32 exec_lo, exec_lo, s2
	s_cbranch_execnz .LBB109_525
; %bb.526:
	s_or_b32 exec_lo, exec_lo, s2
.LBB109_527:
	s_delay_alu instid0(SALU_CYCLE_1)
	s_or_b32 exec_lo, exec_lo, s1
	v_mov_b32_e32 v54, 0
	ds_load_b32 v54, v54 offset:36
	s_wait_dscnt 0x0
	v_mul_f32_e32 v53, v53, v54
	scratch_store_b32 off, v53, off offset:36
.LBB109_528:
	s_wait_xcnt 0x0
	s_or_b32 exec_lo, exec_lo, s0
	scratch_load_b32 v53, off, off offset:40
	s_mov_b32 s0, exec_lo
	s_wait_loadcnt 0x0
	ds_store_b32 v1, v53
	s_wait_storecnt_dscnt 0x0
	s_barrier_signal -1
	s_barrier_wait -1
	s_wait_xcnt 0x0
	v_cmpx_gt_u32_e32 10, v0
	s_cbranch_execz .LBB109_538
; %bb.529:
	v_cmp_ne_u32_e32 vcc_lo, 1, v52
	s_cbranch_vccnz .LBB109_531
; %bb.530:
	scratch_load_b32 v53, v7, off
	ds_load_b32 v54, v1
	s_wait_loadcnt_dscnt 0x0
	v_mul_f32_e32 v53, v53, v54
	s_cbranch_execz .LBB109_532
	s_branch .LBB109_533
.LBB109_531:
                                        ; implicit-def: $vgpr53
.LBB109_532:
	ds_load_b32 v53, v1
.LBB109_533:
	s_mov_b32 s1, exec_lo
	v_cmpx_ne_u32_e32 9, v0
	s_cbranch_execz .LBB109_537
; %bb.534:
	v_add_nc_u32_e32 v54, 0xc4, v6
	v_add3_u32 v55, 0, v6, 4
	v_mov_b32_e32 v56, v0
	s_mov_b32 s2, 0
.LBB109_535:                            ; =>This Inner Loop Header: Depth=1
	scratch_load_b32 v57, v55, off
	ds_load_b32 v58, v54
	v_dual_add_nc_u32 v56, 1, v56 :: v_dual_add_nc_u32 v54, 4, v54
	s_wait_xcnt 0x0
	v_add_nc_u32_e32 v55, 4, v55
	s_delay_alu instid0(VALU_DEP_2)
	v_cmp_lt_u32_e32 vcc_lo, 8, v56
	s_or_b32 s2, vcc_lo, s2
	s_wait_loadcnt_dscnt 0x0
	v_fmac_f32_e32 v53, v57, v58
	s_and_not1_b32 exec_lo, exec_lo, s2
	s_cbranch_execnz .LBB109_535
; %bb.536:
	s_or_b32 exec_lo, exec_lo, s2
.LBB109_537:
	s_delay_alu instid0(SALU_CYCLE_1)
	s_or_b32 exec_lo, exec_lo, s1
	v_mov_b32_e32 v54, 0
	ds_load_b32 v54, v54 offset:40
	s_wait_dscnt 0x0
	v_mul_f32_e32 v53, v53, v54
	scratch_store_b32 off, v53, off offset:40
.LBB109_538:
	s_wait_xcnt 0x0
	s_or_b32 exec_lo, exec_lo, s0
	scratch_load_b32 v53, off, off offset:44
	s_mov_b32 s0, exec_lo
	s_wait_loadcnt 0x0
	ds_store_b32 v1, v53
	s_wait_storecnt_dscnt 0x0
	s_barrier_signal -1
	s_barrier_wait -1
	s_wait_xcnt 0x0
	v_cmpx_gt_u32_e32 11, v0
	s_cbranch_execz .LBB109_548
; %bb.539:
	v_cmp_ne_u32_e32 vcc_lo, 1, v52
	s_cbranch_vccnz .LBB109_541
; %bb.540:
	scratch_load_b32 v53, v7, off
	ds_load_b32 v54, v1
	s_wait_loadcnt_dscnt 0x0
	v_mul_f32_e32 v53, v53, v54
	s_cbranch_execz .LBB109_542
	s_branch .LBB109_543
.LBB109_541:
                                        ; implicit-def: $vgpr53
.LBB109_542:
	ds_load_b32 v53, v1
.LBB109_543:
	s_mov_b32 s1, exec_lo
	v_cmpx_ne_u32_e32 10, v0
	s_cbranch_execz .LBB109_547
; %bb.544:
	v_add_nc_u32_e32 v54, 0xc4, v6
	v_add3_u32 v55, 0, v6, 4
	v_mov_b32_e32 v56, v0
	s_mov_b32 s2, 0
.LBB109_545:                            ; =>This Inner Loop Header: Depth=1
	scratch_load_b32 v57, v55, off
	ds_load_b32 v58, v54
	v_dual_add_nc_u32 v56, 1, v56 :: v_dual_add_nc_u32 v54, 4, v54
	s_wait_xcnt 0x0
	v_add_nc_u32_e32 v55, 4, v55
	s_delay_alu instid0(VALU_DEP_2)
	v_cmp_lt_u32_e32 vcc_lo, 9, v56
	s_or_b32 s2, vcc_lo, s2
	s_wait_loadcnt_dscnt 0x0
	v_fmac_f32_e32 v53, v57, v58
	s_and_not1_b32 exec_lo, exec_lo, s2
	s_cbranch_execnz .LBB109_545
; %bb.546:
	s_or_b32 exec_lo, exec_lo, s2
.LBB109_547:
	s_delay_alu instid0(SALU_CYCLE_1)
	s_or_b32 exec_lo, exec_lo, s1
	v_mov_b32_e32 v54, 0
	ds_load_b32 v54, v54 offset:44
	s_wait_dscnt 0x0
	v_mul_f32_e32 v53, v53, v54
	scratch_store_b32 off, v53, off offset:44
.LBB109_548:
	s_wait_xcnt 0x0
	s_or_b32 exec_lo, exec_lo, s0
	scratch_load_b32 v53, off, off offset:48
	s_mov_b32 s0, exec_lo
	s_wait_loadcnt 0x0
	ds_store_b32 v1, v53
	s_wait_storecnt_dscnt 0x0
	s_barrier_signal -1
	s_barrier_wait -1
	s_wait_xcnt 0x0
	v_cmpx_gt_u32_e32 12, v0
	s_cbranch_execz .LBB109_558
; %bb.549:
	v_cmp_ne_u32_e32 vcc_lo, 1, v52
	s_cbranch_vccnz .LBB109_551
; %bb.550:
	scratch_load_b32 v53, v7, off
	ds_load_b32 v54, v1
	s_wait_loadcnt_dscnt 0x0
	v_mul_f32_e32 v53, v53, v54
	s_cbranch_execz .LBB109_552
	s_branch .LBB109_553
.LBB109_551:
                                        ; implicit-def: $vgpr53
.LBB109_552:
	ds_load_b32 v53, v1
.LBB109_553:
	s_mov_b32 s1, exec_lo
	v_cmpx_ne_u32_e32 11, v0
	s_cbranch_execz .LBB109_557
; %bb.554:
	v_add_nc_u32_e32 v54, 0xc4, v6
	v_add3_u32 v55, 0, v6, 4
	v_mov_b32_e32 v56, v0
	s_mov_b32 s2, 0
.LBB109_555:                            ; =>This Inner Loop Header: Depth=1
	scratch_load_b32 v57, v55, off
	ds_load_b32 v58, v54
	v_dual_add_nc_u32 v56, 1, v56 :: v_dual_add_nc_u32 v54, 4, v54
	s_wait_xcnt 0x0
	v_add_nc_u32_e32 v55, 4, v55
	s_delay_alu instid0(VALU_DEP_2)
	v_cmp_lt_u32_e32 vcc_lo, 10, v56
	s_or_b32 s2, vcc_lo, s2
	s_wait_loadcnt_dscnt 0x0
	v_fmac_f32_e32 v53, v57, v58
	s_and_not1_b32 exec_lo, exec_lo, s2
	s_cbranch_execnz .LBB109_555
; %bb.556:
	s_or_b32 exec_lo, exec_lo, s2
.LBB109_557:
	s_delay_alu instid0(SALU_CYCLE_1)
	s_or_b32 exec_lo, exec_lo, s1
	v_mov_b32_e32 v54, 0
	ds_load_b32 v54, v54 offset:48
	s_wait_dscnt 0x0
	v_mul_f32_e32 v53, v53, v54
	scratch_store_b32 off, v53, off offset:48
.LBB109_558:
	s_wait_xcnt 0x0
	s_or_b32 exec_lo, exec_lo, s0
	scratch_load_b32 v53, off, off offset:52
	s_mov_b32 s0, exec_lo
	s_wait_loadcnt 0x0
	ds_store_b32 v1, v53
	s_wait_storecnt_dscnt 0x0
	s_barrier_signal -1
	s_barrier_wait -1
	s_wait_xcnt 0x0
	v_cmpx_gt_u32_e32 13, v0
	s_cbranch_execz .LBB109_568
; %bb.559:
	v_cmp_ne_u32_e32 vcc_lo, 1, v52
	s_cbranch_vccnz .LBB109_561
; %bb.560:
	scratch_load_b32 v53, v7, off
	ds_load_b32 v54, v1
	s_wait_loadcnt_dscnt 0x0
	v_mul_f32_e32 v53, v53, v54
	s_cbranch_execz .LBB109_562
	s_branch .LBB109_563
.LBB109_561:
                                        ; implicit-def: $vgpr53
.LBB109_562:
	ds_load_b32 v53, v1
.LBB109_563:
	s_mov_b32 s1, exec_lo
	v_cmpx_ne_u32_e32 12, v0
	s_cbranch_execz .LBB109_567
; %bb.564:
	v_add_nc_u32_e32 v54, 0xc4, v6
	v_add3_u32 v55, 0, v6, 4
	v_mov_b32_e32 v56, v0
	s_mov_b32 s2, 0
.LBB109_565:                            ; =>This Inner Loop Header: Depth=1
	scratch_load_b32 v57, v55, off
	ds_load_b32 v58, v54
	v_dual_add_nc_u32 v56, 1, v56 :: v_dual_add_nc_u32 v54, 4, v54
	s_wait_xcnt 0x0
	v_add_nc_u32_e32 v55, 4, v55
	s_delay_alu instid0(VALU_DEP_2)
	v_cmp_lt_u32_e32 vcc_lo, 11, v56
	s_or_b32 s2, vcc_lo, s2
	s_wait_loadcnt_dscnt 0x0
	v_fmac_f32_e32 v53, v57, v58
	s_and_not1_b32 exec_lo, exec_lo, s2
	s_cbranch_execnz .LBB109_565
; %bb.566:
	s_or_b32 exec_lo, exec_lo, s2
.LBB109_567:
	s_delay_alu instid0(SALU_CYCLE_1)
	s_or_b32 exec_lo, exec_lo, s1
	v_mov_b32_e32 v54, 0
	ds_load_b32 v54, v54 offset:52
	s_wait_dscnt 0x0
	v_mul_f32_e32 v53, v53, v54
	scratch_store_b32 off, v53, off offset:52
.LBB109_568:
	s_wait_xcnt 0x0
	s_or_b32 exec_lo, exec_lo, s0
	scratch_load_b32 v53, off, off offset:56
	s_mov_b32 s0, exec_lo
	s_wait_loadcnt 0x0
	ds_store_b32 v1, v53
	s_wait_storecnt_dscnt 0x0
	s_barrier_signal -1
	s_barrier_wait -1
	s_wait_xcnt 0x0
	v_cmpx_gt_u32_e32 14, v0
	s_cbranch_execz .LBB109_578
; %bb.569:
	v_cmp_ne_u32_e32 vcc_lo, 1, v52
	s_cbranch_vccnz .LBB109_571
; %bb.570:
	scratch_load_b32 v53, v7, off
	ds_load_b32 v54, v1
	s_wait_loadcnt_dscnt 0x0
	v_mul_f32_e32 v53, v53, v54
	s_cbranch_execz .LBB109_572
	s_branch .LBB109_573
.LBB109_571:
                                        ; implicit-def: $vgpr53
.LBB109_572:
	ds_load_b32 v53, v1
.LBB109_573:
	s_mov_b32 s1, exec_lo
	v_cmpx_ne_u32_e32 13, v0
	s_cbranch_execz .LBB109_577
; %bb.574:
	v_add_nc_u32_e32 v54, 0xc4, v6
	v_add3_u32 v55, 0, v6, 4
	v_mov_b32_e32 v56, v0
	s_mov_b32 s2, 0
.LBB109_575:                            ; =>This Inner Loop Header: Depth=1
	scratch_load_b32 v57, v55, off
	ds_load_b32 v58, v54
	v_dual_add_nc_u32 v56, 1, v56 :: v_dual_add_nc_u32 v54, 4, v54
	s_wait_xcnt 0x0
	v_add_nc_u32_e32 v55, 4, v55
	s_delay_alu instid0(VALU_DEP_2)
	v_cmp_lt_u32_e32 vcc_lo, 12, v56
	s_or_b32 s2, vcc_lo, s2
	s_wait_loadcnt_dscnt 0x0
	v_fmac_f32_e32 v53, v57, v58
	s_and_not1_b32 exec_lo, exec_lo, s2
	s_cbranch_execnz .LBB109_575
; %bb.576:
	s_or_b32 exec_lo, exec_lo, s2
.LBB109_577:
	s_delay_alu instid0(SALU_CYCLE_1)
	s_or_b32 exec_lo, exec_lo, s1
	v_mov_b32_e32 v54, 0
	ds_load_b32 v54, v54 offset:56
	s_wait_dscnt 0x0
	v_mul_f32_e32 v53, v53, v54
	scratch_store_b32 off, v53, off offset:56
.LBB109_578:
	s_wait_xcnt 0x0
	s_or_b32 exec_lo, exec_lo, s0
	scratch_load_b32 v53, off, off offset:60
	s_mov_b32 s0, exec_lo
	s_wait_loadcnt 0x0
	ds_store_b32 v1, v53
	s_wait_storecnt_dscnt 0x0
	s_barrier_signal -1
	s_barrier_wait -1
	s_wait_xcnt 0x0
	v_cmpx_gt_u32_e32 15, v0
	s_cbranch_execz .LBB109_588
; %bb.579:
	v_cmp_ne_u32_e32 vcc_lo, 1, v52
	s_cbranch_vccnz .LBB109_581
; %bb.580:
	scratch_load_b32 v53, v7, off
	ds_load_b32 v54, v1
	s_wait_loadcnt_dscnt 0x0
	v_mul_f32_e32 v53, v53, v54
	s_cbranch_execz .LBB109_582
	s_branch .LBB109_583
.LBB109_581:
                                        ; implicit-def: $vgpr53
.LBB109_582:
	ds_load_b32 v53, v1
.LBB109_583:
	s_mov_b32 s1, exec_lo
	v_cmpx_ne_u32_e32 14, v0
	s_cbranch_execz .LBB109_587
; %bb.584:
	v_add_nc_u32_e32 v54, 0xc4, v6
	v_add3_u32 v55, 0, v6, 4
	v_mov_b32_e32 v56, v0
	s_mov_b32 s2, 0
.LBB109_585:                            ; =>This Inner Loop Header: Depth=1
	scratch_load_b32 v57, v55, off
	ds_load_b32 v58, v54
	v_dual_add_nc_u32 v56, 1, v56 :: v_dual_add_nc_u32 v54, 4, v54
	s_wait_xcnt 0x0
	v_add_nc_u32_e32 v55, 4, v55
	s_delay_alu instid0(VALU_DEP_2)
	v_cmp_lt_u32_e32 vcc_lo, 13, v56
	s_or_b32 s2, vcc_lo, s2
	s_wait_loadcnt_dscnt 0x0
	v_fmac_f32_e32 v53, v57, v58
	s_and_not1_b32 exec_lo, exec_lo, s2
	s_cbranch_execnz .LBB109_585
; %bb.586:
	s_or_b32 exec_lo, exec_lo, s2
.LBB109_587:
	s_delay_alu instid0(SALU_CYCLE_1)
	s_or_b32 exec_lo, exec_lo, s1
	v_mov_b32_e32 v54, 0
	ds_load_b32 v54, v54 offset:60
	s_wait_dscnt 0x0
	v_mul_f32_e32 v53, v53, v54
	scratch_store_b32 off, v53, off offset:60
.LBB109_588:
	s_wait_xcnt 0x0
	s_or_b32 exec_lo, exec_lo, s0
	scratch_load_b32 v53, off, off offset:64
	s_mov_b32 s0, exec_lo
	s_wait_loadcnt 0x0
	ds_store_b32 v1, v53
	s_wait_storecnt_dscnt 0x0
	s_barrier_signal -1
	s_barrier_wait -1
	s_wait_xcnt 0x0
	v_cmpx_gt_u32_e32 16, v0
	s_cbranch_execz .LBB109_598
; %bb.589:
	v_cmp_ne_u32_e32 vcc_lo, 1, v52
	s_cbranch_vccnz .LBB109_591
; %bb.590:
	scratch_load_b32 v53, v7, off
	ds_load_b32 v54, v1
	s_wait_loadcnt_dscnt 0x0
	v_mul_f32_e32 v53, v53, v54
	s_cbranch_execz .LBB109_592
	s_branch .LBB109_593
.LBB109_591:
                                        ; implicit-def: $vgpr53
.LBB109_592:
	ds_load_b32 v53, v1
.LBB109_593:
	s_mov_b32 s1, exec_lo
	v_cmpx_ne_u32_e32 15, v0
	s_cbranch_execz .LBB109_597
; %bb.594:
	v_add_nc_u32_e32 v54, 0xc4, v6
	v_add3_u32 v55, 0, v6, 4
	v_mov_b32_e32 v56, v0
	s_mov_b32 s2, 0
.LBB109_595:                            ; =>This Inner Loop Header: Depth=1
	scratch_load_b32 v57, v55, off
	ds_load_b32 v58, v54
	v_dual_add_nc_u32 v56, 1, v56 :: v_dual_add_nc_u32 v54, 4, v54
	s_wait_xcnt 0x0
	v_add_nc_u32_e32 v55, 4, v55
	s_delay_alu instid0(VALU_DEP_2)
	v_cmp_lt_u32_e32 vcc_lo, 14, v56
	s_or_b32 s2, vcc_lo, s2
	s_wait_loadcnt_dscnt 0x0
	v_fmac_f32_e32 v53, v57, v58
	s_and_not1_b32 exec_lo, exec_lo, s2
	s_cbranch_execnz .LBB109_595
; %bb.596:
	s_or_b32 exec_lo, exec_lo, s2
.LBB109_597:
	s_delay_alu instid0(SALU_CYCLE_1)
	s_or_b32 exec_lo, exec_lo, s1
	v_mov_b32_e32 v54, 0
	ds_load_b32 v54, v54 offset:64
	s_wait_dscnt 0x0
	v_mul_f32_e32 v53, v53, v54
	scratch_store_b32 off, v53, off offset:64
.LBB109_598:
	s_wait_xcnt 0x0
	s_or_b32 exec_lo, exec_lo, s0
	scratch_load_b32 v53, off, off offset:68
	s_mov_b32 s0, exec_lo
	s_wait_loadcnt 0x0
	ds_store_b32 v1, v53
	s_wait_storecnt_dscnt 0x0
	s_barrier_signal -1
	s_barrier_wait -1
	s_wait_xcnt 0x0
	v_cmpx_gt_u32_e32 17, v0
	s_cbranch_execz .LBB109_608
; %bb.599:
	v_cmp_ne_u32_e32 vcc_lo, 1, v52
	s_cbranch_vccnz .LBB109_601
; %bb.600:
	scratch_load_b32 v53, v7, off
	ds_load_b32 v54, v1
	s_wait_loadcnt_dscnt 0x0
	v_mul_f32_e32 v53, v53, v54
	s_cbranch_execz .LBB109_602
	s_branch .LBB109_603
.LBB109_601:
                                        ; implicit-def: $vgpr53
.LBB109_602:
	ds_load_b32 v53, v1
.LBB109_603:
	s_mov_b32 s1, exec_lo
	v_cmpx_ne_u32_e32 16, v0
	s_cbranch_execz .LBB109_607
; %bb.604:
	v_add_nc_u32_e32 v54, 0xc4, v6
	v_add3_u32 v55, 0, v6, 4
	v_mov_b32_e32 v56, v0
	s_mov_b32 s2, 0
.LBB109_605:                            ; =>This Inner Loop Header: Depth=1
	scratch_load_b32 v57, v55, off
	ds_load_b32 v58, v54
	v_dual_add_nc_u32 v56, 1, v56 :: v_dual_add_nc_u32 v54, 4, v54
	s_wait_xcnt 0x0
	v_add_nc_u32_e32 v55, 4, v55
	s_delay_alu instid0(VALU_DEP_2)
	v_cmp_lt_u32_e32 vcc_lo, 15, v56
	s_or_b32 s2, vcc_lo, s2
	s_wait_loadcnt_dscnt 0x0
	v_fmac_f32_e32 v53, v57, v58
	s_and_not1_b32 exec_lo, exec_lo, s2
	s_cbranch_execnz .LBB109_605
; %bb.606:
	s_or_b32 exec_lo, exec_lo, s2
.LBB109_607:
	s_delay_alu instid0(SALU_CYCLE_1)
	s_or_b32 exec_lo, exec_lo, s1
	v_mov_b32_e32 v54, 0
	ds_load_b32 v54, v54 offset:68
	s_wait_dscnt 0x0
	v_mul_f32_e32 v53, v53, v54
	scratch_store_b32 off, v53, off offset:68
.LBB109_608:
	s_wait_xcnt 0x0
	s_or_b32 exec_lo, exec_lo, s0
	scratch_load_b32 v53, off, off offset:72
	s_mov_b32 s0, exec_lo
	s_wait_loadcnt 0x0
	ds_store_b32 v1, v53
	s_wait_storecnt_dscnt 0x0
	s_barrier_signal -1
	s_barrier_wait -1
	s_wait_xcnt 0x0
	v_cmpx_gt_u32_e32 18, v0
	s_cbranch_execz .LBB109_618
; %bb.609:
	v_cmp_ne_u32_e32 vcc_lo, 1, v52
	s_cbranch_vccnz .LBB109_611
; %bb.610:
	scratch_load_b32 v53, v7, off
	ds_load_b32 v54, v1
	s_wait_loadcnt_dscnt 0x0
	v_mul_f32_e32 v53, v53, v54
	s_cbranch_execz .LBB109_612
	s_branch .LBB109_613
.LBB109_611:
                                        ; implicit-def: $vgpr53
.LBB109_612:
	ds_load_b32 v53, v1
.LBB109_613:
	s_mov_b32 s1, exec_lo
	v_cmpx_ne_u32_e32 17, v0
	s_cbranch_execz .LBB109_617
; %bb.614:
	v_add_nc_u32_e32 v54, 0xc4, v6
	v_add3_u32 v55, 0, v6, 4
	v_mov_b32_e32 v56, v0
	s_mov_b32 s2, 0
.LBB109_615:                            ; =>This Inner Loop Header: Depth=1
	scratch_load_b32 v57, v55, off
	ds_load_b32 v58, v54
	v_dual_add_nc_u32 v56, 1, v56 :: v_dual_add_nc_u32 v54, 4, v54
	s_wait_xcnt 0x0
	v_add_nc_u32_e32 v55, 4, v55
	s_delay_alu instid0(VALU_DEP_2)
	v_cmp_lt_u32_e32 vcc_lo, 16, v56
	s_or_b32 s2, vcc_lo, s2
	s_wait_loadcnt_dscnt 0x0
	v_fmac_f32_e32 v53, v57, v58
	s_and_not1_b32 exec_lo, exec_lo, s2
	s_cbranch_execnz .LBB109_615
; %bb.616:
	s_or_b32 exec_lo, exec_lo, s2
.LBB109_617:
	s_delay_alu instid0(SALU_CYCLE_1)
	s_or_b32 exec_lo, exec_lo, s1
	v_mov_b32_e32 v54, 0
	ds_load_b32 v54, v54 offset:72
	s_wait_dscnt 0x0
	v_mul_f32_e32 v53, v53, v54
	scratch_store_b32 off, v53, off offset:72
.LBB109_618:
	s_wait_xcnt 0x0
	s_or_b32 exec_lo, exec_lo, s0
	scratch_load_b32 v53, off, off offset:76
	s_mov_b32 s0, exec_lo
	s_wait_loadcnt 0x0
	ds_store_b32 v1, v53
	s_wait_storecnt_dscnt 0x0
	s_barrier_signal -1
	s_barrier_wait -1
	s_wait_xcnt 0x0
	v_cmpx_gt_u32_e32 19, v0
	s_cbranch_execz .LBB109_628
; %bb.619:
	v_cmp_ne_u32_e32 vcc_lo, 1, v52
	s_cbranch_vccnz .LBB109_621
; %bb.620:
	scratch_load_b32 v53, v7, off
	ds_load_b32 v54, v1
	s_wait_loadcnt_dscnt 0x0
	v_mul_f32_e32 v53, v53, v54
	s_cbranch_execz .LBB109_622
	s_branch .LBB109_623
.LBB109_621:
                                        ; implicit-def: $vgpr53
.LBB109_622:
	ds_load_b32 v53, v1
.LBB109_623:
	s_mov_b32 s1, exec_lo
	v_cmpx_ne_u32_e32 18, v0
	s_cbranch_execz .LBB109_627
; %bb.624:
	v_add_nc_u32_e32 v54, 0xc4, v6
	v_add3_u32 v55, 0, v6, 4
	v_mov_b32_e32 v56, v0
	s_mov_b32 s2, 0
.LBB109_625:                            ; =>This Inner Loop Header: Depth=1
	scratch_load_b32 v57, v55, off
	ds_load_b32 v58, v54
	v_dual_add_nc_u32 v56, 1, v56 :: v_dual_add_nc_u32 v54, 4, v54
	s_wait_xcnt 0x0
	v_add_nc_u32_e32 v55, 4, v55
	s_delay_alu instid0(VALU_DEP_2)
	v_cmp_lt_u32_e32 vcc_lo, 17, v56
	s_or_b32 s2, vcc_lo, s2
	s_wait_loadcnt_dscnt 0x0
	v_fmac_f32_e32 v53, v57, v58
	s_and_not1_b32 exec_lo, exec_lo, s2
	s_cbranch_execnz .LBB109_625
; %bb.626:
	s_or_b32 exec_lo, exec_lo, s2
.LBB109_627:
	s_delay_alu instid0(SALU_CYCLE_1)
	s_or_b32 exec_lo, exec_lo, s1
	v_mov_b32_e32 v54, 0
	ds_load_b32 v54, v54 offset:76
	s_wait_dscnt 0x0
	v_mul_f32_e32 v53, v53, v54
	scratch_store_b32 off, v53, off offset:76
.LBB109_628:
	s_wait_xcnt 0x0
	s_or_b32 exec_lo, exec_lo, s0
	scratch_load_b32 v53, off, off offset:80
	s_mov_b32 s0, exec_lo
	s_wait_loadcnt 0x0
	ds_store_b32 v1, v53
	s_wait_storecnt_dscnt 0x0
	s_barrier_signal -1
	s_barrier_wait -1
	s_wait_xcnt 0x0
	v_cmpx_gt_u32_e32 20, v0
	s_cbranch_execz .LBB109_638
; %bb.629:
	v_cmp_ne_u32_e32 vcc_lo, 1, v52
	s_cbranch_vccnz .LBB109_631
; %bb.630:
	scratch_load_b32 v53, v7, off
	ds_load_b32 v54, v1
	s_wait_loadcnt_dscnt 0x0
	v_mul_f32_e32 v53, v53, v54
	s_cbranch_execz .LBB109_632
	s_branch .LBB109_633
.LBB109_631:
                                        ; implicit-def: $vgpr53
.LBB109_632:
	ds_load_b32 v53, v1
.LBB109_633:
	s_mov_b32 s1, exec_lo
	v_cmpx_ne_u32_e32 19, v0
	s_cbranch_execz .LBB109_637
; %bb.634:
	v_add_nc_u32_e32 v54, 0xc4, v6
	v_add3_u32 v55, 0, v6, 4
	v_mov_b32_e32 v56, v0
	s_mov_b32 s2, 0
.LBB109_635:                            ; =>This Inner Loop Header: Depth=1
	scratch_load_b32 v57, v55, off
	ds_load_b32 v58, v54
	v_dual_add_nc_u32 v56, 1, v56 :: v_dual_add_nc_u32 v54, 4, v54
	s_wait_xcnt 0x0
	v_add_nc_u32_e32 v55, 4, v55
	s_delay_alu instid0(VALU_DEP_2)
	v_cmp_lt_u32_e32 vcc_lo, 18, v56
	s_or_b32 s2, vcc_lo, s2
	s_wait_loadcnt_dscnt 0x0
	v_fmac_f32_e32 v53, v57, v58
	s_and_not1_b32 exec_lo, exec_lo, s2
	s_cbranch_execnz .LBB109_635
; %bb.636:
	s_or_b32 exec_lo, exec_lo, s2
.LBB109_637:
	s_delay_alu instid0(SALU_CYCLE_1)
	s_or_b32 exec_lo, exec_lo, s1
	v_mov_b32_e32 v54, 0
	ds_load_b32 v54, v54 offset:80
	s_wait_dscnt 0x0
	v_mul_f32_e32 v53, v53, v54
	scratch_store_b32 off, v53, off offset:80
.LBB109_638:
	s_wait_xcnt 0x0
	s_or_b32 exec_lo, exec_lo, s0
	scratch_load_b32 v53, off, off offset:84
	s_mov_b32 s0, exec_lo
	s_wait_loadcnt 0x0
	ds_store_b32 v1, v53
	s_wait_storecnt_dscnt 0x0
	s_barrier_signal -1
	s_barrier_wait -1
	s_wait_xcnt 0x0
	v_cmpx_gt_u32_e32 21, v0
	s_cbranch_execz .LBB109_648
; %bb.639:
	v_cmp_ne_u32_e32 vcc_lo, 1, v52
	s_cbranch_vccnz .LBB109_641
; %bb.640:
	scratch_load_b32 v53, v7, off
	ds_load_b32 v54, v1
	s_wait_loadcnt_dscnt 0x0
	v_mul_f32_e32 v53, v53, v54
	s_cbranch_execz .LBB109_642
	s_branch .LBB109_643
.LBB109_641:
                                        ; implicit-def: $vgpr53
.LBB109_642:
	ds_load_b32 v53, v1
.LBB109_643:
	s_mov_b32 s1, exec_lo
	v_cmpx_ne_u32_e32 20, v0
	s_cbranch_execz .LBB109_647
; %bb.644:
	v_add_nc_u32_e32 v54, 0xc4, v6
	v_add3_u32 v55, 0, v6, 4
	v_mov_b32_e32 v56, v0
	s_mov_b32 s2, 0
.LBB109_645:                            ; =>This Inner Loop Header: Depth=1
	scratch_load_b32 v57, v55, off
	ds_load_b32 v58, v54
	v_dual_add_nc_u32 v56, 1, v56 :: v_dual_add_nc_u32 v54, 4, v54
	s_wait_xcnt 0x0
	v_add_nc_u32_e32 v55, 4, v55
	s_delay_alu instid0(VALU_DEP_2)
	v_cmp_lt_u32_e32 vcc_lo, 19, v56
	s_or_b32 s2, vcc_lo, s2
	s_wait_loadcnt_dscnt 0x0
	v_fmac_f32_e32 v53, v57, v58
	s_and_not1_b32 exec_lo, exec_lo, s2
	s_cbranch_execnz .LBB109_645
; %bb.646:
	s_or_b32 exec_lo, exec_lo, s2
.LBB109_647:
	s_delay_alu instid0(SALU_CYCLE_1)
	s_or_b32 exec_lo, exec_lo, s1
	v_mov_b32_e32 v54, 0
	ds_load_b32 v54, v54 offset:84
	s_wait_dscnt 0x0
	v_mul_f32_e32 v53, v53, v54
	scratch_store_b32 off, v53, off offset:84
.LBB109_648:
	s_wait_xcnt 0x0
	s_or_b32 exec_lo, exec_lo, s0
	scratch_load_b32 v53, off, off offset:88
	s_mov_b32 s0, exec_lo
	s_wait_loadcnt 0x0
	ds_store_b32 v1, v53
	s_wait_storecnt_dscnt 0x0
	s_barrier_signal -1
	s_barrier_wait -1
	s_wait_xcnt 0x0
	v_cmpx_gt_u32_e32 22, v0
	s_cbranch_execz .LBB109_658
; %bb.649:
	v_cmp_ne_u32_e32 vcc_lo, 1, v52
	s_cbranch_vccnz .LBB109_651
; %bb.650:
	scratch_load_b32 v53, v7, off
	ds_load_b32 v54, v1
	s_wait_loadcnt_dscnt 0x0
	v_mul_f32_e32 v53, v53, v54
	s_cbranch_execz .LBB109_652
	s_branch .LBB109_653
.LBB109_651:
                                        ; implicit-def: $vgpr53
.LBB109_652:
	ds_load_b32 v53, v1
.LBB109_653:
	s_mov_b32 s1, exec_lo
	v_cmpx_ne_u32_e32 21, v0
	s_cbranch_execz .LBB109_657
; %bb.654:
	v_add_nc_u32_e32 v54, 0xc4, v6
	v_add3_u32 v55, 0, v6, 4
	v_mov_b32_e32 v56, v0
	s_mov_b32 s2, 0
.LBB109_655:                            ; =>This Inner Loop Header: Depth=1
	scratch_load_b32 v57, v55, off
	ds_load_b32 v58, v54
	v_dual_add_nc_u32 v56, 1, v56 :: v_dual_add_nc_u32 v54, 4, v54
	s_wait_xcnt 0x0
	v_add_nc_u32_e32 v55, 4, v55
	s_delay_alu instid0(VALU_DEP_2)
	v_cmp_lt_u32_e32 vcc_lo, 20, v56
	s_or_b32 s2, vcc_lo, s2
	s_wait_loadcnt_dscnt 0x0
	v_fmac_f32_e32 v53, v57, v58
	s_and_not1_b32 exec_lo, exec_lo, s2
	s_cbranch_execnz .LBB109_655
; %bb.656:
	s_or_b32 exec_lo, exec_lo, s2
.LBB109_657:
	s_delay_alu instid0(SALU_CYCLE_1)
	s_or_b32 exec_lo, exec_lo, s1
	v_mov_b32_e32 v54, 0
	ds_load_b32 v54, v54 offset:88
	s_wait_dscnt 0x0
	v_mul_f32_e32 v53, v53, v54
	scratch_store_b32 off, v53, off offset:88
.LBB109_658:
	s_wait_xcnt 0x0
	s_or_b32 exec_lo, exec_lo, s0
	scratch_load_b32 v53, off, off offset:92
	s_mov_b32 s0, exec_lo
	s_wait_loadcnt 0x0
	ds_store_b32 v1, v53
	s_wait_storecnt_dscnt 0x0
	s_barrier_signal -1
	s_barrier_wait -1
	s_wait_xcnt 0x0
	v_cmpx_gt_u32_e32 23, v0
	s_cbranch_execz .LBB109_668
; %bb.659:
	v_cmp_ne_u32_e32 vcc_lo, 1, v52
	s_cbranch_vccnz .LBB109_661
; %bb.660:
	scratch_load_b32 v53, v7, off
	ds_load_b32 v54, v1
	s_wait_loadcnt_dscnt 0x0
	v_mul_f32_e32 v53, v53, v54
	s_cbranch_execz .LBB109_662
	s_branch .LBB109_663
.LBB109_661:
                                        ; implicit-def: $vgpr53
.LBB109_662:
	ds_load_b32 v53, v1
.LBB109_663:
	s_mov_b32 s1, exec_lo
	v_cmpx_ne_u32_e32 22, v0
	s_cbranch_execz .LBB109_667
; %bb.664:
	v_add_nc_u32_e32 v54, 0xc4, v6
	v_add3_u32 v55, 0, v6, 4
	v_mov_b32_e32 v56, v0
	s_mov_b32 s2, 0
.LBB109_665:                            ; =>This Inner Loop Header: Depth=1
	scratch_load_b32 v57, v55, off
	ds_load_b32 v58, v54
	v_dual_add_nc_u32 v56, 1, v56 :: v_dual_add_nc_u32 v54, 4, v54
	s_wait_xcnt 0x0
	v_add_nc_u32_e32 v55, 4, v55
	s_delay_alu instid0(VALU_DEP_2)
	v_cmp_lt_u32_e32 vcc_lo, 21, v56
	s_or_b32 s2, vcc_lo, s2
	s_wait_loadcnt_dscnt 0x0
	v_fmac_f32_e32 v53, v57, v58
	s_and_not1_b32 exec_lo, exec_lo, s2
	s_cbranch_execnz .LBB109_665
; %bb.666:
	s_or_b32 exec_lo, exec_lo, s2
.LBB109_667:
	s_delay_alu instid0(SALU_CYCLE_1)
	s_or_b32 exec_lo, exec_lo, s1
	v_mov_b32_e32 v54, 0
	ds_load_b32 v54, v54 offset:92
	s_wait_dscnt 0x0
	v_mul_f32_e32 v53, v53, v54
	scratch_store_b32 off, v53, off offset:92
.LBB109_668:
	s_wait_xcnt 0x0
	s_or_b32 exec_lo, exec_lo, s0
	scratch_load_b32 v53, off, off offset:96
	s_mov_b32 s0, exec_lo
	s_wait_loadcnt 0x0
	ds_store_b32 v1, v53
	s_wait_storecnt_dscnt 0x0
	s_barrier_signal -1
	s_barrier_wait -1
	s_wait_xcnt 0x0
	v_cmpx_gt_u32_e32 24, v0
	s_cbranch_execz .LBB109_678
; %bb.669:
	v_cmp_ne_u32_e32 vcc_lo, 1, v52
	s_cbranch_vccnz .LBB109_671
; %bb.670:
	scratch_load_b32 v53, v7, off
	ds_load_b32 v54, v1
	s_wait_loadcnt_dscnt 0x0
	v_mul_f32_e32 v53, v53, v54
	s_cbranch_execz .LBB109_672
	s_branch .LBB109_673
.LBB109_671:
                                        ; implicit-def: $vgpr53
.LBB109_672:
	ds_load_b32 v53, v1
.LBB109_673:
	s_mov_b32 s1, exec_lo
	v_cmpx_ne_u32_e32 23, v0
	s_cbranch_execz .LBB109_677
; %bb.674:
	v_add_nc_u32_e32 v54, 0xc4, v6
	v_add3_u32 v55, 0, v6, 4
	v_mov_b32_e32 v56, v0
	s_mov_b32 s2, 0
.LBB109_675:                            ; =>This Inner Loop Header: Depth=1
	scratch_load_b32 v57, v55, off
	ds_load_b32 v58, v54
	v_dual_add_nc_u32 v56, 1, v56 :: v_dual_add_nc_u32 v54, 4, v54
	s_wait_xcnt 0x0
	v_add_nc_u32_e32 v55, 4, v55
	s_delay_alu instid0(VALU_DEP_2)
	v_cmp_lt_u32_e32 vcc_lo, 22, v56
	s_or_b32 s2, vcc_lo, s2
	s_wait_loadcnt_dscnt 0x0
	v_fmac_f32_e32 v53, v57, v58
	s_and_not1_b32 exec_lo, exec_lo, s2
	s_cbranch_execnz .LBB109_675
; %bb.676:
	s_or_b32 exec_lo, exec_lo, s2
.LBB109_677:
	s_delay_alu instid0(SALU_CYCLE_1)
	s_or_b32 exec_lo, exec_lo, s1
	v_mov_b32_e32 v54, 0
	ds_load_b32 v54, v54 offset:96
	s_wait_dscnt 0x0
	v_mul_f32_e32 v53, v53, v54
	scratch_store_b32 off, v53, off offset:96
.LBB109_678:
	s_wait_xcnt 0x0
	s_or_b32 exec_lo, exec_lo, s0
	scratch_load_b32 v53, off, off offset:100
	s_mov_b32 s0, exec_lo
	s_wait_loadcnt 0x0
	ds_store_b32 v1, v53
	s_wait_storecnt_dscnt 0x0
	s_barrier_signal -1
	s_barrier_wait -1
	s_wait_xcnt 0x0
	v_cmpx_gt_u32_e32 25, v0
	s_cbranch_execz .LBB109_688
; %bb.679:
	v_cmp_ne_u32_e32 vcc_lo, 1, v52
	s_cbranch_vccnz .LBB109_681
; %bb.680:
	scratch_load_b32 v53, v7, off
	ds_load_b32 v54, v1
	s_wait_loadcnt_dscnt 0x0
	v_mul_f32_e32 v53, v53, v54
	s_cbranch_execz .LBB109_682
	s_branch .LBB109_683
.LBB109_681:
                                        ; implicit-def: $vgpr53
.LBB109_682:
	ds_load_b32 v53, v1
.LBB109_683:
	s_mov_b32 s1, exec_lo
	v_cmpx_ne_u32_e32 24, v0
	s_cbranch_execz .LBB109_687
; %bb.684:
	v_add_nc_u32_e32 v54, 0xc4, v6
	v_add3_u32 v55, 0, v6, 4
	v_mov_b32_e32 v56, v0
	s_mov_b32 s2, 0
.LBB109_685:                            ; =>This Inner Loop Header: Depth=1
	scratch_load_b32 v57, v55, off
	ds_load_b32 v58, v54
	v_dual_add_nc_u32 v56, 1, v56 :: v_dual_add_nc_u32 v54, 4, v54
	s_wait_xcnt 0x0
	v_add_nc_u32_e32 v55, 4, v55
	s_delay_alu instid0(VALU_DEP_2)
	v_cmp_lt_u32_e32 vcc_lo, 23, v56
	s_or_b32 s2, vcc_lo, s2
	s_wait_loadcnt_dscnt 0x0
	v_fmac_f32_e32 v53, v57, v58
	s_and_not1_b32 exec_lo, exec_lo, s2
	s_cbranch_execnz .LBB109_685
; %bb.686:
	s_or_b32 exec_lo, exec_lo, s2
.LBB109_687:
	s_delay_alu instid0(SALU_CYCLE_1)
	s_or_b32 exec_lo, exec_lo, s1
	v_mov_b32_e32 v54, 0
	ds_load_b32 v54, v54 offset:100
	s_wait_dscnt 0x0
	v_mul_f32_e32 v53, v53, v54
	scratch_store_b32 off, v53, off offset:100
.LBB109_688:
	s_wait_xcnt 0x0
	s_or_b32 exec_lo, exec_lo, s0
	scratch_load_b32 v53, off, off offset:104
	s_mov_b32 s0, exec_lo
	s_wait_loadcnt 0x0
	ds_store_b32 v1, v53
	s_wait_storecnt_dscnt 0x0
	s_barrier_signal -1
	s_barrier_wait -1
	s_wait_xcnt 0x0
	v_cmpx_gt_u32_e32 26, v0
	s_cbranch_execz .LBB109_698
; %bb.689:
	v_cmp_ne_u32_e32 vcc_lo, 1, v52
	s_cbranch_vccnz .LBB109_691
; %bb.690:
	scratch_load_b32 v53, v7, off
	ds_load_b32 v54, v1
	s_wait_loadcnt_dscnt 0x0
	v_mul_f32_e32 v53, v53, v54
	s_cbranch_execz .LBB109_692
	s_branch .LBB109_693
.LBB109_691:
                                        ; implicit-def: $vgpr53
.LBB109_692:
	ds_load_b32 v53, v1
.LBB109_693:
	s_mov_b32 s1, exec_lo
	v_cmpx_ne_u32_e32 25, v0
	s_cbranch_execz .LBB109_697
; %bb.694:
	v_add_nc_u32_e32 v54, 0xc4, v6
	v_add3_u32 v55, 0, v6, 4
	v_mov_b32_e32 v56, v0
	s_mov_b32 s2, 0
.LBB109_695:                            ; =>This Inner Loop Header: Depth=1
	scratch_load_b32 v57, v55, off
	ds_load_b32 v58, v54
	v_dual_add_nc_u32 v56, 1, v56 :: v_dual_add_nc_u32 v54, 4, v54
	s_wait_xcnt 0x0
	v_add_nc_u32_e32 v55, 4, v55
	s_delay_alu instid0(VALU_DEP_2)
	v_cmp_lt_u32_e32 vcc_lo, 24, v56
	s_or_b32 s2, vcc_lo, s2
	s_wait_loadcnt_dscnt 0x0
	v_fmac_f32_e32 v53, v57, v58
	s_and_not1_b32 exec_lo, exec_lo, s2
	s_cbranch_execnz .LBB109_695
; %bb.696:
	s_or_b32 exec_lo, exec_lo, s2
.LBB109_697:
	s_delay_alu instid0(SALU_CYCLE_1)
	s_or_b32 exec_lo, exec_lo, s1
	v_mov_b32_e32 v54, 0
	ds_load_b32 v54, v54 offset:104
	s_wait_dscnt 0x0
	v_mul_f32_e32 v53, v53, v54
	scratch_store_b32 off, v53, off offset:104
.LBB109_698:
	s_wait_xcnt 0x0
	s_or_b32 exec_lo, exec_lo, s0
	scratch_load_b32 v53, off, off offset:108
	s_mov_b32 s0, exec_lo
	s_wait_loadcnt 0x0
	ds_store_b32 v1, v53
	s_wait_storecnt_dscnt 0x0
	s_barrier_signal -1
	s_barrier_wait -1
	s_wait_xcnt 0x0
	v_cmpx_gt_u32_e32 27, v0
	s_cbranch_execz .LBB109_708
; %bb.699:
	v_cmp_ne_u32_e32 vcc_lo, 1, v52
	s_cbranch_vccnz .LBB109_701
; %bb.700:
	scratch_load_b32 v53, v7, off
	ds_load_b32 v54, v1
	s_wait_loadcnt_dscnt 0x0
	v_mul_f32_e32 v53, v53, v54
	s_cbranch_execz .LBB109_702
	s_branch .LBB109_703
.LBB109_701:
                                        ; implicit-def: $vgpr53
.LBB109_702:
	ds_load_b32 v53, v1
.LBB109_703:
	s_mov_b32 s1, exec_lo
	v_cmpx_ne_u32_e32 26, v0
	s_cbranch_execz .LBB109_707
; %bb.704:
	v_add_nc_u32_e32 v54, 0xc4, v6
	v_add3_u32 v55, 0, v6, 4
	v_mov_b32_e32 v56, v0
	s_mov_b32 s2, 0
.LBB109_705:                            ; =>This Inner Loop Header: Depth=1
	scratch_load_b32 v57, v55, off
	ds_load_b32 v58, v54
	v_dual_add_nc_u32 v56, 1, v56 :: v_dual_add_nc_u32 v54, 4, v54
	s_wait_xcnt 0x0
	v_add_nc_u32_e32 v55, 4, v55
	s_delay_alu instid0(VALU_DEP_2)
	v_cmp_lt_u32_e32 vcc_lo, 25, v56
	s_or_b32 s2, vcc_lo, s2
	s_wait_loadcnt_dscnt 0x0
	v_fmac_f32_e32 v53, v57, v58
	s_and_not1_b32 exec_lo, exec_lo, s2
	s_cbranch_execnz .LBB109_705
; %bb.706:
	s_or_b32 exec_lo, exec_lo, s2
.LBB109_707:
	s_delay_alu instid0(SALU_CYCLE_1)
	s_or_b32 exec_lo, exec_lo, s1
	v_mov_b32_e32 v54, 0
	ds_load_b32 v54, v54 offset:108
	s_wait_dscnt 0x0
	v_mul_f32_e32 v53, v53, v54
	scratch_store_b32 off, v53, off offset:108
.LBB109_708:
	s_wait_xcnt 0x0
	s_or_b32 exec_lo, exec_lo, s0
	scratch_load_b32 v53, off, off offset:112
	s_mov_b32 s0, exec_lo
	s_wait_loadcnt 0x0
	ds_store_b32 v1, v53
	s_wait_storecnt_dscnt 0x0
	s_barrier_signal -1
	s_barrier_wait -1
	s_wait_xcnt 0x0
	v_cmpx_gt_u32_e32 28, v0
	s_cbranch_execz .LBB109_718
; %bb.709:
	v_cmp_ne_u32_e32 vcc_lo, 1, v52
	s_cbranch_vccnz .LBB109_711
; %bb.710:
	scratch_load_b32 v53, v7, off
	ds_load_b32 v54, v1
	s_wait_loadcnt_dscnt 0x0
	v_mul_f32_e32 v53, v53, v54
	s_cbranch_execz .LBB109_712
	s_branch .LBB109_713
.LBB109_711:
                                        ; implicit-def: $vgpr53
.LBB109_712:
	ds_load_b32 v53, v1
.LBB109_713:
	s_mov_b32 s1, exec_lo
	v_cmpx_ne_u32_e32 27, v0
	s_cbranch_execz .LBB109_717
; %bb.714:
	v_add_nc_u32_e32 v54, 0xc4, v6
	v_add3_u32 v55, 0, v6, 4
	v_mov_b32_e32 v56, v0
	s_mov_b32 s2, 0
.LBB109_715:                            ; =>This Inner Loop Header: Depth=1
	scratch_load_b32 v57, v55, off
	ds_load_b32 v58, v54
	v_dual_add_nc_u32 v56, 1, v56 :: v_dual_add_nc_u32 v54, 4, v54
	s_wait_xcnt 0x0
	v_add_nc_u32_e32 v55, 4, v55
	s_delay_alu instid0(VALU_DEP_2)
	v_cmp_lt_u32_e32 vcc_lo, 26, v56
	s_or_b32 s2, vcc_lo, s2
	s_wait_loadcnt_dscnt 0x0
	v_fmac_f32_e32 v53, v57, v58
	s_and_not1_b32 exec_lo, exec_lo, s2
	s_cbranch_execnz .LBB109_715
; %bb.716:
	s_or_b32 exec_lo, exec_lo, s2
.LBB109_717:
	s_delay_alu instid0(SALU_CYCLE_1)
	s_or_b32 exec_lo, exec_lo, s1
	v_mov_b32_e32 v54, 0
	ds_load_b32 v54, v54 offset:112
	s_wait_dscnt 0x0
	v_mul_f32_e32 v53, v53, v54
	scratch_store_b32 off, v53, off offset:112
.LBB109_718:
	s_wait_xcnt 0x0
	s_or_b32 exec_lo, exec_lo, s0
	scratch_load_b32 v53, off, off offset:116
	s_mov_b32 s0, exec_lo
	s_wait_loadcnt 0x0
	ds_store_b32 v1, v53
	s_wait_storecnt_dscnt 0x0
	s_barrier_signal -1
	s_barrier_wait -1
	s_wait_xcnt 0x0
	v_cmpx_gt_u32_e32 29, v0
	s_cbranch_execz .LBB109_728
; %bb.719:
	v_cmp_ne_u32_e32 vcc_lo, 1, v52
	s_cbranch_vccnz .LBB109_721
; %bb.720:
	scratch_load_b32 v53, v7, off
	ds_load_b32 v54, v1
	s_wait_loadcnt_dscnt 0x0
	v_mul_f32_e32 v53, v53, v54
	s_cbranch_execz .LBB109_722
	s_branch .LBB109_723
.LBB109_721:
                                        ; implicit-def: $vgpr53
.LBB109_722:
	ds_load_b32 v53, v1
.LBB109_723:
	s_mov_b32 s1, exec_lo
	v_cmpx_ne_u32_e32 28, v0
	s_cbranch_execz .LBB109_727
; %bb.724:
	v_add_nc_u32_e32 v54, 0xc4, v6
	v_add3_u32 v55, 0, v6, 4
	v_mov_b32_e32 v56, v0
	s_mov_b32 s2, 0
.LBB109_725:                            ; =>This Inner Loop Header: Depth=1
	scratch_load_b32 v57, v55, off
	ds_load_b32 v58, v54
	v_dual_add_nc_u32 v56, 1, v56 :: v_dual_add_nc_u32 v54, 4, v54
	s_wait_xcnt 0x0
	v_add_nc_u32_e32 v55, 4, v55
	s_delay_alu instid0(VALU_DEP_2)
	v_cmp_lt_u32_e32 vcc_lo, 27, v56
	s_or_b32 s2, vcc_lo, s2
	s_wait_loadcnt_dscnt 0x0
	v_fmac_f32_e32 v53, v57, v58
	s_and_not1_b32 exec_lo, exec_lo, s2
	s_cbranch_execnz .LBB109_725
; %bb.726:
	s_or_b32 exec_lo, exec_lo, s2
.LBB109_727:
	s_delay_alu instid0(SALU_CYCLE_1)
	s_or_b32 exec_lo, exec_lo, s1
	v_mov_b32_e32 v54, 0
	ds_load_b32 v54, v54 offset:116
	s_wait_dscnt 0x0
	v_mul_f32_e32 v53, v53, v54
	scratch_store_b32 off, v53, off offset:116
.LBB109_728:
	s_wait_xcnt 0x0
	s_or_b32 exec_lo, exec_lo, s0
	scratch_load_b32 v53, off, off offset:120
	s_mov_b32 s0, exec_lo
	s_wait_loadcnt 0x0
	ds_store_b32 v1, v53
	s_wait_storecnt_dscnt 0x0
	s_barrier_signal -1
	s_barrier_wait -1
	s_wait_xcnt 0x0
	v_cmpx_gt_u32_e32 30, v0
	s_cbranch_execz .LBB109_738
; %bb.729:
	v_cmp_ne_u32_e32 vcc_lo, 1, v52
	s_cbranch_vccnz .LBB109_731
; %bb.730:
	scratch_load_b32 v53, v7, off
	ds_load_b32 v54, v1
	s_wait_loadcnt_dscnt 0x0
	v_mul_f32_e32 v53, v53, v54
	s_cbranch_execz .LBB109_732
	s_branch .LBB109_733
.LBB109_731:
                                        ; implicit-def: $vgpr53
.LBB109_732:
	ds_load_b32 v53, v1
.LBB109_733:
	s_mov_b32 s1, exec_lo
	v_cmpx_ne_u32_e32 29, v0
	s_cbranch_execz .LBB109_737
; %bb.734:
	v_add_nc_u32_e32 v54, 0xc4, v6
	v_add3_u32 v55, 0, v6, 4
	v_mov_b32_e32 v56, v0
	s_mov_b32 s2, 0
.LBB109_735:                            ; =>This Inner Loop Header: Depth=1
	scratch_load_b32 v57, v55, off
	ds_load_b32 v58, v54
	v_dual_add_nc_u32 v56, 1, v56 :: v_dual_add_nc_u32 v54, 4, v54
	s_wait_xcnt 0x0
	v_add_nc_u32_e32 v55, 4, v55
	s_delay_alu instid0(VALU_DEP_2)
	v_cmp_lt_u32_e32 vcc_lo, 28, v56
	s_or_b32 s2, vcc_lo, s2
	s_wait_loadcnt_dscnt 0x0
	v_fmac_f32_e32 v53, v57, v58
	s_and_not1_b32 exec_lo, exec_lo, s2
	s_cbranch_execnz .LBB109_735
; %bb.736:
	s_or_b32 exec_lo, exec_lo, s2
.LBB109_737:
	s_delay_alu instid0(SALU_CYCLE_1)
	s_or_b32 exec_lo, exec_lo, s1
	v_mov_b32_e32 v54, 0
	ds_load_b32 v54, v54 offset:120
	s_wait_dscnt 0x0
	v_mul_f32_e32 v53, v53, v54
	scratch_store_b32 off, v53, off offset:120
.LBB109_738:
	s_wait_xcnt 0x0
	s_or_b32 exec_lo, exec_lo, s0
	scratch_load_b32 v53, off, off offset:124
	s_mov_b32 s0, exec_lo
	s_wait_loadcnt 0x0
	ds_store_b32 v1, v53
	s_wait_storecnt_dscnt 0x0
	s_barrier_signal -1
	s_barrier_wait -1
	s_wait_xcnt 0x0
	v_cmpx_gt_u32_e32 31, v0
	s_cbranch_execz .LBB109_748
; %bb.739:
	v_cmp_ne_u32_e32 vcc_lo, 1, v52
	s_cbranch_vccnz .LBB109_741
; %bb.740:
	scratch_load_b32 v53, v7, off
	ds_load_b32 v54, v1
	s_wait_loadcnt_dscnt 0x0
	v_mul_f32_e32 v53, v53, v54
	s_cbranch_execz .LBB109_742
	s_branch .LBB109_743
.LBB109_741:
                                        ; implicit-def: $vgpr53
.LBB109_742:
	ds_load_b32 v53, v1
.LBB109_743:
	s_mov_b32 s1, exec_lo
	v_cmpx_ne_u32_e32 30, v0
	s_cbranch_execz .LBB109_747
; %bb.744:
	v_add_nc_u32_e32 v54, 0xc4, v6
	v_add3_u32 v55, 0, v6, 4
	v_mov_b32_e32 v56, v0
	s_mov_b32 s2, 0
.LBB109_745:                            ; =>This Inner Loop Header: Depth=1
	scratch_load_b32 v57, v55, off
	ds_load_b32 v58, v54
	v_dual_add_nc_u32 v56, 1, v56 :: v_dual_add_nc_u32 v54, 4, v54
	s_wait_xcnt 0x0
	v_add_nc_u32_e32 v55, 4, v55
	s_delay_alu instid0(VALU_DEP_2)
	v_cmp_lt_u32_e32 vcc_lo, 29, v56
	s_or_b32 s2, vcc_lo, s2
	s_wait_loadcnt_dscnt 0x0
	v_fmac_f32_e32 v53, v57, v58
	s_and_not1_b32 exec_lo, exec_lo, s2
	s_cbranch_execnz .LBB109_745
; %bb.746:
	s_or_b32 exec_lo, exec_lo, s2
.LBB109_747:
	s_delay_alu instid0(SALU_CYCLE_1)
	s_or_b32 exec_lo, exec_lo, s1
	v_mov_b32_e32 v54, 0
	ds_load_b32 v54, v54 offset:124
	s_wait_dscnt 0x0
	v_mul_f32_e32 v53, v53, v54
	scratch_store_b32 off, v53, off offset:124
.LBB109_748:
	s_wait_xcnt 0x0
	s_or_b32 exec_lo, exec_lo, s0
	scratch_load_b32 v53, off, off offset:128
	s_mov_b32 s0, exec_lo
	s_wait_loadcnt 0x0
	ds_store_b32 v1, v53
	s_wait_storecnt_dscnt 0x0
	s_barrier_signal -1
	s_barrier_wait -1
	s_wait_xcnt 0x0
	v_cmpx_gt_u32_e32 32, v0
	s_cbranch_execz .LBB109_758
; %bb.749:
	v_cmp_ne_u32_e32 vcc_lo, 1, v52
	s_cbranch_vccnz .LBB109_751
; %bb.750:
	scratch_load_b32 v53, v7, off
	ds_load_b32 v54, v1
	s_wait_loadcnt_dscnt 0x0
	v_mul_f32_e32 v53, v53, v54
	s_cbranch_execz .LBB109_752
	s_branch .LBB109_753
.LBB109_751:
                                        ; implicit-def: $vgpr53
.LBB109_752:
	ds_load_b32 v53, v1
.LBB109_753:
	s_mov_b32 s1, exec_lo
	v_cmpx_ne_u32_e32 31, v0
	s_cbranch_execz .LBB109_757
; %bb.754:
	v_add_nc_u32_e32 v54, 0xc4, v6
	v_add3_u32 v55, 0, v6, 4
	v_mov_b32_e32 v56, v0
	s_mov_b32 s2, 0
.LBB109_755:                            ; =>This Inner Loop Header: Depth=1
	scratch_load_b32 v57, v55, off
	ds_load_b32 v58, v54
	v_dual_add_nc_u32 v56, 1, v56 :: v_dual_add_nc_u32 v54, 4, v54
	s_wait_xcnt 0x0
	v_add_nc_u32_e32 v55, 4, v55
	s_delay_alu instid0(VALU_DEP_2)
	v_cmp_lt_u32_e32 vcc_lo, 30, v56
	s_or_b32 s2, vcc_lo, s2
	s_wait_loadcnt_dscnt 0x0
	v_fmac_f32_e32 v53, v57, v58
	s_and_not1_b32 exec_lo, exec_lo, s2
	s_cbranch_execnz .LBB109_755
; %bb.756:
	s_or_b32 exec_lo, exec_lo, s2
.LBB109_757:
	s_delay_alu instid0(SALU_CYCLE_1)
	s_or_b32 exec_lo, exec_lo, s1
	v_mov_b32_e32 v54, 0
	ds_load_b32 v54, v54 offset:128
	s_wait_dscnt 0x0
	v_mul_f32_e32 v53, v53, v54
	scratch_store_b32 off, v53, off offset:128
.LBB109_758:
	s_wait_xcnt 0x0
	s_or_b32 exec_lo, exec_lo, s0
	scratch_load_b32 v53, off, off offset:132
	s_mov_b32 s0, exec_lo
	s_wait_loadcnt 0x0
	ds_store_b32 v1, v53
	s_wait_storecnt_dscnt 0x0
	s_barrier_signal -1
	s_barrier_wait -1
	s_wait_xcnt 0x0
	v_cmpx_gt_u32_e32 33, v0
	s_cbranch_execz .LBB109_768
; %bb.759:
	v_cmp_ne_u32_e32 vcc_lo, 1, v52
	s_cbranch_vccnz .LBB109_761
; %bb.760:
	scratch_load_b32 v53, v7, off
	ds_load_b32 v54, v1
	s_wait_loadcnt_dscnt 0x0
	v_mul_f32_e32 v53, v53, v54
	s_cbranch_execz .LBB109_762
	s_branch .LBB109_763
.LBB109_761:
                                        ; implicit-def: $vgpr53
.LBB109_762:
	ds_load_b32 v53, v1
.LBB109_763:
	s_mov_b32 s1, exec_lo
	v_cmpx_ne_u32_e32 32, v0
	s_cbranch_execz .LBB109_767
; %bb.764:
	v_add_nc_u32_e32 v54, 0xc4, v6
	v_add3_u32 v55, 0, v6, 4
	v_mov_b32_e32 v56, v0
	s_mov_b32 s2, 0
.LBB109_765:                            ; =>This Inner Loop Header: Depth=1
	scratch_load_b32 v57, v55, off
	ds_load_b32 v58, v54
	v_dual_add_nc_u32 v56, 1, v56 :: v_dual_add_nc_u32 v54, 4, v54
	s_wait_xcnt 0x0
	v_add_nc_u32_e32 v55, 4, v55
	s_delay_alu instid0(VALU_DEP_2)
	v_cmp_lt_u32_e32 vcc_lo, 31, v56
	s_or_b32 s2, vcc_lo, s2
	s_wait_loadcnt_dscnt 0x0
	v_fmac_f32_e32 v53, v57, v58
	s_and_not1_b32 exec_lo, exec_lo, s2
	s_cbranch_execnz .LBB109_765
; %bb.766:
	s_or_b32 exec_lo, exec_lo, s2
.LBB109_767:
	s_delay_alu instid0(SALU_CYCLE_1)
	s_or_b32 exec_lo, exec_lo, s1
	v_mov_b32_e32 v54, 0
	ds_load_b32 v54, v54 offset:132
	s_wait_dscnt 0x0
	v_mul_f32_e32 v53, v53, v54
	scratch_store_b32 off, v53, off offset:132
.LBB109_768:
	s_wait_xcnt 0x0
	s_or_b32 exec_lo, exec_lo, s0
	scratch_load_b32 v53, off, off offset:136
	s_mov_b32 s0, exec_lo
	s_wait_loadcnt 0x0
	ds_store_b32 v1, v53
	s_wait_storecnt_dscnt 0x0
	s_barrier_signal -1
	s_barrier_wait -1
	s_wait_xcnt 0x0
	v_cmpx_gt_u32_e32 34, v0
	s_cbranch_execz .LBB109_778
; %bb.769:
	v_cmp_ne_u32_e32 vcc_lo, 1, v52
	s_cbranch_vccnz .LBB109_771
; %bb.770:
	scratch_load_b32 v53, v7, off
	ds_load_b32 v54, v1
	s_wait_loadcnt_dscnt 0x0
	v_mul_f32_e32 v53, v53, v54
	s_cbranch_execz .LBB109_772
	s_branch .LBB109_773
.LBB109_771:
                                        ; implicit-def: $vgpr53
.LBB109_772:
	ds_load_b32 v53, v1
.LBB109_773:
	s_mov_b32 s1, exec_lo
	v_cmpx_ne_u32_e32 33, v0
	s_cbranch_execz .LBB109_777
; %bb.774:
	v_add_nc_u32_e32 v54, 0xc4, v6
	v_add3_u32 v55, 0, v6, 4
	v_mov_b32_e32 v56, v0
	s_mov_b32 s2, 0
.LBB109_775:                            ; =>This Inner Loop Header: Depth=1
	scratch_load_b32 v57, v55, off
	ds_load_b32 v58, v54
	v_dual_add_nc_u32 v56, 1, v56 :: v_dual_add_nc_u32 v54, 4, v54
	s_wait_xcnt 0x0
	v_add_nc_u32_e32 v55, 4, v55
	s_delay_alu instid0(VALU_DEP_2)
	v_cmp_lt_u32_e32 vcc_lo, 32, v56
	s_or_b32 s2, vcc_lo, s2
	s_wait_loadcnt_dscnt 0x0
	v_fmac_f32_e32 v53, v57, v58
	s_and_not1_b32 exec_lo, exec_lo, s2
	s_cbranch_execnz .LBB109_775
; %bb.776:
	s_or_b32 exec_lo, exec_lo, s2
.LBB109_777:
	s_delay_alu instid0(SALU_CYCLE_1)
	s_or_b32 exec_lo, exec_lo, s1
	v_mov_b32_e32 v54, 0
	ds_load_b32 v54, v54 offset:136
	s_wait_dscnt 0x0
	v_mul_f32_e32 v53, v53, v54
	scratch_store_b32 off, v53, off offset:136
.LBB109_778:
	s_wait_xcnt 0x0
	s_or_b32 exec_lo, exec_lo, s0
	scratch_load_b32 v53, off, off offset:140
	s_mov_b32 s0, exec_lo
	s_wait_loadcnt 0x0
	ds_store_b32 v1, v53
	s_wait_storecnt_dscnt 0x0
	s_barrier_signal -1
	s_barrier_wait -1
	s_wait_xcnt 0x0
	v_cmpx_gt_u32_e32 35, v0
	s_cbranch_execz .LBB109_788
; %bb.779:
	v_cmp_ne_u32_e32 vcc_lo, 1, v52
	s_cbranch_vccnz .LBB109_781
; %bb.780:
	scratch_load_b32 v53, v7, off
	ds_load_b32 v54, v1
	s_wait_loadcnt_dscnt 0x0
	v_mul_f32_e32 v53, v53, v54
	s_cbranch_execz .LBB109_782
	s_branch .LBB109_783
.LBB109_781:
                                        ; implicit-def: $vgpr53
.LBB109_782:
	ds_load_b32 v53, v1
.LBB109_783:
	s_mov_b32 s1, exec_lo
	v_cmpx_ne_u32_e32 34, v0
	s_cbranch_execz .LBB109_787
; %bb.784:
	v_add_nc_u32_e32 v54, 0xc4, v6
	v_add3_u32 v55, 0, v6, 4
	v_mov_b32_e32 v56, v0
	s_mov_b32 s2, 0
.LBB109_785:                            ; =>This Inner Loop Header: Depth=1
	scratch_load_b32 v57, v55, off
	ds_load_b32 v58, v54
	v_dual_add_nc_u32 v56, 1, v56 :: v_dual_add_nc_u32 v54, 4, v54
	s_wait_xcnt 0x0
	v_add_nc_u32_e32 v55, 4, v55
	s_delay_alu instid0(VALU_DEP_2)
	v_cmp_lt_u32_e32 vcc_lo, 33, v56
	s_or_b32 s2, vcc_lo, s2
	s_wait_loadcnt_dscnt 0x0
	v_fmac_f32_e32 v53, v57, v58
	s_and_not1_b32 exec_lo, exec_lo, s2
	s_cbranch_execnz .LBB109_785
; %bb.786:
	s_or_b32 exec_lo, exec_lo, s2
.LBB109_787:
	s_delay_alu instid0(SALU_CYCLE_1)
	s_or_b32 exec_lo, exec_lo, s1
	v_mov_b32_e32 v54, 0
	ds_load_b32 v54, v54 offset:140
	s_wait_dscnt 0x0
	v_mul_f32_e32 v53, v53, v54
	scratch_store_b32 off, v53, off offset:140
.LBB109_788:
	s_wait_xcnt 0x0
	s_or_b32 exec_lo, exec_lo, s0
	scratch_load_b32 v53, off, off offset:144
	s_mov_b32 s0, exec_lo
	s_wait_loadcnt 0x0
	ds_store_b32 v1, v53
	s_wait_storecnt_dscnt 0x0
	s_barrier_signal -1
	s_barrier_wait -1
	s_wait_xcnt 0x0
	v_cmpx_gt_u32_e32 36, v0
	s_cbranch_execz .LBB109_798
; %bb.789:
	v_cmp_ne_u32_e32 vcc_lo, 1, v52
	s_cbranch_vccnz .LBB109_791
; %bb.790:
	scratch_load_b32 v53, v7, off
	ds_load_b32 v54, v1
	s_wait_loadcnt_dscnt 0x0
	v_mul_f32_e32 v53, v53, v54
	s_cbranch_execz .LBB109_792
	s_branch .LBB109_793
.LBB109_791:
                                        ; implicit-def: $vgpr53
.LBB109_792:
	ds_load_b32 v53, v1
.LBB109_793:
	s_mov_b32 s1, exec_lo
	v_cmpx_ne_u32_e32 35, v0
	s_cbranch_execz .LBB109_797
; %bb.794:
	v_add_nc_u32_e32 v54, 0xc4, v6
	v_add3_u32 v55, 0, v6, 4
	v_mov_b32_e32 v56, v0
	s_mov_b32 s2, 0
.LBB109_795:                            ; =>This Inner Loop Header: Depth=1
	scratch_load_b32 v57, v55, off
	ds_load_b32 v58, v54
	v_dual_add_nc_u32 v56, 1, v56 :: v_dual_add_nc_u32 v54, 4, v54
	s_wait_xcnt 0x0
	v_add_nc_u32_e32 v55, 4, v55
	s_delay_alu instid0(VALU_DEP_2)
	v_cmp_lt_u32_e32 vcc_lo, 34, v56
	s_or_b32 s2, vcc_lo, s2
	s_wait_loadcnt_dscnt 0x0
	v_fmac_f32_e32 v53, v57, v58
	s_and_not1_b32 exec_lo, exec_lo, s2
	s_cbranch_execnz .LBB109_795
; %bb.796:
	s_or_b32 exec_lo, exec_lo, s2
.LBB109_797:
	s_delay_alu instid0(SALU_CYCLE_1)
	s_or_b32 exec_lo, exec_lo, s1
	v_mov_b32_e32 v54, 0
	ds_load_b32 v54, v54 offset:144
	s_wait_dscnt 0x0
	v_mul_f32_e32 v53, v53, v54
	scratch_store_b32 off, v53, off offset:144
.LBB109_798:
	s_wait_xcnt 0x0
	s_or_b32 exec_lo, exec_lo, s0
	scratch_load_b32 v53, off, off offset:148
	s_mov_b32 s0, exec_lo
	s_wait_loadcnt 0x0
	ds_store_b32 v1, v53
	s_wait_storecnt_dscnt 0x0
	s_barrier_signal -1
	s_barrier_wait -1
	s_wait_xcnt 0x0
	v_cmpx_gt_u32_e32 37, v0
	s_cbranch_execz .LBB109_808
; %bb.799:
	v_cmp_ne_u32_e32 vcc_lo, 1, v52
	s_cbranch_vccnz .LBB109_801
; %bb.800:
	scratch_load_b32 v53, v7, off
	ds_load_b32 v54, v1
	s_wait_loadcnt_dscnt 0x0
	v_mul_f32_e32 v53, v53, v54
	s_cbranch_execz .LBB109_802
	s_branch .LBB109_803
.LBB109_801:
                                        ; implicit-def: $vgpr53
.LBB109_802:
	ds_load_b32 v53, v1
.LBB109_803:
	s_mov_b32 s1, exec_lo
	v_cmpx_ne_u32_e32 36, v0
	s_cbranch_execz .LBB109_807
; %bb.804:
	v_add_nc_u32_e32 v54, 0xc4, v6
	v_add3_u32 v55, 0, v6, 4
	v_mov_b32_e32 v56, v0
	s_mov_b32 s2, 0
.LBB109_805:                            ; =>This Inner Loop Header: Depth=1
	scratch_load_b32 v57, v55, off
	ds_load_b32 v58, v54
	v_dual_add_nc_u32 v56, 1, v56 :: v_dual_add_nc_u32 v54, 4, v54
	s_wait_xcnt 0x0
	v_add_nc_u32_e32 v55, 4, v55
	s_delay_alu instid0(VALU_DEP_2)
	v_cmp_lt_u32_e32 vcc_lo, 35, v56
	s_or_b32 s2, vcc_lo, s2
	s_wait_loadcnt_dscnt 0x0
	v_fmac_f32_e32 v53, v57, v58
	s_and_not1_b32 exec_lo, exec_lo, s2
	s_cbranch_execnz .LBB109_805
; %bb.806:
	s_or_b32 exec_lo, exec_lo, s2
.LBB109_807:
	s_delay_alu instid0(SALU_CYCLE_1)
	s_or_b32 exec_lo, exec_lo, s1
	v_mov_b32_e32 v54, 0
	ds_load_b32 v54, v54 offset:148
	s_wait_dscnt 0x0
	v_mul_f32_e32 v53, v53, v54
	scratch_store_b32 off, v53, off offset:148
.LBB109_808:
	s_wait_xcnt 0x0
	s_or_b32 exec_lo, exec_lo, s0
	scratch_load_b32 v53, off, off offset:152
	s_mov_b32 s0, exec_lo
	s_wait_loadcnt 0x0
	ds_store_b32 v1, v53
	s_wait_storecnt_dscnt 0x0
	s_barrier_signal -1
	s_barrier_wait -1
	s_wait_xcnt 0x0
	v_cmpx_gt_u32_e32 38, v0
	s_cbranch_execz .LBB109_818
; %bb.809:
	v_cmp_ne_u32_e32 vcc_lo, 1, v52
	s_cbranch_vccnz .LBB109_811
; %bb.810:
	scratch_load_b32 v53, v7, off
	ds_load_b32 v54, v1
	s_wait_loadcnt_dscnt 0x0
	v_mul_f32_e32 v53, v53, v54
	s_cbranch_execz .LBB109_812
	s_branch .LBB109_813
.LBB109_811:
                                        ; implicit-def: $vgpr53
.LBB109_812:
	ds_load_b32 v53, v1
.LBB109_813:
	s_mov_b32 s1, exec_lo
	v_cmpx_ne_u32_e32 37, v0
	s_cbranch_execz .LBB109_817
; %bb.814:
	v_add_nc_u32_e32 v54, 0xc4, v6
	v_add3_u32 v55, 0, v6, 4
	v_mov_b32_e32 v56, v0
	s_mov_b32 s2, 0
.LBB109_815:                            ; =>This Inner Loop Header: Depth=1
	scratch_load_b32 v57, v55, off
	ds_load_b32 v58, v54
	v_dual_add_nc_u32 v56, 1, v56 :: v_dual_add_nc_u32 v54, 4, v54
	s_wait_xcnt 0x0
	v_add_nc_u32_e32 v55, 4, v55
	s_delay_alu instid0(VALU_DEP_2)
	v_cmp_lt_u32_e32 vcc_lo, 36, v56
	s_or_b32 s2, vcc_lo, s2
	s_wait_loadcnt_dscnt 0x0
	v_fmac_f32_e32 v53, v57, v58
	s_and_not1_b32 exec_lo, exec_lo, s2
	s_cbranch_execnz .LBB109_815
; %bb.816:
	s_or_b32 exec_lo, exec_lo, s2
.LBB109_817:
	s_delay_alu instid0(SALU_CYCLE_1)
	s_or_b32 exec_lo, exec_lo, s1
	v_mov_b32_e32 v54, 0
	ds_load_b32 v54, v54 offset:152
	s_wait_dscnt 0x0
	v_mul_f32_e32 v53, v53, v54
	scratch_store_b32 off, v53, off offset:152
.LBB109_818:
	s_wait_xcnt 0x0
	s_or_b32 exec_lo, exec_lo, s0
	scratch_load_b32 v53, off, off offset:156
	s_mov_b32 s0, exec_lo
	s_wait_loadcnt 0x0
	ds_store_b32 v1, v53
	s_wait_storecnt_dscnt 0x0
	s_barrier_signal -1
	s_barrier_wait -1
	s_wait_xcnt 0x0
	v_cmpx_gt_u32_e32 39, v0
	s_cbranch_execz .LBB109_828
; %bb.819:
	v_cmp_ne_u32_e32 vcc_lo, 1, v52
	s_cbranch_vccnz .LBB109_821
; %bb.820:
	scratch_load_b32 v53, v7, off
	ds_load_b32 v54, v1
	s_wait_loadcnt_dscnt 0x0
	v_mul_f32_e32 v53, v53, v54
	s_cbranch_execz .LBB109_822
	s_branch .LBB109_823
.LBB109_821:
                                        ; implicit-def: $vgpr53
.LBB109_822:
	ds_load_b32 v53, v1
.LBB109_823:
	s_mov_b32 s1, exec_lo
	v_cmpx_ne_u32_e32 38, v0
	s_cbranch_execz .LBB109_827
; %bb.824:
	v_add_nc_u32_e32 v54, 0xc4, v6
	v_add3_u32 v55, 0, v6, 4
	v_mov_b32_e32 v56, v0
	s_mov_b32 s2, 0
.LBB109_825:                            ; =>This Inner Loop Header: Depth=1
	scratch_load_b32 v57, v55, off
	ds_load_b32 v58, v54
	v_dual_add_nc_u32 v56, 1, v56 :: v_dual_add_nc_u32 v54, 4, v54
	s_wait_xcnt 0x0
	v_add_nc_u32_e32 v55, 4, v55
	s_delay_alu instid0(VALU_DEP_2)
	v_cmp_lt_u32_e32 vcc_lo, 37, v56
	s_or_b32 s2, vcc_lo, s2
	s_wait_loadcnt_dscnt 0x0
	v_fmac_f32_e32 v53, v57, v58
	s_and_not1_b32 exec_lo, exec_lo, s2
	s_cbranch_execnz .LBB109_825
; %bb.826:
	s_or_b32 exec_lo, exec_lo, s2
.LBB109_827:
	s_delay_alu instid0(SALU_CYCLE_1)
	s_or_b32 exec_lo, exec_lo, s1
	v_mov_b32_e32 v54, 0
	ds_load_b32 v54, v54 offset:156
	s_wait_dscnt 0x0
	v_mul_f32_e32 v53, v53, v54
	scratch_store_b32 off, v53, off offset:156
.LBB109_828:
	s_wait_xcnt 0x0
	s_or_b32 exec_lo, exec_lo, s0
	scratch_load_b32 v53, off, off offset:160
	s_mov_b32 s0, exec_lo
	s_wait_loadcnt 0x0
	ds_store_b32 v1, v53
	s_wait_storecnt_dscnt 0x0
	s_barrier_signal -1
	s_barrier_wait -1
	s_wait_xcnt 0x0
	v_cmpx_gt_u32_e32 40, v0
	s_cbranch_execz .LBB109_838
; %bb.829:
	v_cmp_ne_u32_e32 vcc_lo, 1, v52
	s_cbranch_vccnz .LBB109_831
; %bb.830:
	scratch_load_b32 v53, v7, off
	ds_load_b32 v54, v1
	s_wait_loadcnt_dscnt 0x0
	v_mul_f32_e32 v53, v53, v54
	s_cbranch_execz .LBB109_832
	s_branch .LBB109_833
.LBB109_831:
                                        ; implicit-def: $vgpr53
.LBB109_832:
	ds_load_b32 v53, v1
.LBB109_833:
	s_mov_b32 s1, exec_lo
	v_cmpx_ne_u32_e32 39, v0
	s_cbranch_execz .LBB109_837
; %bb.834:
	v_add_nc_u32_e32 v54, 0xc4, v6
	v_add3_u32 v55, 0, v6, 4
	v_mov_b32_e32 v56, v0
	s_mov_b32 s2, 0
.LBB109_835:                            ; =>This Inner Loop Header: Depth=1
	scratch_load_b32 v57, v55, off
	ds_load_b32 v58, v54
	v_dual_add_nc_u32 v56, 1, v56 :: v_dual_add_nc_u32 v54, 4, v54
	s_wait_xcnt 0x0
	v_add_nc_u32_e32 v55, 4, v55
	s_delay_alu instid0(VALU_DEP_2)
	v_cmp_lt_u32_e32 vcc_lo, 38, v56
	s_or_b32 s2, vcc_lo, s2
	s_wait_loadcnt_dscnt 0x0
	v_fmac_f32_e32 v53, v57, v58
	s_and_not1_b32 exec_lo, exec_lo, s2
	s_cbranch_execnz .LBB109_835
; %bb.836:
	s_or_b32 exec_lo, exec_lo, s2
.LBB109_837:
	s_delay_alu instid0(SALU_CYCLE_1)
	s_or_b32 exec_lo, exec_lo, s1
	v_mov_b32_e32 v54, 0
	ds_load_b32 v54, v54 offset:160
	s_wait_dscnt 0x0
	v_mul_f32_e32 v53, v53, v54
	scratch_store_b32 off, v53, off offset:160
.LBB109_838:
	s_wait_xcnt 0x0
	s_or_b32 exec_lo, exec_lo, s0
	scratch_load_b32 v53, off, off offset:164
	s_mov_b32 s0, exec_lo
	s_wait_loadcnt 0x0
	ds_store_b32 v1, v53
	s_wait_storecnt_dscnt 0x0
	s_barrier_signal -1
	s_barrier_wait -1
	s_wait_xcnt 0x0
	v_cmpx_gt_u32_e32 41, v0
	s_cbranch_execz .LBB109_848
; %bb.839:
	v_cmp_ne_u32_e32 vcc_lo, 1, v52
	s_cbranch_vccnz .LBB109_841
; %bb.840:
	scratch_load_b32 v53, v7, off
	ds_load_b32 v54, v1
	s_wait_loadcnt_dscnt 0x0
	v_mul_f32_e32 v53, v53, v54
	s_cbranch_execz .LBB109_842
	s_branch .LBB109_843
.LBB109_841:
                                        ; implicit-def: $vgpr53
.LBB109_842:
	ds_load_b32 v53, v1
.LBB109_843:
	s_mov_b32 s1, exec_lo
	v_cmpx_ne_u32_e32 40, v0
	s_cbranch_execz .LBB109_847
; %bb.844:
	v_add_nc_u32_e32 v54, 0xc4, v6
	v_add3_u32 v55, 0, v6, 4
	v_mov_b32_e32 v56, v0
	s_mov_b32 s2, 0
.LBB109_845:                            ; =>This Inner Loop Header: Depth=1
	scratch_load_b32 v57, v55, off
	ds_load_b32 v58, v54
	v_dual_add_nc_u32 v56, 1, v56 :: v_dual_add_nc_u32 v54, 4, v54
	s_wait_xcnt 0x0
	v_add_nc_u32_e32 v55, 4, v55
	s_delay_alu instid0(VALU_DEP_2)
	v_cmp_lt_u32_e32 vcc_lo, 39, v56
	s_or_b32 s2, vcc_lo, s2
	s_wait_loadcnt_dscnt 0x0
	v_fmac_f32_e32 v53, v57, v58
	s_and_not1_b32 exec_lo, exec_lo, s2
	s_cbranch_execnz .LBB109_845
; %bb.846:
	s_or_b32 exec_lo, exec_lo, s2
.LBB109_847:
	s_delay_alu instid0(SALU_CYCLE_1)
	s_or_b32 exec_lo, exec_lo, s1
	v_mov_b32_e32 v54, 0
	ds_load_b32 v54, v54 offset:164
	s_wait_dscnt 0x0
	v_mul_f32_e32 v53, v53, v54
	scratch_store_b32 off, v53, off offset:164
.LBB109_848:
	s_wait_xcnt 0x0
	s_or_b32 exec_lo, exec_lo, s0
	scratch_load_b32 v53, off, off offset:168
	s_mov_b32 s0, exec_lo
	s_wait_loadcnt 0x0
	ds_store_b32 v1, v53
	s_wait_storecnt_dscnt 0x0
	s_barrier_signal -1
	s_barrier_wait -1
	s_wait_xcnt 0x0
	v_cmpx_gt_u32_e32 42, v0
	s_cbranch_execz .LBB109_858
; %bb.849:
	v_cmp_ne_u32_e32 vcc_lo, 1, v52
	s_cbranch_vccnz .LBB109_851
; %bb.850:
	scratch_load_b32 v53, v7, off
	ds_load_b32 v54, v1
	s_wait_loadcnt_dscnt 0x0
	v_mul_f32_e32 v53, v53, v54
	s_cbranch_execz .LBB109_852
	s_branch .LBB109_853
.LBB109_851:
                                        ; implicit-def: $vgpr53
.LBB109_852:
	ds_load_b32 v53, v1
.LBB109_853:
	s_mov_b32 s1, exec_lo
	v_cmpx_ne_u32_e32 41, v0
	s_cbranch_execz .LBB109_857
; %bb.854:
	v_add_nc_u32_e32 v54, 0xc4, v6
	v_add3_u32 v55, 0, v6, 4
	v_mov_b32_e32 v56, v0
	s_mov_b32 s2, 0
.LBB109_855:                            ; =>This Inner Loop Header: Depth=1
	scratch_load_b32 v57, v55, off
	ds_load_b32 v58, v54
	v_dual_add_nc_u32 v56, 1, v56 :: v_dual_add_nc_u32 v54, 4, v54
	s_wait_xcnt 0x0
	v_add_nc_u32_e32 v55, 4, v55
	s_delay_alu instid0(VALU_DEP_2)
	v_cmp_lt_u32_e32 vcc_lo, 40, v56
	s_or_b32 s2, vcc_lo, s2
	s_wait_loadcnt_dscnt 0x0
	v_fmac_f32_e32 v53, v57, v58
	s_and_not1_b32 exec_lo, exec_lo, s2
	s_cbranch_execnz .LBB109_855
; %bb.856:
	s_or_b32 exec_lo, exec_lo, s2
.LBB109_857:
	s_delay_alu instid0(SALU_CYCLE_1)
	s_or_b32 exec_lo, exec_lo, s1
	v_mov_b32_e32 v54, 0
	ds_load_b32 v54, v54 offset:168
	s_wait_dscnt 0x0
	v_mul_f32_e32 v53, v53, v54
	scratch_store_b32 off, v53, off offset:168
.LBB109_858:
	s_wait_xcnt 0x0
	s_or_b32 exec_lo, exec_lo, s0
	scratch_load_b32 v53, off, off offset:172
	s_mov_b32 s0, exec_lo
	s_wait_loadcnt 0x0
	ds_store_b32 v1, v53
	s_wait_storecnt_dscnt 0x0
	s_barrier_signal -1
	s_barrier_wait -1
	s_wait_xcnt 0x0
	v_cmpx_gt_u32_e32 43, v0
	s_cbranch_execz .LBB109_868
; %bb.859:
	v_cmp_ne_u32_e32 vcc_lo, 1, v52
	s_cbranch_vccnz .LBB109_861
; %bb.860:
	scratch_load_b32 v53, v7, off
	ds_load_b32 v54, v1
	s_wait_loadcnt_dscnt 0x0
	v_mul_f32_e32 v53, v53, v54
	s_cbranch_execz .LBB109_862
	s_branch .LBB109_863
.LBB109_861:
                                        ; implicit-def: $vgpr53
.LBB109_862:
	ds_load_b32 v53, v1
.LBB109_863:
	s_mov_b32 s1, exec_lo
	v_cmpx_ne_u32_e32 42, v0
	s_cbranch_execz .LBB109_867
; %bb.864:
	v_add_nc_u32_e32 v54, 0xc4, v6
	v_add3_u32 v55, 0, v6, 4
	v_mov_b32_e32 v56, v0
	s_mov_b32 s2, 0
.LBB109_865:                            ; =>This Inner Loop Header: Depth=1
	scratch_load_b32 v57, v55, off
	ds_load_b32 v58, v54
	v_dual_add_nc_u32 v56, 1, v56 :: v_dual_add_nc_u32 v54, 4, v54
	s_wait_xcnt 0x0
	v_add_nc_u32_e32 v55, 4, v55
	s_delay_alu instid0(VALU_DEP_2)
	v_cmp_lt_u32_e32 vcc_lo, 41, v56
	s_or_b32 s2, vcc_lo, s2
	s_wait_loadcnt_dscnt 0x0
	v_fmac_f32_e32 v53, v57, v58
	s_and_not1_b32 exec_lo, exec_lo, s2
	s_cbranch_execnz .LBB109_865
; %bb.866:
	s_or_b32 exec_lo, exec_lo, s2
.LBB109_867:
	s_delay_alu instid0(SALU_CYCLE_1)
	s_or_b32 exec_lo, exec_lo, s1
	v_mov_b32_e32 v54, 0
	ds_load_b32 v54, v54 offset:172
	s_wait_dscnt 0x0
	v_mul_f32_e32 v53, v53, v54
	scratch_store_b32 off, v53, off offset:172
.LBB109_868:
	s_wait_xcnt 0x0
	s_or_b32 exec_lo, exec_lo, s0
	scratch_load_b32 v53, off, off offset:176
	v_cmp_gt_u32_e64 s0, 44, v0
	s_wait_loadcnt 0x0
	ds_store_b32 v1, v53
	s_wait_storecnt_dscnt 0x0
	s_barrier_signal -1
	s_barrier_wait -1
	s_wait_xcnt 0x0
	s_and_saveexec_b32 s1, s0
	s_cbranch_execz .LBB109_878
; %bb.869:
	v_cmp_ne_u32_e32 vcc_lo, 1, v52
	s_cbranch_vccnz .LBB109_871
; %bb.870:
	scratch_load_b32 v53, v7, off
	ds_load_b32 v54, v1
	s_wait_loadcnt_dscnt 0x0
	v_mul_f32_e32 v53, v53, v54
	s_cbranch_execz .LBB109_872
	s_branch .LBB109_873
.LBB109_871:
                                        ; implicit-def: $vgpr53
.LBB109_872:
	ds_load_b32 v53, v1
.LBB109_873:
	s_mov_b32 s2, exec_lo
	v_cmpx_ne_u32_e32 43, v0
	s_cbranch_execz .LBB109_877
; %bb.874:
	v_add_nc_u32_e32 v54, 0xc4, v6
	v_add3_u32 v55, 0, v6, 4
	v_mov_b32_e32 v56, v0
	s_mov_b32 s3, 0
.LBB109_875:                            ; =>This Inner Loop Header: Depth=1
	scratch_load_b32 v57, v55, off
	ds_load_b32 v58, v54
	v_dual_add_nc_u32 v56, 1, v56 :: v_dual_add_nc_u32 v54, 4, v54
	s_wait_xcnt 0x0
	v_add_nc_u32_e32 v55, 4, v55
	s_delay_alu instid0(VALU_DEP_2)
	v_cmp_lt_u32_e32 vcc_lo, 42, v56
	s_or_b32 s3, vcc_lo, s3
	s_wait_loadcnt_dscnt 0x0
	v_fmac_f32_e32 v53, v57, v58
	s_and_not1_b32 exec_lo, exec_lo, s3
	s_cbranch_execnz .LBB109_875
; %bb.876:
	s_or_b32 exec_lo, exec_lo, s3
.LBB109_877:
	s_delay_alu instid0(SALU_CYCLE_1)
	s_or_b32 exec_lo, exec_lo, s2
	v_mov_b32_e32 v54, 0
	ds_load_b32 v54, v54 offset:176
	s_wait_dscnt 0x0
	v_mul_f32_e32 v53, v53, v54
	scratch_store_b32 off, v53, off offset:176
.LBB109_878:
	s_wait_xcnt 0x0
	s_or_b32 exec_lo, exec_lo, s1
	scratch_load_b32 v53, off, off offset:180
	s_mov_b32 s1, exec_lo
	s_wait_loadcnt 0x0
	ds_store_b32 v1, v53
	s_wait_storecnt_dscnt 0x0
	s_barrier_signal -1
	s_barrier_wait -1
	s_wait_xcnt 0x0
	v_cmpx_ne_u32_e32 45, v0
	s_cbranch_execz .LBB109_888
; %bb.879:
	v_cmp_ne_u32_e32 vcc_lo, 1, v52
	s_cbranch_vccnz .LBB109_881
; %bb.880:
	scratch_load_b32 v7, v7, off
	ds_load_b32 v52, v1
	s_wait_loadcnt_dscnt 0x0
	v_mul_f32_e32 v7, v7, v52
	s_cbranch_execz .LBB109_882
	s_branch .LBB109_883
.LBB109_881:
                                        ; implicit-def: $vgpr7
.LBB109_882:
	ds_load_b32 v7, v1
.LBB109_883:
	s_and_saveexec_b32 s2, s0
	s_cbranch_execz .LBB109_887
; %bb.884:
	v_add_nc_u32_e32 v1, 0xc4, v6
	v_add3_u32 v6, 0, v6, 4
	s_mov_b32 s0, 0
.LBB109_885:                            ; =>This Inner Loop Header: Depth=1
	scratch_load_b32 v52, v6, off
	ds_load_b32 v53, v1
	v_dual_add_nc_u32 v0, 1, v0 :: v_dual_add_nc_u32 v1, 4, v1
	s_wait_xcnt 0x0
	v_add_nc_u32_e32 v6, 4, v6
	s_delay_alu instid0(VALU_DEP_2)
	v_cmp_lt_u32_e32 vcc_lo, 43, v0
	s_or_b32 s0, vcc_lo, s0
	s_wait_loadcnt_dscnt 0x0
	v_fmac_f32_e32 v7, v52, v53
	s_and_not1_b32 exec_lo, exec_lo, s0
	s_cbranch_execnz .LBB109_885
; %bb.886:
	s_or_b32 exec_lo, exec_lo, s0
.LBB109_887:
	s_delay_alu instid0(SALU_CYCLE_1)
	s_or_b32 exec_lo, exec_lo, s2
	v_mov_b32_e32 v0, 0
	ds_load_b32 v0, v0 offset:180
	s_wait_dscnt 0x0
	v_mul_f32_e32 v0, v7, v0
	scratch_store_b32 off, v0, off offset:180
.LBB109_888:
	s_wait_xcnt 0x0
	s_or_b32 exec_lo, exec_lo, s1
.LBB109_889:
	scratch_load_b32 v0, off, off
	s_wait_loadcnt 0x0
	flat_store_b32 v[2:3], v0
	scratch_load_b32 v0, off, off offset:4
	s_wait_loadcnt 0x0
	flat_store_b32 v[4:5], v0
	scratch_load_b32 v0, off, off offset:8
	;; [unrolled: 3-line block ×45, first 2 shown]
	s_wait_loadcnt 0x0
	flat_store_b32 v[8:9], v0
.LBB109_890:
	s_sendmsg sendmsg(MSG_DEALLOC_VGPRS)
	s_endpgm
	.section	.rodata,"a",@progbits
	.p2align	6, 0x0
	.amdhsa_kernel _ZN9rocsolver6v33100L18trti2_kernel_smallILi46EfPKPfEEv13rocblas_fill_17rocblas_diagonal_T1_iil
		.amdhsa_group_segment_fixed_size 376
		.amdhsa_private_segment_fixed_size 192
		.amdhsa_kernarg_size 32
		.amdhsa_user_sgpr_count 2
		.amdhsa_user_sgpr_dispatch_ptr 0
		.amdhsa_user_sgpr_queue_ptr 0
		.amdhsa_user_sgpr_kernarg_segment_ptr 1
		.amdhsa_user_sgpr_dispatch_id 0
		.amdhsa_user_sgpr_kernarg_preload_length 0
		.amdhsa_user_sgpr_kernarg_preload_offset 0
		.amdhsa_user_sgpr_private_segment_size 0
		.amdhsa_wavefront_size32 1
		.amdhsa_uses_dynamic_stack 0
		.amdhsa_enable_private_segment 1
		.amdhsa_system_sgpr_workgroup_id_x 1
		.amdhsa_system_sgpr_workgroup_id_y 0
		.amdhsa_system_sgpr_workgroup_id_z 0
		.amdhsa_system_sgpr_workgroup_info 0
		.amdhsa_system_vgpr_workitem_id 0
		.amdhsa_next_free_vgpr 140
		.amdhsa_next_free_sgpr 52
		.amdhsa_named_barrier_count 0
		.amdhsa_reserve_vcc 1
		.amdhsa_float_round_mode_32 0
		.amdhsa_float_round_mode_16_64 0
		.amdhsa_float_denorm_mode_32 3
		.amdhsa_float_denorm_mode_16_64 3
		.amdhsa_fp16_overflow 0
		.amdhsa_memory_ordered 1
		.amdhsa_forward_progress 1
		.amdhsa_inst_pref_size 208
		.amdhsa_round_robin_scheduling 0
		.amdhsa_exception_fp_ieee_invalid_op 0
		.amdhsa_exception_fp_denorm_src 0
		.amdhsa_exception_fp_ieee_div_zero 0
		.amdhsa_exception_fp_ieee_overflow 0
		.amdhsa_exception_fp_ieee_underflow 0
		.amdhsa_exception_fp_ieee_inexact 0
		.amdhsa_exception_int_div_zero 0
	.end_amdhsa_kernel
	.section	.text._ZN9rocsolver6v33100L18trti2_kernel_smallILi46EfPKPfEEv13rocblas_fill_17rocblas_diagonal_T1_iil,"axG",@progbits,_ZN9rocsolver6v33100L18trti2_kernel_smallILi46EfPKPfEEv13rocblas_fill_17rocblas_diagonal_T1_iil,comdat
.Lfunc_end109:
	.size	_ZN9rocsolver6v33100L18trti2_kernel_smallILi46EfPKPfEEv13rocblas_fill_17rocblas_diagonal_T1_iil, .Lfunc_end109-_ZN9rocsolver6v33100L18trti2_kernel_smallILi46EfPKPfEEv13rocblas_fill_17rocblas_diagonal_T1_iil
                                        ; -- End function
	.set _ZN9rocsolver6v33100L18trti2_kernel_smallILi46EfPKPfEEv13rocblas_fill_17rocblas_diagonal_T1_iil.num_vgpr, 140
	.set _ZN9rocsolver6v33100L18trti2_kernel_smallILi46EfPKPfEEv13rocblas_fill_17rocblas_diagonal_T1_iil.num_agpr, 0
	.set _ZN9rocsolver6v33100L18trti2_kernel_smallILi46EfPKPfEEv13rocblas_fill_17rocblas_diagonal_T1_iil.numbered_sgpr, 52
	.set _ZN9rocsolver6v33100L18trti2_kernel_smallILi46EfPKPfEEv13rocblas_fill_17rocblas_diagonal_T1_iil.num_named_barrier, 0
	.set _ZN9rocsolver6v33100L18trti2_kernel_smallILi46EfPKPfEEv13rocblas_fill_17rocblas_diagonal_T1_iil.private_seg_size, 192
	.set _ZN9rocsolver6v33100L18trti2_kernel_smallILi46EfPKPfEEv13rocblas_fill_17rocblas_diagonal_T1_iil.uses_vcc, 1
	.set _ZN9rocsolver6v33100L18trti2_kernel_smallILi46EfPKPfEEv13rocblas_fill_17rocblas_diagonal_T1_iil.uses_flat_scratch, 0
	.set _ZN9rocsolver6v33100L18trti2_kernel_smallILi46EfPKPfEEv13rocblas_fill_17rocblas_diagonal_T1_iil.has_dyn_sized_stack, 0
	.set _ZN9rocsolver6v33100L18trti2_kernel_smallILi46EfPKPfEEv13rocblas_fill_17rocblas_diagonal_T1_iil.has_recursion, 0
	.set _ZN9rocsolver6v33100L18trti2_kernel_smallILi46EfPKPfEEv13rocblas_fill_17rocblas_diagonal_T1_iil.has_indirect_call, 0
	.section	.AMDGPU.csdata,"",@progbits
; Kernel info:
; codeLenInByte = 26508
; TotalNumSgprs: 54
; NumVgprs: 140
; ScratchSize: 192
; MemoryBound: 0
; FloatMode: 240
; IeeeMode: 1
; LDSByteSize: 376 bytes/workgroup (compile time only)
; SGPRBlocks: 0
; VGPRBlocks: 8
; NumSGPRsForWavesPerEU: 54
; NumVGPRsForWavesPerEU: 140
; NamedBarCnt: 0
; Occupancy: 7
; WaveLimiterHint : 1
; COMPUTE_PGM_RSRC2:SCRATCH_EN: 1
; COMPUTE_PGM_RSRC2:USER_SGPR: 2
; COMPUTE_PGM_RSRC2:TRAP_HANDLER: 0
; COMPUTE_PGM_RSRC2:TGID_X_EN: 1
; COMPUTE_PGM_RSRC2:TGID_Y_EN: 0
; COMPUTE_PGM_RSRC2:TGID_Z_EN: 0
; COMPUTE_PGM_RSRC2:TIDIG_COMP_CNT: 0
	.section	.text._ZN9rocsolver6v33100L18trti2_kernel_smallILi47EfPKPfEEv13rocblas_fill_17rocblas_diagonal_T1_iil,"axG",@progbits,_ZN9rocsolver6v33100L18trti2_kernel_smallILi47EfPKPfEEv13rocblas_fill_17rocblas_diagonal_T1_iil,comdat
	.globl	_ZN9rocsolver6v33100L18trti2_kernel_smallILi47EfPKPfEEv13rocblas_fill_17rocblas_diagonal_T1_iil ; -- Begin function _ZN9rocsolver6v33100L18trti2_kernel_smallILi47EfPKPfEEv13rocblas_fill_17rocblas_diagonal_T1_iil
	.p2align	8
	.type	_ZN9rocsolver6v33100L18trti2_kernel_smallILi47EfPKPfEEv13rocblas_fill_17rocblas_diagonal_T1_iil,@function
_ZN9rocsolver6v33100L18trti2_kernel_smallILi47EfPKPfEEv13rocblas_fill_17rocblas_diagonal_T1_iil: ; @_ZN9rocsolver6v33100L18trti2_kernel_smallILi47EfPKPfEEv13rocblas_fill_17rocblas_diagonal_T1_iil
; %bb.0:
	s_mov_b32 s2, exec_lo
	v_cmpx_gt_u32_e32 47, v0
	s_cbranch_execz .LBB110_910
; %bb.1:
	s_clause 0x1
	s_load_b64 s[8:9], s[0:1], 0x10
	s_load_b128 s[4:7], s[0:1], 0x0
	s_wait_xcnt 0x0
	s_bfe_u32 s0, ttmp6, 0x4000c
	s_and_b32 s1, ttmp6, 15
	s_add_co_i32 s0, s0, 1
	s_getreg_b32 s2, hwreg(HW_REG_IB_STS2, 6, 4)
	s_mul_i32 s0, ttmp9, s0
	v_dual_mov_b32 v7, 0 :: v_dual_lshlrev_b32 v6, 2, v0
	s_add_co_i32 s0, s1, s0
	v_mov_b32_e32 v98, -1.0
	s_wait_kmcnt 0x0
	s_ashr_i32 s1, s8, 31
	s_cmp_eq_u32 s2, 0
	v_add3_u32 v8, s9, s9, v0
	s_cselect_b32 s2, ttmp9, s0
	s_mov_b32 s0, s8
	s_ashr_i32 s3, s2, 31
	s_lshl_b64 s[0:1], s[0:1], 2
	s_lshl_b64 s[2:3], s[2:3], 3
	v_add_nc_u32_e32 v10, s9, v8
	s_add_nc_u64 s[2:3], s[6:7], s[2:3]
	v_ashrrev_i32_e32 v9, 31, v8
	s_load_b64 s[2:3], s[2:3], 0x0
	s_delay_alu instid0(VALU_DEP_2) | instskip(NEXT) | instid1(VALU_DEP_1)
	v_add_nc_u32_e32 v12, s9, v10
	v_add_nc_u32_e32 v14, s9, v12
	s_delay_alu instid0(VALU_DEP_1) | instskip(NEXT) | instid1(VALU_DEP_1)
	v_add_nc_u32_e32 v16, s9, v14
	v_dual_ashrrev_i32 v11, 31, v10 :: v_dual_add_nc_u32 v18, s9, v16
	v_ashrrev_i32_e32 v17, 31, v16
	s_wait_kmcnt 0x0
	s_add_nc_u64 s[2:3], s[2:3], s[0:1]
	s_mov_b32 s0, s9
	flat_load_b32 v1, v0, s[2:3] scale_offset
	v_add_nc_u64_e32 v[2:3], s[2:3], v[6:7]
	s_ashr_i32 s1, s9, 31
	v_dual_add_nc_u32 v20, s9, v18 :: v_dual_ashrrev_i32 v13, 31, v12
	v_ashrrev_i32_e32 v15, 31, v14
	v_ashrrev_i32_e32 v19, 31, v18
	s_cmp_lg_u32 s5, 0x84
	s_delay_alu instid0(VALU_DEP_4) | instskip(SKIP_4) | instid1(VALU_DEP_1)
	v_lshl_add_u64 v[4:5], s[0:1], 2, v[2:3]
	v_add_nc_u32_e32 v22, s9, v20
	s_cselect_b32 s6, -1, 0
	s_cmp_eq_u32 s5, 0x84
	s_movk_i32 s1, 0x84
	v_add_nc_u32_e32 v24, s9, v22
	s_delay_alu instid0(VALU_DEP_1) | instskip(NEXT) | instid1(VALU_DEP_1)
	v_add_nc_u32_e32 v26, s9, v24
	v_dual_add_nc_u32 v28, s9, v26 :: v_dual_ashrrev_i32 v21, 31, v20
	s_delay_alu instid0(VALU_DEP_1) | instskip(NEXT) | instid1(VALU_DEP_1)
	v_dual_ashrrev_i32 v23, 31, v22 :: v_dual_add_nc_u32 v30, s9, v28
	v_dual_ashrrev_i32 v29, 31, v28 :: v_dual_ashrrev_i32 v31, 31, v30
	v_dual_add_nc_u32 v32, s9, v30 :: v_dual_ashrrev_i32 v25, 31, v24
	s_delay_alu instid0(VALU_DEP_1) | instskip(NEXT) | instid1(VALU_DEP_1)
	v_dual_ashrrev_i32 v27, 31, v26 :: v_dual_add_nc_u32 v34, s9, v32
	v_add_nc_u32_e32 v36, s9, v34
	s_delay_alu instid0(VALU_DEP_1) | instskip(NEXT) | instid1(VALU_DEP_1)
	v_add_nc_u32_e32 v38, s9, v36
	v_dual_add_nc_u32 v40, s9, v38 :: v_dual_ashrrev_i32 v33, 31, v32
	s_delay_alu instid0(VALU_DEP_1) | instskip(NEXT) | instid1(VALU_DEP_1)
	v_dual_ashrrev_i32 v35, 31, v34 :: v_dual_add_nc_u32 v42, s9, v40
	v_dual_ashrrev_i32 v41, 31, v40 :: v_dual_ashrrev_i32 v43, 31, v42
	v_dual_add_nc_u32 v44, s9, v42 :: v_dual_ashrrev_i32 v37, 31, v36
	s_delay_alu instid0(VALU_DEP_1) | instskip(NEXT) | instid1(VALU_DEP_1)
	v_dual_ashrrev_i32 v39, 31, v38 :: v_dual_add_nc_u32 v46, s9, v44
	;; [unrolled: 10-line block ×6, first 2 shown]
	v_dual_ashrrev_i32 v93, 31, v92 :: v_dual_ashrrev_i32 v95, 31, v94
	v_add_nc_u32_e32 v96, s9, v94
	s_delay_alu instid0(VALU_DEP_1)
	v_ashrrev_i32_e32 v97, 31, v96
	s_wait_loadcnt_dscnt 0x0
	scratch_store_b32 off, v1, off
	flat_load_b32 v1, v[4:5]
	s_wait_loadcnt_dscnt 0x0
	scratch_store_b32 off, v1, off offset:4
	flat_load_b32 v1, v8, s[2:3] scale_offset
	s_wait_loadcnt_dscnt 0x0
	scratch_store_b32 off, v1, off offset:8
	flat_load_b32 v1, v10, s[2:3] scale_offset
	;; [unrolled: 3-line block ×45, first 2 shown]
	s_wait_loadcnt_dscnt 0x0
	scratch_store_b32 off, v1, off offset:184
	s_cbranch_scc1 .LBB110_3
; %bb.2:
	scratch_load_b32 v1, v0, off scale_offset
	s_wait_loadcnt 0x0
	v_div_scale_f32 v7, null, v1, v1, 1.0
	s_delay_alu instid0(VALU_DEP_1) | instskip(SKIP_1) | instid1(TRANS32_DEP_1)
	v_rcp_f32_e32 v98, v7
	v_nop
	v_fma_f32 v99, -v7, v98, 1.0
	s_delay_alu instid0(VALU_DEP_1) | instskip(SKIP_1) | instid1(VALU_DEP_1)
	v_fmac_f32_e32 v98, v99, v98
	v_div_scale_f32 v99, vcc_lo, 1.0, v1, 1.0
	v_mul_f32_e32 v100, v99, v98
	s_delay_alu instid0(VALU_DEP_1) | instskip(NEXT) | instid1(VALU_DEP_1)
	v_fma_f32 v101, -v7, v100, v99
	v_fmac_f32_e32 v100, v101, v98
	s_delay_alu instid0(VALU_DEP_1) | instskip(NEXT) | instid1(VALU_DEP_1)
	v_fma_f32 v7, -v7, v100, v99
	v_div_fmas_f32 v7, v7, v98, v100
	s_delay_alu instid0(VALU_DEP_1) | instskip(NEXT) | instid1(VALU_DEP_1)
	v_div_fixup_f32 v1, v7, v1, 1.0
	v_xor_b32_e32 v98, 0x80000000, v1
	scratch_store_b32 v0, v1, off scale_offset
.LBB110_3:
	s_wait_xcnt 0x0
	v_add_nc_u32_e32 v1, 0xc0, v6
	v_mov_b32_e32 v7, v6
	s_cmp_eq_u32 s4, 0x79
	s_mov_b32 s5, -1
	ds_store_b32 v6, v98
	s_cbranch_scc1 .LBB110_457
; %bb.4:
	scratch_load_b32 v98, off, off offset:180
	v_cmp_eq_u32_e64 s0, 46, v0
	s_movk_i32 s21, 0x44
	s_movk_i32 s22, 0x48
	;; [unrolled: 1-line block ×27, first 2 shown]
	s_wait_loadcnt 0x0
	ds_store_b32 v1, v98
	s_wait_storecnt_dscnt 0x0
	s_barrier_signal -1
	s_barrier_wait -1
	s_wait_xcnt 0x0
	s_and_saveexec_b32 s4, s0
	s_cbranch_execz .LBB110_10
; %bb.5:
	s_and_b32 vcc_lo, exec_lo, s6
	s_cbranch_vccz .LBB110_7
; %bb.6:
	scratch_load_b32 v98, v7, off
	ds_load_b32 v99, v1
	s_wait_loadcnt_dscnt 0x0
	v_mul_f32_e32 v98, v98, v99
	s_cbranch_execz .LBB110_8
	s_branch .LBB110_9
.LBB110_7:
                                        ; implicit-def: $vgpr98
	s_and_not1_b32 vcc_lo, exec_lo, s5
	s_cbranch_vccnz .LBB110_9
.LBB110_8:
	ds_load_b32 v98, v1
.LBB110_9:
	v_mov_b32_e32 v99, 0
	ds_load_b32 v99, v99 offset:180
	s_wait_dscnt 0x0
	v_mul_f32_e32 v98, v98, v99
	scratch_store_b32 off, v98, off offset:180
.LBB110_10:
	s_wait_xcnt 0x0
	s_or_b32 exec_lo, exec_lo, s4
	scratch_load_b32 v98, off, off offset:176
	s_mov_b32 s38, s1
	v_cmp_lt_u32_e64 s1, 44, v0
	s_or_b32 s4, 0, 4
	s_or_b32 s5, 0, 8
	;; [unrolled: 1-line block ×3, first 2 shown]
	s_mov_b32 s8, 16
	s_mov_b32 s9, 20
	;; [unrolled: 1-line block ×13, first 2 shown]
	s_wait_loadcnt 0x0
	ds_store_b32 v1, v98
	s_wait_storecnt_dscnt 0x0
	s_barrier_signal -1
	s_barrier_wait -1
	s_wait_xcnt 0x0
	s_and_saveexec_b32 s50, s1
	s_cbranch_execz .LBB110_16
; %bb.11:
	s_and_not1_b32 vcc_lo, exec_lo, s6
	s_cbranch_vccnz .LBB110_13
; %bb.12:
	scratch_load_b32 v98, v7, off
	ds_load_b32 v99, v1
	s_wait_loadcnt_dscnt 0x0
	v_mul_f32_e32 v98, v98, v99
	s_cbranch_execz .LBB110_14
	s_branch .LBB110_15
.LBB110_13:
                                        ; implicit-def: $vgpr98
.LBB110_14:
	ds_load_b32 v98, v1
.LBB110_15:
	scratch_load_b32 v99, off, off offset:180
	v_mov_b32_e32 v100, 0
	ds_load_2addr_b32 v[100:101], v100 offset0:44 offset1:93
	s_wait_loadcnt_dscnt 0x0
	v_fma_f32 v99, v99, v101, v98
	s_delay_alu instid0(VALU_DEP_1) | instskip(NEXT) | instid1(VALU_DEP_1)
	v_cndmask_b32_e64 v98, v98, v99, s0
	v_mul_f32_e32 v98, v98, v100
	scratch_store_b32 off, v98, off offset:176
.LBB110_16:
	s_wait_xcnt 0x0
	s_or_b32 exec_lo, exec_lo, s50
	scratch_load_b32 v98, off, off offset:172
	v_cmp_lt_u32_e64 s0, 43, v0
	s_wait_loadcnt 0x0
	ds_store_b32 v1, v98
	s_wait_storecnt_dscnt 0x0
	s_barrier_signal -1
	s_barrier_wait -1
	s_wait_xcnt 0x0
	s_and_saveexec_b32 s50, s0
	s_cbranch_execz .LBB110_26
; %bb.17:
	s_and_not1_b32 vcc_lo, exec_lo, s6
	s_cbranch_vccnz .LBB110_19
; %bb.18:
	scratch_load_b32 v98, v7, off
	ds_load_b32 v99, v1
	s_wait_loadcnt_dscnt 0x0
	v_mul_f32_e32 v98, v98, v99
	s_cbranch_execz .LBB110_20
	s_branch .LBB110_21
.LBB110_19:
                                        ; implicit-def: $vgpr98
.LBB110_20:
	ds_load_b32 v98, v1
.LBB110_21:
	s_and_saveexec_b32 s51, s1
	s_cbranch_execz .LBB110_25
; %bb.22:
	v_subrev_nc_u32_e32 v99, 44, v0
	s_movk_i32 s52, 0x170
	s_mov_b32 s1, 0
.LBB110_23:                             ; =>This Inner Loop Header: Depth=1
	scratch_load_b32 v100, off, s49
	v_dual_mov_b32 v101, s52 :: v_dual_add_nc_u32 v99, -1, v99
	s_add_co_i32 s52, s52, 4
	s_wait_xcnt 0x0
	s_add_co_i32 s49, s49, 4
	ds_load_b32 v101, v101
	v_cmp_eq_u32_e32 vcc_lo, 0, v99
	s_or_b32 s1, vcc_lo, s1
	s_wait_loadcnt_dscnt 0x0
	v_fmac_f32_e32 v98, v100, v101
	s_and_not1_b32 exec_lo, exec_lo, s1
	s_cbranch_execnz .LBB110_23
; %bb.24:
	s_or_b32 exec_lo, exec_lo, s1
.LBB110_25:
	s_delay_alu instid0(SALU_CYCLE_1)
	s_or_b32 exec_lo, exec_lo, s51
	v_mov_b32_e32 v99, 0
	ds_load_b32 v99, v99 offset:172
	s_wait_dscnt 0x0
	v_mul_f32_e32 v98, v98, v99
	scratch_store_b32 off, v98, off offset:172
.LBB110_26:
	s_wait_xcnt 0x0
	s_or_b32 exec_lo, exec_lo, s50
	scratch_load_b32 v98, off, off offset:168
	v_cmp_lt_u32_e64 s1, 42, v0
	s_wait_loadcnt 0x0
	ds_store_b32 v1, v98
	s_wait_storecnt_dscnt 0x0
	s_barrier_signal -1
	s_barrier_wait -1
	s_wait_xcnt 0x0
	s_and_saveexec_b32 s49, s1
	s_cbranch_execz .LBB110_36
; %bb.27:
	s_and_not1_b32 vcc_lo, exec_lo, s6
	s_cbranch_vccnz .LBB110_29
; %bb.28:
	scratch_load_b32 v98, v7, off
	ds_load_b32 v99, v1
	s_wait_loadcnt_dscnt 0x0
	v_mul_f32_e32 v98, v98, v99
	s_cbranch_execz .LBB110_30
	s_branch .LBB110_31
.LBB110_29:
                                        ; implicit-def: $vgpr98
.LBB110_30:
	ds_load_b32 v98, v1
.LBB110_31:
	s_and_saveexec_b32 s50, s0
	s_cbranch_execz .LBB110_35
; %bb.32:
	v_subrev_nc_u32_e32 v99, 43, v0
	s_movk_i32 s51, 0x16c
	s_mov_b32 s0, 0
.LBB110_33:                             ; =>This Inner Loop Header: Depth=1
	scratch_load_b32 v100, off, s48
	v_dual_mov_b32 v101, s51 :: v_dual_add_nc_u32 v99, -1, v99
	s_add_co_i32 s51, s51, 4
	s_wait_xcnt 0x0
	s_add_co_i32 s48, s48, 4
	ds_load_b32 v101, v101
	v_cmp_eq_u32_e32 vcc_lo, 0, v99
	s_or_b32 s0, vcc_lo, s0
	s_wait_loadcnt_dscnt 0x0
	v_fmac_f32_e32 v98, v100, v101
	s_and_not1_b32 exec_lo, exec_lo, s0
	s_cbranch_execnz .LBB110_33
; %bb.34:
	s_or_b32 exec_lo, exec_lo, s0
.LBB110_35:
	s_delay_alu instid0(SALU_CYCLE_1)
	s_or_b32 exec_lo, exec_lo, s50
	v_mov_b32_e32 v99, 0
	ds_load_b32 v99, v99 offset:168
	s_wait_dscnt 0x0
	v_mul_f32_e32 v98, v98, v99
	scratch_store_b32 off, v98, off offset:168
.LBB110_36:
	s_wait_xcnt 0x0
	s_or_b32 exec_lo, exec_lo, s49
	scratch_load_b32 v98, off, off offset:164
	v_cmp_lt_u32_e64 s0, 41, v0
	s_wait_loadcnt 0x0
	ds_store_b32 v1, v98
	s_wait_storecnt_dscnt 0x0
	s_barrier_signal -1
	s_barrier_wait -1
	s_wait_xcnt 0x0
	s_and_saveexec_b32 s48, s0
	s_cbranch_execz .LBB110_46
; %bb.37:
	s_and_not1_b32 vcc_lo, exec_lo, s6
	s_cbranch_vccnz .LBB110_39
; %bb.38:
	scratch_load_b32 v98, v7, off
	ds_load_b32 v99, v1
	s_wait_loadcnt_dscnt 0x0
	v_mul_f32_e32 v98, v98, v99
	s_cbranch_execz .LBB110_40
	s_branch .LBB110_41
.LBB110_39:
                                        ; implicit-def: $vgpr98
.LBB110_40:
	ds_load_b32 v98, v1
.LBB110_41:
	s_and_saveexec_b32 s49, s1
	s_cbranch_execz .LBB110_45
; %bb.42:
	v_subrev_nc_u32_e32 v99, 42, v0
	s_movk_i32 s50, 0x168
	s_mov_b32 s1, 0
.LBB110_43:                             ; =>This Inner Loop Header: Depth=1
	scratch_load_b32 v100, off, s47
	v_dual_mov_b32 v101, s50 :: v_dual_add_nc_u32 v99, -1, v99
	s_add_co_i32 s50, s50, 4
	s_wait_xcnt 0x0
	s_add_co_i32 s47, s47, 4
	ds_load_b32 v101, v101
	v_cmp_eq_u32_e32 vcc_lo, 0, v99
	s_or_b32 s1, vcc_lo, s1
	s_wait_loadcnt_dscnt 0x0
	v_fmac_f32_e32 v98, v100, v101
	s_and_not1_b32 exec_lo, exec_lo, s1
	s_cbranch_execnz .LBB110_43
; %bb.44:
	s_or_b32 exec_lo, exec_lo, s1
.LBB110_45:
	s_delay_alu instid0(SALU_CYCLE_1)
	s_or_b32 exec_lo, exec_lo, s49
	v_mov_b32_e32 v99, 0
	ds_load_b32 v99, v99 offset:164
	s_wait_dscnt 0x0
	v_mul_f32_e32 v98, v98, v99
	scratch_store_b32 off, v98, off offset:164
.LBB110_46:
	s_wait_xcnt 0x0
	s_or_b32 exec_lo, exec_lo, s48
	scratch_load_b32 v98, off, off offset:160
	v_cmp_lt_u32_e64 s1, 40, v0
	s_wait_loadcnt 0x0
	ds_store_b32 v1, v98
	s_wait_storecnt_dscnt 0x0
	s_barrier_signal -1
	s_barrier_wait -1
	s_wait_xcnt 0x0
	s_and_saveexec_b32 s47, s1
	s_cbranch_execz .LBB110_56
; %bb.47:
	s_and_not1_b32 vcc_lo, exec_lo, s6
	s_cbranch_vccnz .LBB110_49
; %bb.48:
	scratch_load_b32 v98, v7, off
	ds_load_b32 v99, v1
	s_wait_loadcnt_dscnt 0x0
	v_mul_f32_e32 v98, v98, v99
	s_cbranch_execz .LBB110_50
	s_branch .LBB110_51
.LBB110_49:
                                        ; implicit-def: $vgpr98
.LBB110_50:
	ds_load_b32 v98, v1
.LBB110_51:
	s_and_saveexec_b32 s48, s0
	s_cbranch_execz .LBB110_55
; %bb.52:
	v_subrev_nc_u32_e32 v99, 41, v0
	s_movk_i32 s49, 0x164
	s_mov_b32 s0, 0
.LBB110_53:                             ; =>This Inner Loop Header: Depth=1
	scratch_load_b32 v100, off, s46
	v_dual_mov_b32 v101, s49 :: v_dual_add_nc_u32 v99, -1, v99
	s_add_co_i32 s49, s49, 4
	s_wait_xcnt 0x0
	s_add_co_i32 s46, s46, 4
	ds_load_b32 v101, v101
	v_cmp_eq_u32_e32 vcc_lo, 0, v99
	s_or_b32 s0, vcc_lo, s0
	s_wait_loadcnt_dscnt 0x0
	v_fmac_f32_e32 v98, v100, v101
	s_and_not1_b32 exec_lo, exec_lo, s0
	s_cbranch_execnz .LBB110_53
; %bb.54:
	s_or_b32 exec_lo, exec_lo, s0
.LBB110_55:
	s_delay_alu instid0(SALU_CYCLE_1)
	s_or_b32 exec_lo, exec_lo, s48
	v_mov_b32_e32 v99, 0
	ds_load_b32 v99, v99 offset:160
	s_wait_dscnt 0x0
	v_mul_f32_e32 v98, v98, v99
	scratch_store_b32 off, v98, off offset:160
.LBB110_56:
	s_wait_xcnt 0x0
	s_or_b32 exec_lo, exec_lo, s47
	scratch_load_b32 v98, off, off offset:156
	v_cmp_lt_u32_e64 s0, 39, v0
	s_wait_loadcnt 0x0
	ds_store_b32 v1, v98
	s_wait_storecnt_dscnt 0x0
	s_barrier_signal -1
	s_barrier_wait -1
	s_wait_xcnt 0x0
	s_and_saveexec_b32 s46, s0
	s_cbranch_execz .LBB110_66
; %bb.57:
	s_and_not1_b32 vcc_lo, exec_lo, s6
	s_cbranch_vccnz .LBB110_59
; %bb.58:
	scratch_load_b32 v98, v7, off
	ds_load_b32 v99, v1
	s_wait_loadcnt_dscnt 0x0
	v_mul_f32_e32 v98, v98, v99
	s_cbranch_execz .LBB110_60
	s_branch .LBB110_61
.LBB110_59:
                                        ; implicit-def: $vgpr98
.LBB110_60:
	ds_load_b32 v98, v1
.LBB110_61:
	s_and_saveexec_b32 s47, s1
	s_cbranch_execz .LBB110_65
; %bb.62:
	v_subrev_nc_u32_e32 v99, 40, v0
	s_movk_i32 s48, 0x160
	s_mov_b32 s1, 0
.LBB110_63:                             ; =>This Inner Loop Header: Depth=1
	scratch_load_b32 v100, off, s45
	v_dual_mov_b32 v101, s48 :: v_dual_add_nc_u32 v99, -1, v99
	s_add_co_i32 s48, s48, 4
	s_wait_xcnt 0x0
	s_add_co_i32 s45, s45, 4
	ds_load_b32 v101, v101
	v_cmp_eq_u32_e32 vcc_lo, 0, v99
	s_or_b32 s1, vcc_lo, s1
	s_wait_loadcnt_dscnt 0x0
	v_fmac_f32_e32 v98, v100, v101
	s_and_not1_b32 exec_lo, exec_lo, s1
	s_cbranch_execnz .LBB110_63
; %bb.64:
	s_or_b32 exec_lo, exec_lo, s1
.LBB110_65:
	s_delay_alu instid0(SALU_CYCLE_1)
	s_or_b32 exec_lo, exec_lo, s47
	v_mov_b32_e32 v99, 0
	ds_load_b32 v99, v99 offset:156
	s_wait_dscnt 0x0
	v_mul_f32_e32 v98, v98, v99
	scratch_store_b32 off, v98, off offset:156
.LBB110_66:
	s_wait_xcnt 0x0
	s_or_b32 exec_lo, exec_lo, s46
	scratch_load_b32 v98, off, off offset:152
	v_cmp_lt_u32_e64 s1, 38, v0
	s_wait_loadcnt 0x0
	ds_store_b32 v1, v98
	s_wait_storecnt_dscnt 0x0
	s_barrier_signal -1
	s_barrier_wait -1
	s_wait_xcnt 0x0
	s_and_saveexec_b32 s45, s1
	s_cbranch_execz .LBB110_76
; %bb.67:
	s_and_not1_b32 vcc_lo, exec_lo, s6
	s_cbranch_vccnz .LBB110_69
; %bb.68:
	scratch_load_b32 v98, v7, off
	ds_load_b32 v99, v1
	s_wait_loadcnt_dscnt 0x0
	v_mul_f32_e32 v98, v98, v99
	s_cbranch_execz .LBB110_70
	s_branch .LBB110_71
.LBB110_69:
                                        ; implicit-def: $vgpr98
.LBB110_70:
	ds_load_b32 v98, v1
.LBB110_71:
	s_and_saveexec_b32 s46, s0
	s_cbranch_execz .LBB110_75
; %bb.72:
	v_subrev_nc_u32_e32 v99, 39, v0
	s_movk_i32 s47, 0x15c
	s_mov_b32 s0, 0
.LBB110_73:                             ; =>This Inner Loop Header: Depth=1
	scratch_load_b32 v100, off, s44
	v_dual_mov_b32 v101, s47 :: v_dual_add_nc_u32 v99, -1, v99
	s_add_co_i32 s47, s47, 4
	s_wait_xcnt 0x0
	s_add_co_i32 s44, s44, 4
	ds_load_b32 v101, v101
	v_cmp_eq_u32_e32 vcc_lo, 0, v99
	s_or_b32 s0, vcc_lo, s0
	s_wait_loadcnt_dscnt 0x0
	v_fmac_f32_e32 v98, v100, v101
	s_and_not1_b32 exec_lo, exec_lo, s0
	s_cbranch_execnz .LBB110_73
; %bb.74:
	s_or_b32 exec_lo, exec_lo, s0
.LBB110_75:
	s_delay_alu instid0(SALU_CYCLE_1)
	s_or_b32 exec_lo, exec_lo, s46
	v_mov_b32_e32 v99, 0
	ds_load_b32 v99, v99 offset:152
	s_wait_dscnt 0x0
	v_mul_f32_e32 v98, v98, v99
	scratch_store_b32 off, v98, off offset:152
.LBB110_76:
	s_wait_xcnt 0x0
	s_or_b32 exec_lo, exec_lo, s45
	scratch_load_b32 v98, off, off offset:148
	v_cmp_lt_u32_e64 s0, 37, v0
	s_wait_loadcnt 0x0
	ds_store_b32 v1, v98
	s_wait_storecnt_dscnt 0x0
	s_barrier_signal -1
	s_barrier_wait -1
	s_wait_xcnt 0x0
	s_and_saveexec_b32 s44, s0
	s_cbranch_execz .LBB110_86
; %bb.77:
	s_and_not1_b32 vcc_lo, exec_lo, s6
	s_cbranch_vccnz .LBB110_79
; %bb.78:
	scratch_load_b32 v98, v7, off
	ds_load_b32 v99, v1
	s_wait_loadcnt_dscnt 0x0
	v_mul_f32_e32 v98, v98, v99
	s_cbranch_execz .LBB110_80
	s_branch .LBB110_81
.LBB110_79:
                                        ; implicit-def: $vgpr98
.LBB110_80:
	ds_load_b32 v98, v1
.LBB110_81:
	s_and_saveexec_b32 s45, s1
	s_cbranch_execz .LBB110_85
; %bb.82:
	v_subrev_nc_u32_e32 v99, 38, v0
	s_movk_i32 s46, 0x158
	s_mov_b32 s1, 0
.LBB110_83:                             ; =>This Inner Loop Header: Depth=1
	scratch_load_b32 v100, off, s43
	v_dual_mov_b32 v101, s46 :: v_dual_add_nc_u32 v99, -1, v99
	s_add_co_i32 s46, s46, 4
	s_wait_xcnt 0x0
	s_add_co_i32 s43, s43, 4
	ds_load_b32 v101, v101
	v_cmp_eq_u32_e32 vcc_lo, 0, v99
	s_or_b32 s1, vcc_lo, s1
	s_wait_loadcnt_dscnt 0x0
	v_fmac_f32_e32 v98, v100, v101
	s_and_not1_b32 exec_lo, exec_lo, s1
	s_cbranch_execnz .LBB110_83
; %bb.84:
	s_or_b32 exec_lo, exec_lo, s1
.LBB110_85:
	s_delay_alu instid0(SALU_CYCLE_1)
	s_or_b32 exec_lo, exec_lo, s45
	v_mov_b32_e32 v99, 0
	ds_load_b32 v99, v99 offset:148
	s_wait_dscnt 0x0
	v_mul_f32_e32 v98, v98, v99
	scratch_store_b32 off, v98, off offset:148
.LBB110_86:
	s_wait_xcnt 0x0
	s_or_b32 exec_lo, exec_lo, s44
	scratch_load_b32 v98, off, off offset:144
	v_cmp_lt_u32_e64 s1, 36, v0
	s_wait_loadcnt 0x0
	ds_store_b32 v1, v98
	s_wait_storecnt_dscnt 0x0
	s_barrier_signal -1
	s_barrier_wait -1
	s_wait_xcnt 0x0
	s_and_saveexec_b32 s43, s1
	s_cbranch_execz .LBB110_96
; %bb.87:
	s_and_not1_b32 vcc_lo, exec_lo, s6
	s_cbranch_vccnz .LBB110_89
; %bb.88:
	scratch_load_b32 v98, v7, off
	ds_load_b32 v99, v1
	s_wait_loadcnt_dscnt 0x0
	v_mul_f32_e32 v98, v98, v99
	s_cbranch_execz .LBB110_90
	s_branch .LBB110_91
.LBB110_89:
                                        ; implicit-def: $vgpr98
.LBB110_90:
	ds_load_b32 v98, v1
.LBB110_91:
	s_and_saveexec_b32 s44, s0
	s_cbranch_execz .LBB110_95
; %bb.92:
	v_subrev_nc_u32_e32 v99, 37, v0
	s_movk_i32 s45, 0x154
	s_mov_b32 s0, 0
.LBB110_93:                             ; =>This Inner Loop Header: Depth=1
	scratch_load_b32 v100, off, s42
	v_dual_mov_b32 v101, s45 :: v_dual_add_nc_u32 v99, -1, v99
	s_add_co_i32 s45, s45, 4
	s_wait_xcnt 0x0
	s_add_co_i32 s42, s42, 4
	ds_load_b32 v101, v101
	v_cmp_eq_u32_e32 vcc_lo, 0, v99
	s_or_b32 s0, vcc_lo, s0
	s_wait_loadcnt_dscnt 0x0
	v_fmac_f32_e32 v98, v100, v101
	s_and_not1_b32 exec_lo, exec_lo, s0
	s_cbranch_execnz .LBB110_93
; %bb.94:
	s_or_b32 exec_lo, exec_lo, s0
.LBB110_95:
	s_delay_alu instid0(SALU_CYCLE_1)
	s_or_b32 exec_lo, exec_lo, s44
	v_mov_b32_e32 v99, 0
	ds_load_b32 v99, v99 offset:144
	s_wait_dscnt 0x0
	v_mul_f32_e32 v98, v98, v99
	scratch_store_b32 off, v98, off offset:144
.LBB110_96:
	s_wait_xcnt 0x0
	s_or_b32 exec_lo, exec_lo, s43
	scratch_load_b32 v98, off, off offset:140
	v_cmp_lt_u32_e64 s0, 35, v0
	s_wait_loadcnt 0x0
	ds_store_b32 v1, v98
	s_wait_storecnt_dscnt 0x0
	s_barrier_signal -1
	s_barrier_wait -1
	s_wait_xcnt 0x0
	s_and_saveexec_b32 s42, s0
	s_cbranch_execz .LBB110_106
; %bb.97:
	s_and_not1_b32 vcc_lo, exec_lo, s6
	s_cbranch_vccnz .LBB110_99
; %bb.98:
	scratch_load_b32 v98, v7, off
	ds_load_b32 v99, v1
	s_wait_loadcnt_dscnt 0x0
	v_mul_f32_e32 v98, v98, v99
	s_cbranch_execz .LBB110_100
	s_branch .LBB110_101
.LBB110_99:
                                        ; implicit-def: $vgpr98
.LBB110_100:
	ds_load_b32 v98, v1
.LBB110_101:
	s_and_saveexec_b32 s43, s1
	s_cbranch_execz .LBB110_105
; %bb.102:
	v_subrev_nc_u32_e32 v99, 36, v0
	s_movk_i32 s44, 0x150
	s_mov_b32 s1, 0
.LBB110_103:                            ; =>This Inner Loop Header: Depth=1
	scratch_load_b32 v100, off, s41
	v_dual_mov_b32 v101, s44 :: v_dual_add_nc_u32 v99, -1, v99
	s_add_co_i32 s44, s44, 4
	s_wait_xcnt 0x0
	s_add_co_i32 s41, s41, 4
	ds_load_b32 v101, v101
	v_cmp_eq_u32_e32 vcc_lo, 0, v99
	s_or_b32 s1, vcc_lo, s1
	s_wait_loadcnt_dscnt 0x0
	v_fmac_f32_e32 v98, v100, v101
	s_and_not1_b32 exec_lo, exec_lo, s1
	s_cbranch_execnz .LBB110_103
; %bb.104:
	s_or_b32 exec_lo, exec_lo, s1
.LBB110_105:
	s_delay_alu instid0(SALU_CYCLE_1)
	s_or_b32 exec_lo, exec_lo, s43
	v_mov_b32_e32 v99, 0
	ds_load_b32 v99, v99 offset:140
	s_wait_dscnt 0x0
	v_mul_f32_e32 v98, v98, v99
	scratch_store_b32 off, v98, off offset:140
.LBB110_106:
	s_wait_xcnt 0x0
	s_or_b32 exec_lo, exec_lo, s42
	scratch_load_b32 v98, off, off offset:136
	v_cmp_lt_u32_e64 s1, 34, v0
	s_wait_loadcnt 0x0
	ds_store_b32 v1, v98
	s_wait_storecnt_dscnt 0x0
	s_barrier_signal -1
	s_barrier_wait -1
	s_wait_xcnt 0x0
	s_and_saveexec_b32 s41, s1
	s_cbranch_execz .LBB110_116
; %bb.107:
	s_and_not1_b32 vcc_lo, exec_lo, s6
	s_cbranch_vccnz .LBB110_109
; %bb.108:
	scratch_load_b32 v98, v7, off
	ds_load_b32 v99, v1
	s_wait_loadcnt_dscnt 0x0
	v_mul_f32_e32 v98, v98, v99
	s_cbranch_execz .LBB110_110
	s_branch .LBB110_111
.LBB110_109:
                                        ; implicit-def: $vgpr98
.LBB110_110:
	ds_load_b32 v98, v1
.LBB110_111:
	s_and_saveexec_b32 s42, s0
	s_cbranch_execz .LBB110_115
; %bb.112:
	v_subrev_nc_u32_e32 v99, 35, v0
	s_movk_i32 s43, 0x14c
	s_mov_b32 s0, 0
.LBB110_113:                            ; =>This Inner Loop Header: Depth=1
	scratch_load_b32 v100, off, s40
	v_dual_mov_b32 v101, s43 :: v_dual_add_nc_u32 v99, -1, v99
	s_add_co_i32 s43, s43, 4
	s_wait_xcnt 0x0
	s_add_co_i32 s40, s40, 4
	ds_load_b32 v101, v101
	v_cmp_eq_u32_e32 vcc_lo, 0, v99
	s_or_b32 s0, vcc_lo, s0
	s_wait_loadcnt_dscnt 0x0
	v_fmac_f32_e32 v98, v100, v101
	s_and_not1_b32 exec_lo, exec_lo, s0
	s_cbranch_execnz .LBB110_113
; %bb.114:
	s_or_b32 exec_lo, exec_lo, s0
.LBB110_115:
	s_delay_alu instid0(SALU_CYCLE_1)
	s_or_b32 exec_lo, exec_lo, s42
	v_mov_b32_e32 v99, 0
	ds_load_b32 v99, v99 offset:136
	s_wait_dscnt 0x0
	v_mul_f32_e32 v98, v98, v99
	scratch_store_b32 off, v98, off offset:136
.LBB110_116:
	;; [unrolled: 57-line block ×20, first 2 shown]
	s_wait_xcnt 0x0
	s_or_b32 exec_lo, exec_lo, s22
	scratch_load_b32 v98, off, off offset:60
	v_cmp_lt_u32_e64 s0, 15, v0
	s_wait_loadcnt 0x0
	ds_store_b32 v1, v98
	s_wait_storecnt_dscnt 0x0
	s_barrier_signal -1
	s_barrier_wait -1
	s_wait_xcnt 0x0
	s_and_saveexec_b32 s21, s0
	s_cbranch_execz .LBB110_306
; %bb.297:
	s_and_not1_b32 vcc_lo, exec_lo, s6
	s_cbranch_vccnz .LBB110_299
; %bb.298:
	scratch_load_b32 v98, v7, off
	ds_load_b32 v99, v1
	s_wait_loadcnt_dscnt 0x0
	v_mul_f32_e32 v98, v98, v99
	s_cbranch_execz .LBB110_300
	s_branch .LBB110_301
.LBB110_299:
                                        ; implicit-def: $vgpr98
.LBB110_300:
	ds_load_b32 v98, v1
.LBB110_301:
	s_and_saveexec_b32 s22, s1
	s_cbranch_execz .LBB110_305
; %bb.302:
	v_add_nc_u32_e32 v99, -16, v0
	s_movk_i32 s23, 0x100
	s_mov_b32 s1, 0
.LBB110_303:                            ; =>This Inner Loop Header: Depth=1
	scratch_load_b32 v100, off, s20
	v_dual_mov_b32 v101, s23 :: v_dual_add_nc_u32 v99, -1, v99
	s_add_co_i32 s23, s23, 4
	s_wait_xcnt 0x0
	s_add_co_i32 s20, s20, 4
	ds_load_b32 v101, v101
	v_cmp_eq_u32_e32 vcc_lo, 0, v99
	s_or_b32 s1, vcc_lo, s1
	s_wait_loadcnt_dscnt 0x0
	v_fmac_f32_e32 v98, v100, v101
	s_and_not1_b32 exec_lo, exec_lo, s1
	s_cbranch_execnz .LBB110_303
; %bb.304:
	s_or_b32 exec_lo, exec_lo, s1
.LBB110_305:
	s_delay_alu instid0(SALU_CYCLE_1)
	s_or_b32 exec_lo, exec_lo, s22
	v_mov_b32_e32 v99, 0
	ds_load_b32 v99, v99 offset:60
	s_wait_dscnt 0x0
	v_mul_f32_e32 v98, v98, v99
	scratch_store_b32 off, v98, off offset:60
.LBB110_306:
	s_wait_xcnt 0x0
	s_or_b32 exec_lo, exec_lo, s21
	scratch_load_b32 v98, off, off offset:56
	v_cmp_lt_u32_e64 s1, 14, v0
	s_wait_loadcnt 0x0
	ds_store_b32 v1, v98
	s_wait_storecnt_dscnt 0x0
	s_barrier_signal -1
	s_barrier_wait -1
	s_wait_xcnt 0x0
	s_and_saveexec_b32 s20, s1
	s_cbranch_execz .LBB110_316
; %bb.307:
	s_and_not1_b32 vcc_lo, exec_lo, s6
	s_cbranch_vccnz .LBB110_309
; %bb.308:
	scratch_load_b32 v98, v7, off
	ds_load_b32 v99, v1
	s_wait_loadcnt_dscnt 0x0
	v_mul_f32_e32 v98, v98, v99
	s_cbranch_execz .LBB110_310
	s_branch .LBB110_311
.LBB110_309:
                                        ; implicit-def: $vgpr98
.LBB110_310:
	ds_load_b32 v98, v1
.LBB110_311:
	s_and_saveexec_b32 s21, s0
	s_cbranch_execz .LBB110_315
; %bb.312:
	v_add_nc_u32_e32 v99, -15, v0
	s_movk_i32 s22, 0xfc
	s_mov_b32 s0, 0
.LBB110_313:                            ; =>This Inner Loop Header: Depth=1
	scratch_load_b32 v100, off, s19
	v_dual_mov_b32 v101, s22 :: v_dual_add_nc_u32 v99, -1, v99
	s_add_co_i32 s22, s22, 4
	s_wait_xcnt 0x0
	s_add_co_i32 s19, s19, 4
	ds_load_b32 v101, v101
	v_cmp_eq_u32_e32 vcc_lo, 0, v99
	s_or_b32 s0, vcc_lo, s0
	s_wait_loadcnt_dscnt 0x0
	v_fmac_f32_e32 v98, v100, v101
	s_and_not1_b32 exec_lo, exec_lo, s0
	s_cbranch_execnz .LBB110_313
; %bb.314:
	s_or_b32 exec_lo, exec_lo, s0
.LBB110_315:
	s_delay_alu instid0(SALU_CYCLE_1)
	s_or_b32 exec_lo, exec_lo, s21
	v_mov_b32_e32 v99, 0
	ds_load_b32 v99, v99 offset:56
	s_wait_dscnt 0x0
	v_mul_f32_e32 v98, v98, v99
	scratch_store_b32 off, v98, off offset:56
.LBB110_316:
	;; [unrolled: 57-line block ×15, first 2 shown]
	s_wait_xcnt 0x0
	s_or_b32 exec_lo, exec_lo, s7
	scratch_load_b32 v98, off, off
	s_mov_b32 s5, 0
	s_mov_b32 s1, exec_lo
	s_wait_loadcnt 0x0
	ds_store_b32 v1, v98
	s_wait_storecnt_dscnt 0x0
	s_barrier_signal -1
	s_barrier_wait -1
	s_wait_xcnt 0x0
	v_cmpx_ne_u32_e32 0, v0
	s_cbranch_execz .LBB110_456
; %bb.447:
	s_and_not1_b32 vcc_lo, exec_lo, s6
	s_cbranch_vccnz .LBB110_449
; %bb.448:
	scratch_load_b32 v98, v7, off
	ds_load_b32 v99, v1
	s_wait_loadcnt_dscnt 0x0
	v_mul_f32_e32 v98, v98, v99
	s_cbranch_execz .LBB110_450
	s_branch .LBB110_451
.LBB110_449:
                                        ; implicit-def: $vgpr98
.LBB110_450:
	ds_load_b32 v98, v1
.LBB110_451:
	s_and_saveexec_b32 s7, s0
	s_cbranch_execz .LBB110_455
; %bb.452:
	v_add_nc_u32_e32 v99, -1, v0
	s_movk_i32 s8, 0xc4
	s_mov_b32 s0, 0
.LBB110_453:                            ; =>This Inner Loop Header: Depth=1
	scratch_load_b32 v100, off, s4
	v_dual_mov_b32 v101, s8 :: v_dual_add_nc_u32 v99, -1, v99
	s_add_co_i32 s8, s8, 4
	s_wait_xcnt 0x0
	s_add_co_i32 s4, s4, 4
	ds_load_b32 v101, v101
	v_cmp_eq_u32_e32 vcc_lo, 0, v99
	s_or_b32 s0, vcc_lo, s0
	s_wait_loadcnt_dscnt 0x0
	v_fmac_f32_e32 v98, v100, v101
	s_and_not1_b32 exec_lo, exec_lo, s0
	s_cbranch_execnz .LBB110_453
; %bb.454:
	s_or_b32 exec_lo, exec_lo, s0
.LBB110_455:
	s_delay_alu instid0(SALU_CYCLE_1)
	s_or_b32 exec_lo, exec_lo, s7
	v_mov_b32_e32 v99, 0
	ds_load_b32 v99, v99
	s_wait_dscnt 0x0
	v_mul_f32_e32 v98, v98, v99
	scratch_store_b32 off, v98, off
.LBB110_456:
	s_wait_xcnt 0x0
	s_or_b32 exec_lo, exec_lo, s1
.LBB110_457:
	v_lshl_add_u64 v[140:141], v[8:9], 2, s[2:3]
	v_lshl_add_u64 v[138:139], v[10:11], 2, s[2:3]
	;; [unrolled: 1-line block ×45, first 2 shown]
	s_and_b32 vcc_lo, exec_lo, s5
	s_cbranch_vccz .LBB110_909
; %bb.458:
	scratch_load_b32 v54, off, off offset:4
	v_cmp_eq_u32_e64 s0, 0, v0
	s_wait_loadcnt 0x0
	ds_store_b32 v1, v54
	s_wait_storecnt_dscnt 0x0
	s_barrier_signal -1
	s_barrier_wait -1
	s_wait_xcnt 0x0
	s_and_saveexec_b32 s1, s0
	s_cbranch_execz .LBB110_464
; %bb.459:
	s_and_b32 vcc_lo, exec_lo, s6
	s_cbranch_vccz .LBB110_461
; %bb.460:
	scratch_load_b32 v54, v7, off
	ds_load_b32 v55, v1
	s_wait_loadcnt_dscnt 0x0
	v_mul_f32_e32 v54, v54, v55
	s_cbranch_execz .LBB110_462
	s_branch .LBB110_463
.LBB110_461:
                                        ; implicit-def: $vgpr54
.LBB110_462:
	ds_load_b32 v54, v1
.LBB110_463:
	v_mov_b32_e32 v55, 0
	ds_load_b32 v55, v55 offset:4
	s_wait_dscnt 0x0
	v_mul_f32_e32 v54, v54, v55
	scratch_store_b32 off, v54, off offset:4
.LBB110_464:
	s_wait_xcnt 0x0
	s_or_b32 exec_lo, exec_lo, s1
	scratch_load_b32 v55, off, off offset:8
	v_cndmask_b32_e64 v54, 0, 1, s6
	s_mov_b32 s1, exec_lo
	s_wait_loadcnt 0x0
	ds_store_b32 v1, v55
	s_wait_storecnt_dscnt 0x0
	s_barrier_signal -1
	s_barrier_wait -1
	s_wait_xcnt 0x0
	v_cmpx_gt_u32_e32 2, v0
	s_cbranch_execz .LBB110_470
; %bb.465:
	s_and_not1_b32 vcc_lo, exec_lo, s6
	s_cbranch_vccnz .LBB110_467
; %bb.466:
	scratch_load_b32 v55, v7, off
	ds_load_b32 v56, v1
	s_wait_loadcnt_dscnt 0x0
	v_mul_f32_e32 v55, v55, v56
	s_cbranch_execz .LBB110_468
	s_branch .LBB110_469
.LBB110_467:
                                        ; implicit-def: $vgpr55
.LBB110_468:
	ds_load_b32 v55, v1
.LBB110_469:
	scratch_load_b32 v58, off, off offset:4
	v_mov_b32_e32 v56, 0
	ds_load_2addr_b32 v[56:57], v56 offset0:2 offset1:49
	s_wait_loadcnt_dscnt 0x0
	v_fma_f32 v57, v58, v57, v55
	s_delay_alu instid0(VALU_DEP_1) | instskip(NEXT) | instid1(VALU_DEP_1)
	v_cndmask_b32_e64 v55, v55, v57, s0
	v_mul_f32_e32 v55, v55, v56
	scratch_store_b32 off, v55, off offset:8
.LBB110_470:
	s_wait_xcnt 0x0
	s_or_b32 exec_lo, exec_lo, s1
	scratch_load_b32 v55, off, off offset:12
	s_mov_b32 s1, exec_lo
	s_wait_loadcnt 0x0
	ds_store_b32 v1, v55
	s_wait_storecnt_dscnt 0x0
	s_barrier_signal -1
	s_barrier_wait -1
	s_wait_xcnt 0x0
	v_cmpx_gt_u32_e32 3, v0
	s_cbranch_execz .LBB110_478
; %bb.471:
	v_cmp_ne_u32_e32 vcc_lo, 1, v54
	s_cbranch_vccnz .LBB110_473
; %bb.472:
	scratch_load_b32 v55, v7, off
	ds_load_b32 v56, v1
	s_wait_loadcnt_dscnt 0x0
	v_mul_f32_e32 v55, v55, v56
	s_cbranch_execz .LBB110_474
	s_branch .LBB110_475
.LBB110_473:
                                        ; implicit-def: $vgpr55
.LBB110_474:
	ds_load_b32 v55, v1
.LBB110_475:
	s_mov_b32 s2, exec_lo
	v_cmpx_ne_u32_e32 2, v0
	s_cbranch_execz .LBB110_477
; %bb.476:
	scratch_load_b32 v56, v7, off offset:4
	scratch_load_b32 v57, off, off offset:8
	ds_load_b32 v58, v1 offset:4
	v_mov_b32_e32 v59, 0
	ds_load_b32 v59, v59 offset:200
	s_wait_loadcnt_dscnt 0x101
	v_fmac_f32_e32 v55, v56, v58
	s_wait_loadcnt_dscnt 0x0
	s_delay_alu instid0(VALU_DEP_1) | instskip(NEXT) | instid1(VALU_DEP_1)
	v_fma_f32 v56, v57, v59, v55
	v_cndmask_b32_e64 v55, v55, v56, s0
.LBB110_477:
	s_or_b32 exec_lo, exec_lo, s2
	v_mov_b32_e32 v56, 0
	ds_load_b32 v56, v56 offset:12
	s_wait_dscnt 0x0
	v_mul_f32_e32 v55, v55, v56
	scratch_store_b32 off, v55, off offset:12
.LBB110_478:
	s_wait_xcnt 0x0
	s_or_b32 exec_lo, exec_lo, s1
	scratch_load_b32 v55, off, off offset:16
	s_mov_b32 s0, exec_lo
	s_wait_loadcnt 0x0
	ds_store_b32 v1, v55
	s_wait_storecnt_dscnt 0x0
	s_barrier_signal -1
	s_barrier_wait -1
	s_wait_xcnt 0x0
	v_cmpx_gt_u32_e32 4, v0
	s_cbranch_execz .LBB110_488
; %bb.479:
	v_cmp_ne_u32_e32 vcc_lo, 1, v54
	s_cbranch_vccnz .LBB110_481
; %bb.480:
	scratch_load_b32 v55, v7, off
	ds_load_b32 v56, v1
	s_wait_loadcnt_dscnt 0x0
	v_mul_f32_e32 v55, v55, v56
	s_cbranch_execz .LBB110_482
	s_branch .LBB110_483
.LBB110_481:
                                        ; implicit-def: $vgpr55
.LBB110_482:
	ds_load_b32 v55, v1
.LBB110_483:
	s_mov_b32 s1, exec_lo
	v_cmpx_ne_u32_e32 3, v0
	s_cbranch_execz .LBB110_487
; %bb.484:
	v_add_nc_u32_e32 v56, 0xc4, v6
	v_add3_u32 v57, 0, v6, 4
	v_mov_b32_e32 v58, v0
	s_mov_b32 s2, 0
.LBB110_485:                            ; =>This Inner Loop Header: Depth=1
	scratch_load_b32 v59, v57, off
	ds_load_b32 v60, v56
	v_dual_add_nc_u32 v58, 1, v58 :: v_dual_add_nc_u32 v56, 4, v56
	s_wait_xcnt 0x0
	v_add_nc_u32_e32 v57, 4, v57
	s_delay_alu instid0(VALU_DEP_2)
	v_cmp_lt_u32_e32 vcc_lo, 2, v58
	s_or_b32 s2, vcc_lo, s2
	s_wait_loadcnt_dscnt 0x0
	v_fmac_f32_e32 v55, v59, v60
	s_and_not1_b32 exec_lo, exec_lo, s2
	s_cbranch_execnz .LBB110_485
; %bb.486:
	s_or_b32 exec_lo, exec_lo, s2
.LBB110_487:
	s_delay_alu instid0(SALU_CYCLE_1)
	s_or_b32 exec_lo, exec_lo, s1
	v_mov_b32_e32 v56, 0
	ds_load_b32 v56, v56 offset:16
	s_wait_dscnt 0x0
	v_mul_f32_e32 v55, v55, v56
	scratch_store_b32 off, v55, off offset:16
.LBB110_488:
	s_wait_xcnt 0x0
	s_or_b32 exec_lo, exec_lo, s0
	scratch_load_b32 v55, off, off offset:20
	s_mov_b32 s0, exec_lo
	s_wait_loadcnt 0x0
	ds_store_b32 v1, v55
	s_wait_storecnt_dscnt 0x0
	s_barrier_signal -1
	s_barrier_wait -1
	s_wait_xcnt 0x0
	v_cmpx_gt_u32_e32 5, v0
	s_cbranch_execz .LBB110_498
; %bb.489:
	v_cmp_ne_u32_e32 vcc_lo, 1, v54
	s_cbranch_vccnz .LBB110_491
; %bb.490:
	scratch_load_b32 v55, v7, off
	ds_load_b32 v56, v1
	s_wait_loadcnt_dscnt 0x0
	v_mul_f32_e32 v55, v55, v56
	s_cbranch_execz .LBB110_492
	s_branch .LBB110_493
.LBB110_491:
                                        ; implicit-def: $vgpr55
.LBB110_492:
	ds_load_b32 v55, v1
.LBB110_493:
	s_mov_b32 s1, exec_lo
	v_cmpx_ne_u32_e32 4, v0
	s_cbranch_execz .LBB110_497
; %bb.494:
	v_add_nc_u32_e32 v56, 0xc4, v6
	v_add3_u32 v57, 0, v6, 4
	v_mov_b32_e32 v58, v0
	s_mov_b32 s2, 0
.LBB110_495:                            ; =>This Inner Loop Header: Depth=1
	scratch_load_b32 v59, v57, off
	ds_load_b32 v60, v56
	v_dual_add_nc_u32 v58, 1, v58 :: v_dual_add_nc_u32 v56, 4, v56
	s_wait_xcnt 0x0
	v_add_nc_u32_e32 v57, 4, v57
	s_delay_alu instid0(VALU_DEP_2)
	v_cmp_lt_u32_e32 vcc_lo, 3, v58
	s_or_b32 s2, vcc_lo, s2
	s_wait_loadcnt_dscnt 0x0
	v_fmac_f32_e32 v55, v59, v60
	s_and_not1_b32 exec_lo, exec_lo, s2
	s_cbranch_execnz .LBB110_495
; %bb.496:
	s_or_b32 exec_lo, exec_lo, s2
.LBB110_497:
	s_delay_alu instid0(SALU_CYCLE_1)
	s_or_b32 exec_lo, exec_lo, s1
	v_mov_b32_e32 v56, 0
	ds_load_b32 v56, v56 offset:20
	s_wait_dscnt 0x0
	v_mul_f32_e32 v55, v55, v56
	scratch_store_b32 off, v55, off offset:20
.LBB110_498:
	;; [unrolled: 59-line block ×41, first 2 shown]
	s_wait_xcnt 0x0
	s_or_b32 exec_lo, exec_lo, s0
	scratch_load_b32 v55, off, off offset:180
	v_cmp_gt_u32_e64 s0, 45, v0
	s_wait_loadcnt 0x0
	ds_store_b32 v1, v55
	s_wait_storecnt_dscnt 0x0
	s_barrier_signal -1
	s_barrier_wait -1
	s_wait_xcnt 0x0
	s_and_saveexec_b32 s1, s0
	s_cbranch_execz .LBB110_898
; %bb.889:
	v_cmp_ne_u32_e32 vcc_lo, 1, v54
	s_cbranch_vccnz .LBB110_891
; %bb.890:
	scratch_load_b32 v55, v7, off
	ds_load_b32 v56, v1
	s_wait_loadcnt_dscnt 0x0
	v_mul_f32_e32 v55, v55, v56
	s_cbranch_execz .LBB110_892
	s_branch .LBB110_893
.LBB110_891:
                                        ; implicit-def: $vgpr55
.LBB110_892:
	ds_load_b32 v55, v1
.LBB110_893:
	s_mov_b32 s2, exec_lo
	v_cmpx_ne_u32_e32 44, v0
	s_cbranch_execz .LBB110_897
; %bb.894:
	v_add_nc_u32_e32 v56, 0xc4, v6
	v_add3_u32 v57, 0, v6, 4
	v_mov_b32_e32 v58, v0
	s_mov_b32 s3, 0
.LBB110_895:                            ; =>This Inner Loop Header: Depth=1
	scratch_load_b32 v59, v57, off
	ds_load_b32 v60, v56
	v_dual_add_nc_u32 v58, 1, v58 :: v_dual_add_nc_u32 v56, 4, v56
	s_wait_xcnt 0x0
	v_add_nc_u32_e32 v57, 4, v57
	s_delay_alu instid0(VALU_DEP_2)
	v_cmp_lt_u32_e32 vcc_lo, 43, v58
	s_or_b32 s3, vcc_lo, s3
	s_wait_loadcnt_dscnt 0x0
	v_fmac_f32_e32 v55, v59, v60
	s_and_not1_b32 exec_lo, exec_lo, s3
	s_cbranch_execnz .LBB110_895
; %bb.896:
	s_or_b32 exec_lo, exec_lo, s3
.LBB110_897:
	s_delay_alu instid0(SALU_CYCLE_1)
	s_or_b32 exec_lo, exec_lo, s2
	v_mov_b32_e32 v56, 0
	ds_load_b32 v56, v56 offset:180
	s_wait_dscnt 0x0
	v_mul_f32_e32 v55, v55, v56
	scratch_store_b32 off, v55, off offset:180
.LBB110_898:
	s_wait_xcnt 0x0
	s_or_b32 exec_lo, exec_lo, s1
	scratch_load_b32 v55, off, off offset:184
	s_mov_b32 s1, exec_lo
	s_wait_loadcnt 0x0
	ds_store_b32 v1, v55
	s_wait_storecnt_dscnt 0x0
	s_barrier_signal -1
	s_barrier_wait -1
	s_wait_xcnt 0x0
	v_cmpx_ne_u32_e32 46, v0
	s_cbranch_execz .LBB110_908
; %bb.899:
	v_cmp_ne_u32_e32 vcc_lo, 1, v54
	s_cbranch_vccnz .LBB110_901
; %bb.900:
	scratch_load_b32 v7, v7, off
	ds_load_b32 v54, v1
	s_wait_loadcnt_dscnt 0x0
	v_mul_f32_e32 v7, v7, v54
	s_cbranch_execz .LBB110_902
	s_branch .LBB110_903
.LBB110_901:
                                        ; implicit-def: $vgpr7
.LBB110_902:
	ds_load_b32 v7, v1
.LBB110_903:
	s_and_saveexec_b32 s2, s0
	s_cbranch_execz .LBB110_907
; %bb.904:
	v_add_nc_u32_e32 v1, 0xc4, v6
	v_add3_u32 v6, 0, v6, 4
	s_mov_b32 s0, 0
.LBB110_905:                            ; =>This Inner Loop Header: Depth=1
	scratch_load_b32 v54, v6, off
	ds_load_b32 v55, v1
	v_dual_add_nc_u32 v0, 1, v0 :: v_dual_add_nc_u32 v1, 4, v1
	s_wait_xcnt 0x0
	v_add_nc_u32_e32 v6, 4, v6
	s_delay_alu instid0(VALU_DEP_2)
	v_cmp_lt_u32_e32 vcc_lo, 44, v0
	s_or_b32 s0, vcc_lo, s0
	s_wait_loadcnt_dscnt 0x0
	v_fmac_f32_e32 v7, v54, v55
	s_and_not1_b32 exec_lo, exec_lo, s0
	s_cbranch_execnz .LBB110_905
; %bb.906:
	s_or_b32 exec_lo, exec_lo, s0
.LBB110_907:
	s_delay_alu instid0(SALU_CYCLE_1)
	s_or_b32 exec_lo, exec_lo, s2
	v_mov_b32_e32 v0, 0
	ds_load_b32 v0, v0 offset:184
	s_wait_dscnt 0x0
	v_mul_f32_e32 v0, v7, v0
	scratch_store_b32 off, v0, off offset:184
.LBB110_908:
	s_wait_xcnt 0x0
	s_or_b32 exec_lo, exec_lo, s1
.LBB110_909:
	scratch_load_b32 v0, off, off
	s_wait_loadcnt 0x0
	flat_store_b32 v[2:3], v0
	scratch_load_b32 v0, off, off offset:4
	s_wait_loadcnt 0x0
	flat_store_b32 v[4:5], v0
	scratch_load_b32 v0, off, off offset:8
	s_wait_loadcnt 0x0
	flat_store_b32 v[140:141], v0
	scratch_load_b32 v0, off, off offset:12
	s_wait_loadcnt 0x0
	flat_store_b32 v[138:139], v0
	scratch_load_b32 v0, off, off offset:16
	s_wait_loadcnt 0x0
	flat_store_b32 v[136:137], v0
	scratch_load_b32 v0, off, off offset:20
	s_wait_loadcnt 0x0
	flat_store_b32 v[134:135], v0
	scratch_load_b32 v0, off, off offset:24
	s_wait_loadcnt 0x0
	flat_store_b32 v[132:133], v0
	scratch_load_b32 v0, off, off offset:28
	s_wait_loadcnt 0x0
	flat_store_b32 v[130:131], v0
	scratch_load_b32 v0, off, off offset:32
	s_wait_loadcnt 0x0
	flat_store_b32 v[128:129], v0
	scratch_load_b32 v0, off, off offset:36
	s_wait_loadcnt 0x0
	flat_store_b32 v[126:127], v0
	scratch_load_b32 v0, off, off offset:40
	s_wait_loadcnt 0x0
	flat_store_b32 v[124:125], v0
	scratch_load_b32 v0, off, off offset:44
	s_wait_loadcnt 0x0
	flat_store_b32 v[122:123], v0
	scratch_load_b32 v0, off, off offset:48
	s_wait_loadcnt 0x0
	flat_store_b32 v[120:121], v0
	scratch_load_b32 v0, off, off offset:52
	s_wait_loadcnt 0x0
	flat_store_b32 v[118:119], v0
	scratch_load_b32 v0, off, off offset:56
	s_wait_loadcnt 0x0
	flat_store_b32 v[116:117], v0
	scratch_load_b32 v0, off, off offset:60
	s_wait_loadcnt 0x0
	flat_store_b32 v[114:115], v0
	scratch_load_b32 v0, off, off offset:64
	s_wait_loadcnt 0x0
	flat_store_b32 v[112:113], v0
	scratch_load_b32 v0, off, off offset:68
	s_wait_loadcnt 0x0
	flat_store_b32 v[110:111], v0
	scratch_load_b32 v0, off, off offset:72
	s_wait_loadcnt 0x0
	flat_store_b32 v[108:109], v0
	scratch_load_b32 v0, off, off offset:76
	s_wait_loadcnt 0x0
	flat_store_b32 v[106:107], v0
	scratch_load_b32 v0, off, off offset:80
	s_wait_loadcnt 0x0
	flat_store_b32 v[104:105], v0
	scratch_load_b32 v0, off, off offset:84
	s_wait_loadcnt 0x0
	flat_store_b32 v[102:103], v0
	scratch_load_b32 v0, off, off offset:88
	s_wait_loadcnt 0x0
	flat_store_b32 v[100:101], v0
	scratch_load_b32 v0, off, off offset:92
	s_wait_loadcnt 0x0
	flat_store_b32 v[98:99], v0
	scratch_load_b32 v0, off, off offset:96
	s_wait_loadcnt 0x0
	flat_store_b32 v[52:53], v0
	scratch_load_b32 v0, off, off offset:100
	s_wait_loadcnt 0x0
	flat_store_b32 v[50:51], v0
	scratch_load_b32 v0, off, off offset:104
	s_wait_loadcnt 0x0
	flat_store_b32 v[48:49], v0
	scratch_load_b32 v0, off, off offset:108
	s_wait_loadcnt 0x0
	flat_store_b32 v[46:47], v0
	scratch_load_b32 v0, off, off offset:112
	s_wait_loadcnt 0x0
	flat_store_b32 v[44:45], v0
	scratch_load_b32 v0, off, off offset:116
	s_wait_loadcnt 0x0
	flat_store_b32 v[42:43], v0
	scratch_load_b32 v0, off, off offset:120
	s_wait_loadcnt 0x0
	flat_store_b32 v[40:41], v0
	scratch_load_b32 v0, off, off offset:124
	s_wait_loadcnt 0x0
	flat_store_b32 v[38:39], v0
	scratch_load_b32 v0, off, off offset:128
	s_wait_loadcnt 0x0
	flat_store_b32 v[36:37], v0
	scratch_load_b32 v0, off, off offset:132
	s_wait_loadcnt 0x0
	flat_store_b32 v[34:35], v0
	scratch_load_b32 v0, off, off offset:136
	s_wait_loadcnt 0x0
	flat_store_b32 v[32:33], v0
	scratch_load_b32 v0, off, off offset:140
	s_wait_loadcnt 0x0
	flat_store_b32 v[30:31], v0
	scratch_load_b32 v0, off, off offset:144
	s_wait_loadcnt 0x0
	flat_store_b32 v[28:29], v0
	scratch_load_b32 v0, off, off offset:148
	s_wait_loadcnt 0x0
	flat_store_b32 v[26:27], v0
	scratch_load_b32 v0, off, off offset:152
	s_wait_loadcnt 0x0
	flat_store_b32 v[24:25], v0
	scratch_load_b32 v0, off, off offset:156
	s_wait_loadcnt 0x0
	flat_store_b32 v[22:23], v0
	scratch_load_b32 v0, off, off offset:160
	s_wait_loadcnt 0x0
	flat_store_b32 v[20:21], v0
	scratch_load_b32 v0, off, off offset:164
	s_wait_loadcnt 0x0
	flat_store_b32 v[18:19], v0
	scratch_load_b32 v0, off, off offset:168
	s_wait_loadcnt 0x0
	flat_store_b32 v[16:17], v0
	scratch_load_b32 v0, off, off offset:172
	s_wait_loadcnt 0x0
	flat_store_b32 v[14:15], v0
	scratch_load_b32 v0, off, off offset:176
	s_wait_loadcnt 0x0
	flat_store_b32 v[12:13], v0
	scratch_load_b32 v0, off, off offset:180
	s_wait_loadcnt 0x0
	flat_store_b32 v[10:11], v0
	scratch_load_b32 v0, off, off offset:184
	s_wait_loadcnt 0x0
	flat_store_b32 v[8:9], v0
.LBB110_910:
	s_sendmsg sendmsg(MSG_DEALLOC_VGPRS)
	s_endpgm
	.section	.rodata,"a",@progbits
	.p2align	6, 0x0
	.amdhsa_kernel _ZN9rocsolver6v33100L18trti2_kernel_smallILi47EfPKPfEEv13rocblas_fill_17rocblas_diagonal_T1_iil
		.amdhsa_group_segment_fixed_size 380
		.amdhsa_private_segment_fixed_size 192
		.amdhsa_kernarg_size 32
		.amdhsa_user_sgpr_count 2
		.amdhsa_user_sgpr_dispatch_ptr 0
		.amdhsa_user_sgpr_queue_ptr 0
		.amdhsa_user_sgpr_kernarg_segment_ptr 1
		.amdhsa_user_sgpr_dispatch_id 0
		.amdhsa_user_sgpr_kernarg_preload_length 0
		.amdhsa_user_sgpr_kernarg_preload_offset 0
		.amdhsa_user_sgpr_private_segment_size 0
		.amdhsa_wavefront_size32 1
		.amdhsa_uses_dynamic_stack 0
		.amdhsa_enable_private_segment 1
		.amdhsa_system_sgpr_workgroup_id_x 1
		.amdhsa_system_sgpr_workgroup_id_y 0
		.amdhsa_system_sgpr_workgroup_id_z 0
		.amdhsa_system_sgpr_workgroup_info 0
		.amdhsa_system_vgpr_workitem_id 0
		.amdhsa_next_free_vgpr 142
		.amdhsa_next_free_sgpr 53
		.amdhsa_named_barrier_count 0
		.amdhsa_reserve_vcc 1
		.amdhsa_float_round_mode_32 0
		.amdhsa_float_round_mode_16_64 0
		.amdhsa_float_denorm_mode_32 3
		.amdhsa_float_denorm_mode_16_64 3
		.amdhsa_fp16_overflow 0
		.amdhsa_memory_ordered 1
		.amdhsa_forward_progress 1
		.amdhsa_inst_pref_size 212
		.amdhsa_round_robin_scheduling 0
		.amdhsa_exception_fp_ieee_invalid_op 0
		.amdhsa_exception_fp_denorm_src 0
		.amdhsa_exception_fp_ieee_div_zero 0
		.amdhsa_exception_fp_ieee_overflow 0
		.amdhsa_exception_fp_ieee_underflow 0
		.amdhsa_exception_fp_ieee_inexact 0
		.amdhsa_exception_int_div_zero 0
	.end_amdhsa_kernel
	.section	.text._ZN9rocsolver6v33100L18trti2_kernel_smallILi47EfPKPfEEv13rocblas_fill_17rocblas_diagonal_T1_iil,"axG",@progbits,_ZN9rocsolver6v33100L18trti2_kernel_smallILi47EfPKPfEEv13rocblas_fill_17rocblas_diagonal_T1_iil,comdat
.Lfunc_end110:
	.size	_ZN9rocsolver6v33100L18trti2_kernel_smallILi47EfPKPfEEv13rocblas_fill_17rocblas_diagonal_T1_iil, .Lfunc_end110-_ZN9rocsolver6v33100L18trti2_kernel_smallILi47EfPKPfEEv13rocblas_fill_17rocblas_diagonal_T1_iil
                                        ; -- End function
	.set _ZN9rocsolver6v33100L18trti2_kernel_smallILi47EfPKPfEEv13rocblas_fill_17rocblas_diagonal_T1_iil.num_vgpr, 142
	.set _ZN9rocsolver6v33100L18trti2_kernel_smallILi47EfPKPfEEv13rocblas_fill_17rocblas_diagonal_T1_iil.num_agpr, 0
	.set _ZN9rocsolver6v33100L18trti2_kernel_smallILi47EfPKPfEEv13rocblas_fill_17rocblas_diagonal_T1_iil.numbered_sgpr, 53
	.set _ZN9rocsolver6v33100L18trti2_kernel_smallILi47EfPKPfEEv13rocblas_fill_17rocblas_diagonal_T1_iil.num_named_barrier, 0
	.set _ZN9rocsolver6v33100L18trti2_kernel_smallILi47EfPKPfEEv13rocblas_fill_17rocblas_diagonal_T1_iil.private_seg_size, 192
	.set _ZN9rocsolver6v33100L18trti2_kernel_smallILi47EfPKPfEEv13rocblas_fill_17rocblas_diagonal_T1_iil.uses_vcc, 1
	.set _ZN9rocsolver6v33100L18trti2_kernel_smallILi47EfPKPfEEv13rocblas_fill_17rocblas_diagonal_T1_iil.uses_flat_scratch, 0
	.set _ZN9rocsolver6v33100L18trti2_kernel_smallILi47EfPKPfEEv13rocblas_fill_17rocblas_diagonal_T1_iil.has_dyn_sized_stack, 0
	.set _ZN9rocsolver6v33100L18trti2_kernel_smallILi47EfPKPfEEv13rocblas_fill_17rocblas_diagonal_T1_iil.has_recursion, 0
	.set _ZN9rocsolver6v33100L18trti2_kernel_smallILi47EfPKPfEEv13rocblas_fill_17rocblas_diagonal_T1_iil.has_indirect_call, 0
	.section	.AMDGPU.csdata,"",@progbits
; Kernel info:
; codeLenInByte = 27108
; TotalNumSgprs: 55
; NumVgprs: 142
; ScratchSize: 192
; MemoryBound: 0
; FloatMode: 240
; IeeeMode: 1
; LDSByteSize: 380 bytes/workgroup (compile time only)
; SGPRBlocks: 0
; VGPRBlocks: 8
; NumSGPRsForWavesPerEU: 55
; NumVGPRsForWavesPerEU: 142
; NamedBarCnt: 0
; Occupancy: 7
; WaveLimiterHint : 1
; COMPUTE_PGM_RSRC2:SCRATCH_EN: 1
; COMPUTE_PGM_RSRC2:USER_SGPR: 2
; COMPUTE_PGM_RSRC2:TRAP_HANDLER: 0
; COMPUTE_PGM_RSRC2:TGID_X_EN: 1
; COMPUTE_PGM_RSRC2:TGID_Y_EN: 0
; COMPUTE_PGM_RSRC2:TGID_Z_EN: 0
; COMPUTE_PGM_RSRC2:TIDIG_COMP_CNT: 0
	.section	.text._ZN9rocsolver6v33100L18trti2_kernel_smallILi48EfPKPfEEv13rocblas_fill_17rocblas_diagonal_T1_iil,"axG",@progbits,_ZN9rocsolver6v33100L18trti2_kernel_smallILi48EfPKPfEEv13rocblas_fill_17rocblas_diagonal_T1_iil,comdat
	.globl	_ZN9rocsolver6v33100L18trti2_kernel_smallILi48EfPKPfEEv13rocblas_fill_17rocblas_diagonal_T1_iil ; -- Begin function _ZN9rocsolver6v33100L18trti2_kernel_smallILi48EfPKPfEEv13rocblas_fill_17rocblas_diagonal_T1_iil
	.p2align	8
	.type	_ZN9rocsolver6v33100L18trti2_kernel_smallILi48EfPKPfEEv13rocblas_fill_17rocblas_diagonal_T1_iil,@function
_ZN9rocsolver6v33100L18trti2_kernel_smallILi48EfPKPfEEv13rocblas_fill_17rocblas_diagonal_T1_iil: ; @_ZN9rocsolver6v33100L18trti2_kernel_smallILi48EfPKPfEEv13rocblas_fill_17rocblas_diagonal_T1_iil
; %bb.0:
	s_mov_b32 s2, exec_lo
	v_cmpx_gt_u32_e32 48, v0
	s_cbranch_execz .LBB111_930
; %bb.1:
	s_clause 0x1
	s_load_b64 s[2:3], s[0:1], 0x10
	s_load_b128 s[4:7], s[0:1], 0x0
	s_wait_xcnt 0x0
	s_bfe_u32 s0, ttmp6, 0x4000c
	s_and_b32 s1, ttmp6, 15
	s_add_co_i32 s0, s0, 1
	s_getreg_b32 s8, hwreg(HW_REG_IB_STS2, 6, 4)
	s_mul_i32 s0, ttmp9, s0
	v_dual_mov_b32 v7, 0 :: v_dual_lshlrev_b32 v6, 2, v0
	s_add_co_i32 s0, s1, s0
	v_mov_b32_e32 v100, -1.0
	s_wait_kmcnt 0x0
	s_ashr_i32 s1, s2, 31
	s_cmp_eq_u32 s8, 0
	v_add3_u32 v8, s3, s3, v0
	s_cselect_b32 s8, ttmp9, s0
	s_mov_b32 s0, s2
	s_ashr_i32 s9, s8, 31
	s_lshl_b64 s[0:1], s[0:1], 2
	s_lshl_b64 s[8:9], s[8:9], 3
	v_add_nc_u32_e32 v10, s3, v8
	s_add_nc_u64 s[6:7], s[6:7], s[8:9]
	v_ashrrev_i32_e32 v9, 31, v8
	s_load_b64 s[6:7], s[6:7], 0x0
	s_delay_alu instid0(VALU_DEP_2) | instskip(NEXT) | instid1(VALU_DEP_1)
	v_add_nc_u32_e32 v12, s3, v10
	v_add_nc_u32_e32 v14, s3, v12
	s_delay_alu instid0(VALU_DEP_1) | instskip(NEXT) | instid1(VALU_DEP_1)
	v_add_nc_u32_e32 v16, s3, v14
	v_dual_ashrrev_i32 v11, 31, v10 :: v_dual_add_nc_u32 v18, s3, v16
	v_ashrrev_i32_e32 v13, 31, v12
	s_wait_kmcnt 0x0
	s_add_nc_u64 s[6:7], s[6:7], s[0:1]
	s_mov_b32 s0, s3
	flat_load_b32 v1, v0, s[6:7] scale_offset
	v_add_nc_u64_e32 v[2:3], s[6:7], v[6:7]
	s_ashr_i32 s1, s3, 31
	v_add_nc_u32_e32 v20, s3, v18
	v_ashrrev_i32_e32 v15, 31, v14
	v_ashrrev_i32_e32 v19, 31, v18
	s_cmp_lg_u32 s5, 0x84
	s_delay_alu instid0(VALU_DEP_4) | instskip(SKIP_2) | instid1(VALU_DEP_1)
	v_lshl_add_u64 v[4:5], s[0:1], 2, v[2:3]
	v_add_nc_u32_e32 v22, s3, v20
	s_movk_i32 s1, 0x84
	v_add_nc_u32_e32 v24, s3, v22
	s_delay_alu instid0(VALU_DEP_1) | instskip(NEXT) | instid1(VALU_DEP_1)
	v_add_nc_u32_e32 v26, s3, v24
	v_dual_add_nc_u32 v28, s3, v26 :: v_dual_ashrrev_i32 v17, 31, v16
	s_delay_alu instid0(VALU_DEP_1) | instskip(NEXT) | instid1(VALU_DEP_1)
	v_dual_ashrrev_i32 v23, 31, v22 :: v_dual_add_nc_u32 v30, s3, v28
	v_dual_ashrrev_i32 v25, 31, v24 :: v_dual_ashrrev_i32 v31, 31, v30
	v_dual_add_nc_u32 v32, s3, v30 :: v_dual_ashrrev_i32 v21, 31, v20
	s_delay_alu instid0(VALU_DEP_1) | instskip(NEXT) | instid1(VALU_DEP_1)
	v_dual_ashrrev_i32 v27, 31, v26 :: v_dual_add_nc_u32 v34, s3, v32
	v_add_nc_u32_e32 v36, s3, v34
	s_delay_alu instid0(VALU_DEP_1) | instskip(NEXT) | instid1(VALU_DEP_1)
	v_add_nc_u32_e32 v38, s3, v36
	v_dual_add_nc_u32 v40, s3, v38 :: v_dual_ashrrev_i32 v29, 31, v28
	s_delay_alu instid0(VALU_DEP_1) | instskip(NEXT) | instid1(VALU_DEP_1)
	v_dual_ashrrev_i32 v35, 31, v34 :: v_dual_add_nc_u32 v42, s3, v40
	v_dual_ashrrev_i32 v37, 31, v36 :: v_dual_ashrrev_i32 v43, 31, v42
	v_dual_add_nc_u32 v44, s3, v42 :: v_dual_ashrrev_i32 v33, 31, v32
	s_delay_alu instid0(VALU_DEP_1) | instskip(NEXT) | instid1(VALU_DEP_1)
	v_dual_ashrrev_i32 v39, 31, v38 :: v_dual_add_nc_u32 v46, s3, v44
	;; [unrolled: 10-line block ×6, first 2 shown]
	v_dual_ashrrev_i32 v89, 31, v88 :: v_dual_ashrrev_i32 v95, 31, v94
	v_add_nc_u32_e32 v96, s3, v94
	s_delay_alu instid0(VALU_DEP_1)
	v_add_nc_u32_e32 v98, s3, v96
	v_ashrrev_i32_e32 v93, 31, v92
	v_ashrrev_i32_e32 v97, 31, v96
	s_cselect_b32 s3, -1, 0
	s_cmp_eq_u32 s5, 0x84
	v_ashrrev_i32_e32 v99, 31, v98
	s_wait_loadcnt_dscnt 0x0
	scratch_store_b32 off, v1, off
	flat_load_b32 v1, v[4:5]
	s_wait_loadcnt_dscnt 0x0
	scratch_store_b32 off, v1, off offset:4
	flat_load_b32 v1, v8, s[6:7] scale_offset
	s_wait_loadcnt_dscnt 0x0
	scratch_store_b32 off, v1, off offset:8
	flat_load_b32 v1, v10, s[6:7] scale_offset
	;; [unrolled: 3-line block ×46, first 2 shown]
	s_wait_loadcnt_dscnt 0x0
	scratch_store_b32 off, v1, off offset:188
	s_cbranch_scc1 .LBB111_3
; %bb.2:
	scratch_load_b32 v1, v0, off scale_offset
	s_wait_loadcnt 0x0
	v_div_scale_f32 v7, null, v1, v1, 1.0
	s_delay_alu instid0(VALU_DEP_1) | instskip(SKIP_1) | instid1(TRANS32_DEP_1)
	v_rcp_f32_e32 v100, v7
	v_nop
	v_fma_f32 v101, -v7, v100, 1.0
	s_delay_alu instid0(VALU_DEP_1) | instskip(SKIP_1) | instid1(VALU_DEP_1)
	v_fmac_f32_e32 v100, v101, v100
	v_div_scale_f32 v101, vcc_lo, 1.0, v1, 1.0
	v_mul_f32_e32 v102, v101, v100
	s_delay_alu instid0(VALU_DEP_1) | instskip(NEXT) | instid1(VALU_DEP_1)
	v_fma_f32 v103, -v7, v102, v101
	v_fmac_f32_e32 v102, v103, v100
	s_delay_alu instid0(VALU_DEP_1) | instskip(NEXT) | instid1(VALU_DEP_1)
	v_fma_f32 v7, -v7, v102, v101
	v_div_fmas_f32 v7, v7, v100, v102
	s_delay_alu instid0(VALU_DEP_1) | instskip(NEXT) | instid1(VALU_DEP_1)
	v_div_fixup_f32 v1, v7, v1, 1.0
	v_xor_b32_e32 v100, 0x80000000, v1
	scratch_store_b32 v0, v1, off scale_offset
.LBB111_3:
	s_wait_xcnt 0x0
	v_add_nc_u32_e32 v1, 0xc0, v6
	v_mov_b32_e32 v7, v6
	s_cmp_eq_u32 s4, 0x79
	s_mov_b32 s2, -1
	ds_store_b32 v6, v100
	s_cbranch_scc1 .LBB111_467
; %bb.4:
	scratch_load_b32 v100, off, off offset:184
	v_cmp_eq_u32_e64 s0, 47, v0
	s_movk_i32 s21, 0x44
	s_movk_i32 s22, 0x48
	;; [unrolled: 1-line block ×28, first 2 shown]
	s_wait_loadcnt 0x0
	ds_store_b32 v1, v100
	s_wait_storecnt_dscnt 0x0
	s_barrier_signal -1
	s_barrier_wait -1
	s_wait_xcnt 0x0
	s_and_saveexec_b32 s2, s0
	s_cbranch_execz .LBB111_10
; %bb.5:
	s_and_b32 vcc_lo, exec_lo, s3
	s_cbranch_vccz .LBB111_7
; %bb.6:
	scratch_load_b32 v100, v7, off
	ds_load_b32 v101, v1
	s_wait_loadcnt_dscnt 0x0
	v_mul_f32_e32 v100, v100, v101
	s_cbranch_execz .LBB111_8
	s_branch .LBB111_9
.LBB111_7:
                                        ; implicit-def: $vgpr100
.LBB111_8:
	ds_load_b32 v100, v1
.LBB111_9:
	v_mov_b32_e32 v101, 0
	ds_load_b32 v101, v101 offset:184
	s_wait_dscnt 0x0
	v_mul_f32_e32 v100, v100, v101
	scratch_store_b32 off, v100, off offset:184
.LBB111_10:
	s_wait_xcnt 0x0
	s_or_b32 exec_lo, exec_lo, s2
	scratch_load_b32 v100, off, off offset:180
	s_mov_b32 s38, s1
	v_cmp_lt_u32_e64 s1, 45, v0
	s_or_b32 s4, 0, 4
	s_or_b32 s5, 0, 8
	;; [unrolled: 1-line block ×3, first 2 shown]
	s_mov_b32 s2, 16
	s_mov_b32 s9, 20
	s_mov_b32 s10, 24
	s_mov_b32 s11, 28
	s_mov_b32 s12, 32
	s_mov_b32 s13, 36
	s_mov_b32 s14, 40
	s_mov_b32 s15, 44
	s_mov_b32 s16, 48
	s_mov_b32 s17, 52
	s_mov_b32 s18, 56
	s_mov_b32 s19, 60
	s_mov_b32 s20, 64
	s_wait_loadcnt 0x0
	ds_store_b32 v1, v100
	s_wait_storecnt_dscnt 0x0
	s_barrier_signal -1
	s_barrier_wait -1
	s_wait_xcnt 0x0
	s_and_saveexec_b32 s51, s1
	s_cbranch_execz .LBB111_16
; %bb.11:
	s_and_not1_b32 vcc_lo, exec_lo, s3
	s_cbranch_vccnz .LBB111_13
; %bb.12:
	scratch_load_b32 v100, v7, off
	ds_load_b32 v101, v1
	s_wait_loadcnt_dscnt 0x0
	v_mul_f32_e32 v100, v100, v101
	s_cbranch_execz .LBB111_14
	s_branch .LBB111_15
.LBB111_13:
                                        ; implicit-def: $vgpr100
.LBB111_14:
	ds_load_b32 v100, v1
.LBB111_15:
	scratch_load_b32 v101, off, off offset:184
	v_mov_b32_e32 v102, 0
	ds_load_2addr_b32 v[102:103], v102 offset0:45 offset1:94
	s_wait_loadcnt_dscnt 0x0
	v_fma_f32 v101, v101, v103, v100
	s_delay_alu instid0(VALU_DEP_1) | instskip(NEXT) | instid1(VALU_DEP_1)
	v_cndmask_b32_e64 v100, v100, v101, s0
	v_mul_f32_e32 v100, v100, v102
	scratch_store_b32 off, v100, off offset:180
.LBB111_16:
	s_wait_xcnt 0x0
	s_or_b32 exec_lo, exec_lo, s51
	scratch_load_b32 v100, off, off offset:176
	v_cmp_lt_u32_e64 s0, 44, v0
	s_wait_loadcnt 0x0
	ds_store_b32 v1, v100
	s_wait_storecnt_dscnt 0x0
	s_barrier_signal -1
	s_barrier_wait -1
	s_wait_xcnt 0x0
	s_and_saveexec_b32 s51, s0
	s_cbranch_execz .LBB111_26
; %bb.17:
	s_and_not1_b32 vcc_lo, exec_lo, s3
	s_cbranch_vccnz .LBB111_19
; %bb.18:
	scratch_load_b32 v100, v7, off
	ds_load_b32 v101, v1
	s_wait_loadcnt_dscnt 0x0
	v_mul_f32_e32 v100, v100, v101
	s_cbranch_execz .LBB111_20
	s_branch .LBB111_21
.LBB111_19:
                                        ; implicit-def: $vgpr100
.LBB111_20:
	ds_load_b32 v100, v1
.LBB111_21:
	s_and_saveexec_b32 s52, s1
	s_cbranch_execz .LBB111_25
; %bb.22:
	v_subrev_nc_u32_e32 v101, 45, v0
	s_movk_i32 s53, 0x174
	s_mov_b32 s1, 0
.LBB111_23:                             ; =>This Inner Loop Header: Depth=1
	scratch_load_b32 v102, off, s50
	v_dual_mov_b32 v103, s53 :: v_dual_add_nc_u32 v101, -1, v101
	s_add_co_i32 s53, s53, 4
	s_wait_xcnt 0x0
	s_add_co_i32 s50, s50, 4
	ds_load_b32 v103, v103
	v_cmp_eq_u32_e32 vcc_lo, 0, v101
	s_or_b32 s1, vcc_lo, s1
	s_wait_loadcnt_dscnt 0x0
	v_fmac_f32_e32 v100, v102, v103
	s_and_not1_b32 exec_lo, exec_lo, s1
	s_cbranch_execnz .LBB111_23
; %bb.24:
	s_or_b32 exec_lo, exec_lo, s1
.LBB111_25:
	s_delay_alu instid0(SALU_CYCLE_1)
	s_or_b32 exec_lo, exec_lo, s52
	v_mov_b32_e32 v101, 0
	ds_load_b32 v101, v101 offset:176
	s_wait_dscnt 0x0
	v_mul_f32_e32 v100, v100, v101
	scratch_store_b32 off, v100, off offset:176
.LBB111_26:
	s_wait_xcnt 0x0
	s_or_b32 exec_lo, exec_lo, s51
	scratch_load_b32 v100, off, off offset:172
	v_cmp_lt_u32_e64 s1, 43, v0
	s_wait_loadcnt 0x0
	ds_store_b32 v1, v100
	s_wait_storecnt_dscnt 0x0
	s_barrier_signal -1
	s_barrier_wait -1
	s_wait_xcnt 0x0
	s_and_saveexec_b32 s50, s1
	s_cbranch_execz .LBB111_36
; %bb.27:
	s_and_not1_b32 vcc_lo, exec_lo, s3
	s_cbranch_vccnz .LBB111_29
; %bb.28:
	scratch_load_b32 v100, v7, off
	ds_load_b32 v101, v1
	s_wait_loadcnt_dscnt 0x0
	v_mul_f32_e32 v100, v100, v101
	s_cbranch_execz .LBB111_30
	s_branch .LBB111_31
.LBB111_29:
                                        ; implicit-def: $vgpr100
.LBB111_30:
	ds_load_b32 v100, v1
.LBB111_31:
	s_and_saveexec_b32 s51, s0
	s_cbranch_execz .LBB111_35
; %bb.32:
	v_subrev_nc_u32_e32 v101, 44, v0
	s_movk_i32 s52, 0x170
	s_mov_b32 s0, 0
.LBB111_33:                             ; =>This Inner Loop Header: Depth=1
	scratch_load_b32 v102, off, s49
	v_dual_mov_b32 v103, s52 :: v_dual_add_nc_u32 v101, -1, v101
	s_add_co_i32 s52, s52, 4
	s_wait_xcnt 0x0
	s_add_co_i32 s49, s49, 4
	ds_load_b32 v103, v103
	v_cmp_eq_u32_e32 vcc_lo, 0, v101
	s_or_b32 s0, vcc_lo, s0
	s_wait_loadcnt_dscnt 0x0
	v_fmac_f32_e32 v100, v102, v103
	s_and_not1_b32 exec_lo, exec_lo, s0
	s_cbranch_execnz .LBB111_33
; %bb.34:
	s_or_b32 exec_lo, exec_lo, s0
.LBB111_35:
	s_delay_alu instid0(SALU_CYCLE_1)
	s_or_b32 exec_lo, exec_lo, s51
	v_mov_b32_e32 v101, 0
	ds_load_b32 v101, v101 offset:172
	s_wait_dscnt 0x0
	v_mul_f32_e32 v100, v100, v101
	scratch_store_b32 off, v100, off offset:172
.LBB111_36:
	;; [unrolled: 57-line block ×8, first 2 shown]
	s_wait_xcnt 0x0
	s_or_b32 exec_lo, exec_lo, s44
	scratch_load_b32 v100, off, off offset:144
	v_cmp_lt_u32_e64 s0, 36, v0
	s_wait_loadcnt 0x0
	ds_store_b32 v1, v100
	s_wait_storecnt_dscnt 0x0
	s_barrier_signal -1
	s_barrier_wait -1
	s_wait_xcnt 0x0
	s_and_saveexec_b32 s43, s0
	s_cbranch_execz .LBB111_106
; %bb.97:
	s_and_not1_b32 vcc_lo, exec_lo, s3
	s_cbranch_vccnz .LBB111_99
; %bb.98:
	scratch_load_b32 v100, v7, off
	ds_load_b32 v101, v1
	s_wait_loadcnt_dscnt 0x0
	v_mul_f32_e32 v100, v100, v101
	s_cbranch_execz .LBB111_100
	s_branch .LBB111_101
.LBB111_99:
                                        ; implicit-def: $vgpr100
.LBB111_100:
	ds_load_b32 v100, v1
.LBB111_101:
	s_and_saveexec_b32 s44, s1
	s_cbranch_execz .LBB111_105
; %bb.102:
	v_subrev_nc_u32_e32 v101, 37, v0
	s_movk_i32 s45, 0x154
	s_mov_b32 s1, 0
.LBB111_103:                            ; =>This Inner Loop Header: Depth=1
	scratch_load_b32 v102, off, s42
	v_dual_mov_b32 v103, s45 :: v_dual_add_nc_u32 v101, -1, v101
	s_add_co_i32 s45, s45, 4
	s_wait_xcnt 0x0
	s_add_co_i32 s42, s42, 4
	ds_load_b32 v103, v103
	v_cmp_eq_u32_e32 vcc_lo, 0, v101
	s_or_b32 s1, vcc_lo, s1
	s_wait_loadcnt_dscnt 0x0
	v_fmac_f32_e32 v100, v102, v103
	s_and_not1_b32 exec_lo, exec_lo, s1
	s_cbranch_execnz .LBB111_103
; %bb.104:
	s_or_b32 exec_lo, exec_lo, s1
.LBB111_105:
	s_delay_alu instid0(SALU_CYCLE_1)
	s_or_b32 exec_lo, exec_lo, s44
	v_mov_b32_e32 v101, 0
	ds_load_b32 v101, v101 offset:144
	s_wait_dscnt 0x0
	v_mul_f32_e32 v100, v100, v101
	scratch_store_b32 off, v100, off offset:144
.LBB111_106:
	s_wait_xcnt 0x0
	s_or_b32 exec_lo, exec_lo, s43
	scratch_load_b32 v100, off, off offset:140
	v_cmp_lt_u32_e64 s1, 35, v0
	s_wait_loadcnt 0x0
	ds_store_b32 v1, v100
	s_wait_storecnt_dscnt 0x0
	s_barrier_signal -1
	s_barrier_wait -1
	s_wait_xcnt 0x0
	s_and_saveexec_b32 s42, s1
	s_cbranch_execz .LBB111_116
; %bb.107:
	s_and_not1_b32 vcc_lo, exec_lo, s3
	s_cbranch_vccnz .LBB111_109
; %bb.108:
	scratch_load_b32 v100, v7, off
	ds_load_b32 v101, v1
	s_wait_loadcnt_dscnt 0x0
	v_mul_f32_e32 v100, v100, v101
	s_cbranch_execz .LBB111_110
	s_branch .LBB111_111
.LBB111_109:
                                        ; implicit-def: $vgpr100
.LBB111_110:
	ds_load_b32 v100, v1
.LBB111_111:
	s_and_saveexec_b32 s43, s0
	s_cbranch_execz .LBB111_115
; %bb.112:
	v_subrev_nc_u32_e32 v101, 36, v0
	s_movk_i32 s44, 0x150
	s_mov_b32 s0, 0
.LBB111_113:                            ; =>This Inner Loop Header: Depth=1
	scratch_load_b32 v102, off, s41
	v_dual_mov_b32 v103, s44 :: v_dual_add_nc_u32 v101, -1, v101
	s_add_co_i32 s44, s44, 4
	s_wait_xcnt 0x0
	s_add_co_i32 s41, s41, 4
	ds_load_b32 v103, v103
	v_cmp_eq_u32_e32 vcc_lo, 0, v101
	s_or_b32 s0, vcc_lo, s0
	s_wait_loadcnt_dscnt 0x0
	v_fmac_f32_e32 v100, v102, v103
	s_and_not1_b32 exec_lo, exec_lo, s0
	s_cbranch_execnz .LBB111_113
; %bb.114:
	s_or_b32 exec_lo, exec_lo, s0
.LBB111_115:
	s_delay_alu instid0(SALU_CYCLE_1)
	s_or_b32 exec_lo, exec_lo, s43
	v_mov_b32_e32 v101, 0
	ds_load_b32 v101, v101 offset:140
	s_wait_dscnt 0x0
	v_mul_f32_e32 v100, v100, v101
	scratch_store_b32 off, v100, off offset:140
.LBB111_116:
	;; [unrolled: 57-line block ×21, first 2 shown]
	s_wait_xcnt 0x0
	s_or_b32 exec_lo, exec_lo, s22
	scratch_load_b32 v100, off, off offset:60
	v_cmp_lt_u32_e64 s1, 15, v0
	s_wait_loadcnt 0x0
	ds_store_b32 v1, v100
	s_wait_storecnt_dscnt 0x0
	s_barrier_signal -1
	s_barrier_wait -1
	s_wait_xcnt 0x0
	s_and_saveexec_b32 s21, s1
	s_cbranch_execz .LBB111_316
; %bb.307:
	s_and_not1_b32 vcc_lo, exec_lo, s3
	s_cbranch_vccnz .LBB111_309
; %bb.308:
	scratch_load_b32 v100, v7, off
	ds_load_b32 v101, v1
	s_wait_loadcnt_dscnt 0x0
	v_mul_f32_e32 v100, v100, v101
	s_cbranch_execz .LBB111_310
	s_branch .LBB111_311
.LBB111_309:
                                        ; implicit-def: $vgpr100
.LBB111_310:
	ds_load_b32 v100, v1
.LBB111_311:
	s_and_saveexec_b32 s22, s0
	s_cbranch_execz .LBB111_315
; %bb.312:
	v_add_nc_u32_e32 v101, -16, v0
	s_movk_i32 s23, 0x100
	s_mov_b32 s0, 0
.LBB111_313:                            ; =>This Inner Loop Header: Depth=1
	scratch_load_b32 v102, off, s20
	v_dual_mov_b32 v103, s23 :: v_dual_add_nc_u32 v101, -1, v101
	s_add_co_i32 s23, s23, 4
	s_wait_xcnt 0x0
	s_add_co_i32 s20, s20, 4
	ds_load_b32 v103, v103
	v_cmp_eq_u32_e32 vcc_lo, 0, v101
	s_or_b32 s0, vcc_lo, s0
	s_wait_loadcnt_dscnt 0x0
	v_fmac_f32_e32 v100, v102, v103
	s_and_not1_b32 exec_lo, exec_lo, s0
	s_cbranch_execnz .LBB111_313
; %bb.314:
	s_or_b32 exec_lo, exec_lo, s0
.LBB111_315:
	s_delay_alu instid0(SALU_CYCLE_1)
	s_or_b32 exec_lo, exec_lo, s22
	v_mov_b32_e32 v101, 0
	ds_load_b32 v101, v101 offset:60
	s_wait_dscnt 0x0
	v_mul_f32_e32 v100, v100, v101
	scratch_store_b32 off, v100, off offset:60
.LBB111_316:
	s_wait_xcnt 0x0
	s_or_b32 exec_lo, exec_lo, s21
	scratch_load_b32 v100, off, off offset:56
	v_cmp_lt_u32_e64 s0, 14, v0
	s_wait_loadcnt 0x0
	ds_store_b32 v1, v100
	s_wait_storecnt_dscnt 0x0
	s_barrier_signal -1
	s_barrier_wait -1
	s_wait_xcnt 0x0
	s_and_saveexec_b32 s20, s0
	s_cbranch_execz .LBB111_326
; %bb.317:
	s_and_not1_b32 vcc_lo, exec_lo, s3
	s_cbranch_vccnz .LBB111_319
; %bb.318:
	scratch_load_b32 v100, v7, off
	ds_load_b32 v101, v1
	s_wait_loadcnt_dscnt 0x0
	v_mul_f32_e32 v100, v100, v101
	s_cbranch_execz .LBB111_320
	s_branch .LBB111_321
.LBB111_319:
                                        ; implicit-def: $vgpr100
.LBB111_320:
	ds_load_b32 v100, v1
.LBB111_321:
	s_and_saveexec_b32 s21, s1
	s_cbranch_execz .LBB111_325
; %bb.322:
	v_add_nc_u32_e32 v101, -15, v0
	s_movk_i32 s22, 0xfc
	s_mov_b32 s1, 0
.LBB111_323:                            ; =>This Inner Loop Header: Depth=1
	scratch_load_b32 v102, off, s19
	v_dual_mov_b32 v103, s22 :: v_dual_add_nc_u32 v101, -1, v101
	s_add_co_i32 s22, s22, 4
	s_wait_xcnt 0x0
	s_add_co_i32 s19, s19, 4
	ds_load_b32 v103, v103
	v_cmp_eq_u32_e32 vcc_lo, 0, v101
	s_or_b32 s1, vcc_lo, s1
	s_wait_loadcnt_dscnt 0x0
	v_fmac_f32_e32 v100, v102, v103
	s_and_not1_b32 exec_lo, exec_lo, s1
	s_cbranch_execnz .LBB111_323
; %bb.324:
	s_or_b32 exec_lo, exec_lo, s1
.LBB111_325:
	s_delay_alu instid0(SALU_CYCLE_1)
	s_or_b32 exec_lo, exec_lo, s21
	v_mov_b32_e32 v101, 0
	ds_load_b32 v101, v101 offset:56
	s_wait_dscnt 0x0
	v_mul_f32_e32 v100, v100, v101
	scratch_store_b32 off, v100, off offset:56
.LBB111_326:
	s_wait_xcnt 0x0
	s_or_b32 exec_lo, exec_lo, s20
	scratch_load_b32 v100, off, off offset:52
	v_cmp_lt_u32_e64 s1, 13, v0
	s_wait_loadcnt 0x0
	ds_store_b32 v1, v100
	s_wait_storecnt_dscnt 0x0
	s_barrier_signal -1
	s_barrier_wait -1
	s_wait_xcnt 0x0
	s_and_saveexec_b32 s19, s1
	s_cbranch_execz .LBB111_336
; %bb.327:
	s_and_not1_b32 vcc_lo, exec_lo, s3
	s_cbranch_vccnz .LBB111_329
; %bb.328:
	scratch_load_b32 v100, v7, off
	ds_load_b32 v101, v1
	s_wait_loadcnt_dscnt 0x0
	v_mul_f32_e32 v100, v100, v101
	s_cbranch_execz .LBB111_330
	s_branch .LBB111_331
.LBB111_329:
                                        ; implicit-def: $vgpr100
.LBB111_330:
	ds_load_b32 v100, v1
.LBB111_331:
	s_and_saveexec_b32 s20, s0
	s_cbranch_execz .LBB111_335
; %bb.332:
	v_add_nc_u32_e32 v101, -14, v0
	s_movk_i32 s21, 0xf8
	s_mov_b32 s0, 0
.LBB111_333:                            ; =>This Inner Loop Header: Depth=1
	scratch_load_b32 v102, off, s18
	v_dual_mov_b32 v103, s21 :: v_dual_add_nc_u32 v101, -1, v101
	s_add_co_i32 s21, s21, 4
	s_wait_xcnt 0x0
	s_add_co_i32 s18, s18, 4
	ds_load_b32 v103, v103
	v_cmp_eq_u32_e32 vcc_lo, 0, v101
	s_or_b32 s0, vcc_lo, s0
	s_wait_loadcnt_dscnt 0x0
	v_fmac_f32_e32 v100, v102, v103
	s_and_not1_b32 exec_lo, exec_lo, s0
	s_cbranch_execnz .LBB111_333
; %bb.334:
	s_or_b32 exec_lo, exec_lo, s0
.LBB111_335:
	s_delay_alu instid0(SALU_CYCLE_1)
	s_or_b32 exec_lo, exec_lo, s20
	v_mov_b32_e32 v101, 0
	ds_load_b32 v101, v101 offset:52
	s_wait_dscnt 0x0
	v_mul_f32_e32 v100, v100, v101
	scratch_store_b32 off, v100, off offset:52
.LBB111_336:
	s_wait_xcnt 0x0
	s_or_b32 exec_lo, exec_lo, s19
	scratch_load_b32 v100, off, off offset:48
	v_cmp_lt_u32_e64 s0, 12, v0
	s_wait_loadcnt 0x0
	ds_store_b32 v1, v100
	s_wait_storecnt_dscnt 0x0
	s_barrier_signal -1
	s_barrier_wait -1
	s_wait_xcnt 0x0
	s_and_saveexec_b32 s18, s0
	s_cbranch_execz .LBB111_346
; %bb.337:
	s_and_not1_b32 vcc_lo, exec_lo, s3
	s_cbranch_vccnz .LBB111_339
; %bb.338:
	scratch_load_b32 v100, v7, off
	ds_load_b32 v101, v1
	s_wait_loadcnt_dscnt 0x0
	v_mul_f32_e32 v100, v100, v101
	s_cbranch_execz .LBB111_340
	s_branch .LBB111_341
.LBB111_339:
                                        ; implicit-def: $vgpr100
.LBB111_340:
	ds_load_b32 v100, v1
.LBB111_341:
	s_and_saveexec_b32 s19, s1
	s_cbranch_execz .LBB111_345
; %bb.342:
	v_add_nc_u32_e32 v101, -13, v0
	s_movk_i32 s20, 0xf4
	s_mov_b32 s1, 0
.LBB111_343:                            ; =>This Inner Loop Header: Depth=1
	scratch_load_b32 v102, off, s17
	v_dual_mov_b32 v103, s20 :: v_dual_add_nc_u32 v101, -1, v101
	s_add_co_i32 s20, s20, 4
	s_wait_xcnt 0x0
	s_add_co_i32 s17, s17, 4
	ds_load_b32 v103, v103
	v_cmp_eq_u32_e32 vcc_lo, 0, v101
	s_or_b32 s1, vcc_lo, s1
	s_wait_loadcnt_dscnt 0x0
	v_fmac_f32_e32 v100, v102, v103
	s_and_not1_b32 exec_lo, exec_lo, s1
	s_cbranch_execnz .LBB111_343
; %bb.344:
	s_or_b32 exec_lo, exec_lo, s1
.LBB111_345:
	s_delay_alu instid0(SALU_CYCLE_1)
	s_or_b32 exec_lo, exec_lo, s19
	v_mov_b32_e32 v101, 0
	ds_load_b32 v101, v101 offset:48
	s_wait_dscnt 0x0
	v_mul_f32_e32 v100, v100, v101
	scratch_store_b32 off, v100, off offset:48
.LBB111_346:
	s_wait_xcnt 0x0
	s_or_b32 exec_lo, exec_lo, s18
	scratch_load_b32 v100, off, off offset:44
	v_cmp_lt_u32_e64 s1, 11, v0
	s_wait_loadcnt 0x0
	ds_store_b32 v1, v100
	s_wait_storecnt_dscnt 0x0
	s_barrier_signal -1
	s_barrier_wait -1
	s_wait_xcnt 0x0
	s_and_saveexec_b32 s17, s1
	s_cbranch_execz .LBB111_356
; %bb.347:
	s_and_not1_b32 vcc_lo, exec_lo, s3
	s_cbranch_vccnz .LBB111_349
; %bb.348:
	scratch_load_b32 v100, v7, off
	ds_load_b32 v101, v1
	s_wait_loadcnt_dscnt 0x0
	v_mul_f32_e32 v100, v100, v101
	s_cbranch_execz .LBB111_350
	s_branch .LBB111_351
.LBB111_349:
                                        ; implicit-def: $vgpr100
.LBB111_350:
	ds_load_b32 v100, v1
.LBB111_351:
	s_and_saveexec_b32 s18, s0
	s_cbranch_execz .LBB111_355
; %bb.352:
	v_add_nc_u32_e32 v101, -12, v0
	s_movk_i32 s19, 0xf0
	s_mov_b32 s0, 0
.LBB111_353:                            ; =>This Inner Loop Header: Depth=1
	scratch_load_b32 v102, off, s16
	v_dual_mov_b32 v103, s19 :: v_dual_add_nc_u32 v101, -1, v101
	s_add_co_i32 s19, s19, 4
	s_wait_xcnt 0x0
	s_add_co_i32 s16, s16, 4
	ds_load_b32 v103, v103
	v_cmp_eq_u32_e32 vcc_lo, 0, v101
	s_or_b32 s0, vcc_lo, s0
	s_wait_loadcnt_dscnt 0x0
	v_fmac_f32_e32 v100, v102, v103
	s_and_not1_b32 exec_lo, exec_lo, s0
	s_cbranch_execnz .LBB111_353
; %bb.354:
	s_or_b32 exec_lo, exec_lo, s0
.LBB111_355:
	s_delay_alu instid0(SALU_CYCLE_1)
	s_or_b32 exec_lo, exec_lo, s18
	v_mov_b32_e32 v101, 0
	ds_load_b32 v101, v101 offset:44
	s_wait_dscnt 0x0
	v_mul_f32_e32 v100, v100, v101
	scratch_store_b32 off, v100, off offset:44
.LBB111_356:
	s_wait_xcnt 0x0
	s_or_b32 exec_lo, exec_lo, s17
	scratch_load_b32 v100, off, off offset:40
	v_cmp_lt_u32_e64 s0, 10, v0
	s_wait_loadcnt 0x0
	ds_store_b32 v1, v100
	s_wait_storecnt_dscnt 0x0
	s_barrier_signal -1
	s_barrier_wait -1
	s_wait_xcnt 0x0
	s_and_saveexec_b32 s16, s0
	s_cbranch_execz .LBB111_366
; %bb.357:
	s_and_not1_b32 vcc_lo, exec_lo, s3
	s_cbranch_vccnz .LBB111_359
; %bb.358:
	scratch_load_b32 v100, v7, off
	ds_load_b32 v101, v1
	s_wait_loadcnt_dscnt 0x0
	v_mul_f32_e32 v100, v100, v101
	s_cbranch_execz .LBB111_360
	s_branch .LBB111_361
.LBB111_359:
                                        ; implicit-def: $vgpr100
.LBB111_360:
	ds_load_b32 v100, v1
.LBB111_361:
	s_and_saveexec_b32 s17, s1
	s_cbranch_execz .LBB111_365
; %bb.362:
	v_add_nc_u32_e32 v101, -11, v0
	s_movk_i32 s18, 0xec
	s_mov_b32 s1, 0
.LBB111_363:                            ; =>This Inner Loop Header: Depth=1
	scratch_load_b32 v102, off, s15
	v_dual_mov_b32 v103, s18 :: v_dual_add_nc_u32 v101, -1, v101
	s_add_co_i32 s18, s18, 4
	s_wait_xcnt 0x0
	s_add_co_i32 s15, s15, 4
	ds_load_b32 v103, v103
	v_cmp_eq_u32_e32 vcc_lo, 0, v101
	s_or_b32 s1, vcc_lo, s1
	s_wait_loadcnt_dscnt 0x0
	v_fmac_f32_e32 v100, v102, v103
	s_and_not1_b32 exec_lo, exec_lo, s1
	s_cbranch_execnz .LBB111_363
; %bb.364:
	s_or_b32 exec_lo, exec_lo, s1
.LBB111_365:
	s_delay_alu instid0(SALU_CYCLE_1)
	s_or_b32 exec_lo, exec_lo, s17
	v_mov_b32_e32 v101, 0
	ds_load_b32 v101, v101 offset:40
	s_wait_dscnt 0x0
	v_mul_f32_e32 v100, v100, v101
	scratch_store_b32 off, v100, off offset:40
.LBB111_366:
	s_wait_xcnt 0x0
	s_or_b32 exec_lo, exec_lo, s16
	scratch_load_b32 v100, off, off offset:36
	v_cmp_lt_u32_e64 s1, 9, v0
	s_wait_loadcnt 0x0
	ds_store_b32 v1, v100
	s_wait_storecnt_dscnt 0x0
	s_barrier_signal -1
	s_barrier_wait -1
	s_wait_xcnt 0x0
	s_and_saveexec_b32 s15, s1
	s_cbranch_execz .LBB111_376
; %bb.367:
	s_and_not1_b32 vcc_lo, exec_lo, s3
	s_cbranch_vccnz .LBB111_369
; %bb.368:
	scratch_load_b32 v100, v7, off
	ds_load_b32 v101, v1
	s_wait_loadcnt_dscnt 0x0
	v_mul_f32_e32 v100, v100, v101
	s_cbranch_execz .LBB111_370
	s_branch .LBB111_371
.LBB111_369:
                                        ; implicit-def: $vgpr100
.LBB111_370:
	ds_load_b32 v100, v1
.LBB111_371:
	s_and_saveexec_b32 s16, s0
	s_cbranch_execz .LBB111_375
; %bb.372:
	v_add_nc_u32_e32 v101, -10, v0
	s_movk_i32 s17, 0xe8
	s_mov_b32 s0, 0
.LBB111_373:                            ; =>This Inner Loop Header: Depth=1
	scratch_load_b32 v102, off, s14
	v_dual_mov_b32 v103, s17 :: v_dual_add_nc_u32 v101, -1, v101
	s_add_co_i32 s17, s17, 4
	s_wait_xcnt 0x0
	s_add_co_i32 s14, s14, 4
	ds_load_b32 v103, v103
	v_cmp_eq_u32_e32 vcc_lo, 0, v101
	s_or_b32 s0, vcc_lo, s0
	s_wait_loadcnt_dscnt 0x0
	v_fmac_f32_e32 v100, v102, v103
	s_and_not1_b32 exec_lo, exec_lo, s0
	s_cbranch_execnz .LBB111_373
; %bb.374:
	s_or_b32 exec_lo, exec_lo, s0
.LBB111_375:
	s_delay_alu instid0(SALU_CYCLE_1)
	s_or_b32 exec_lo, exec_lo, s16
	v_mov_b32_e32 v101, 0
	ds_load_b32 v101, v101 offset:36
	s_wait_dscnt 0x0
	v_mul_f32_e32 v100, v100, v101
	scratch_store_b32 off, v100, off offset:36
.LBB111_376:
	s_wait_xcnt 0x0
	s_or_b32 exec_lo, exec_lo, s15
	scratch_load_b32 v100, off, off offset:32
	v_cmp_lt_u32_e64 s0, 8, v0
	s_wait_loadcnt 0x0
	ds_store_b32 v1, v100
	s_wait_storecnt_dscnt 0x0
	s_barrier_signal -1
	s_barrier_wait -1
	s_wait_xcnt 0x0
	s_and_saveexec_b32 s14, s0
	s_cbranch_execz .LBB111_386
; %bb.377:
	s_and_not1_b32 vcc_lo, exec_lo, s3
	s_cbranch_vccnz .LBB111_379
; %bb.378:
	scratch_load_b32 v100, v7, off
	ds_load_b32 v101, v1
	s_wait_loadcnt_dscnt 0x0
	v_mul_f32_e32 v100, v100, v101
	s_cbranch_execz .LBB111_380
	s_branch .LBB111_381
.LBB111_379:
                                        ; implicit-def: $vgpr100
.LBB111_380:
	ds_load_b32 v100, v1
.LBB111_381:
	s_and_saveexec_b32 s15, s1
	s_cbranch_execz .LBB111_385
; %bb.382:
	v_add_nc_u32_e32 v101, -9, v0
	s_movk_i32 s16, 0xe4
	s_mov_b32 s1, 0
.LBB111_383:                            ; =>This Inner Loop Header: Depth=1
	scratch_load_b32 v102, off, s13
	v_dual_mov_b32 v103, s16 :: v_dual_add_nc_u32 v101, -1, v101
	s_add_co_i32 s16, s16, 4
	s_wait_xcnt 0x0
	s_add_co_i32 s13, s13, 4
	ds_load_b32 v103, v103
	v_cmp_eq_u32_e32 vcc_lo, 0, v101
	s_or_b32 s1, vcc_lo, s1
	s_wait_loadcnt_dscnt 0x0
	v_fmac_f32_e32 v100, v102, v103
	s_and_not1_b32 exec_lo, exec_lo, s1
	s_cbranch_execnz .LBB111_383
; %bb.384:
	s_or_b32 exec_lo, exec_lo, s1
.LBB111_385:
	s_delay_alu instid0(SALU_CYCLE_1)
	s_or_b32 exec_lo, exec_lo, s15
	v_mov_b32_e32 v101, 0
	ds_load_b32 v101, v101 offset:32
	s_wait_dscnt 0x0
	v_mul_f32_e32 v100, v100, v101
	scratch_store_b32 off, v100, off offset:32
.LBB111_386:
	s_wait_xcnt 0x0
	s_or_b32 exec_lo, exec_lo, s14
	scratch_load_b32 v100, off, off offset:28
	v_cmp_lt_u32_e64 s1, 7, v0
	s_wait_loadcnt 0x0
	ds_store_b32 v1, v100
	s_wait_storecnt_dscnt 0x0
	s_barrier_signal -1
	s_barrier_wait -1
	s_wait_xcnt 0x0
	s_and_saveexec_b32 s13, s1
	s_cbranch_execz .LBB111_396
; %bb.387:
	s_and_not1_b32 vcc_lo, exec_lo, s3
	s_cbranch_vccnz .LBB111_389
; %bb.388:
	scratch_load_b32 v100, v7, off
	ds_load_b32 v101, v1
	s_wait_loadcnt_dscnt 0x0
	v_mul_f32_e32 v100, v100, v101
	s_cbranch_execz .LBB111_390
	s_branch .LBB111_391
.LBB111_389:
                                        ; implicit-def: $vgpr100
.LBB111_390:
	ds_load_b32 v100, v1
.LBB111_391:
	s_and_saveexec_b32 s14, s0
	s_cbranch_execz .LBB111_395
; %bb.392:
	v_add_nc_u32_e32 v101, -8, v0
	s_movk_i32 s15, 0xe0
	s_mov_b32 s0, 0
.LBB111_393:                            ; =>This Inner Loop Header: Depth=1
	scratch_load_b32 v102, off, s12
	v_dual_mov_b32 v103, s15 :: v_dual_add_nc_u32 v101, -1, v101
	s_add_co_i32 s15, s15, 4
	s_wait_xcnt 0x0
	s_add_co_i32 s12, s12, 4
	ds_load_b32 v103, v103
	v_cmp_eq_u32_e32 vcc_lo, 0, v101
	s_or_b32 s0, vcc_lo, s0
	s_wait_loadcnt_dscnt 0x0
	v_fmac_f32_e32 v100, v102, v103
	s_and_not1_b32 exec_lo, exec_lo, s0
	s_cbranch_execnz .LBB111_393
; %bb.394:
	s_or_b32 exec_lo, exec_lo, s0
.LBB111_395:
	s_delay_alu instid0(SALU_CYCLE_1)
	s_or_b32 exec_lo, exec_lo, s14
	v_mov_b32_e32 v101, 0
	ds_load_b32 v101, v101 offset:28
	s_wait_dscnt 0x0
	v_mul_f32_e32 v100, v100, v101
	scratch_store_b32 off, v100, off offset:28
.LBB111_396:
	s_wait_xcnt 0x0
	s_or_b32 exec_lo, exec_lo, s13
	scratch_load_b32 v100, off, off offset:24
	v_cmp_lt_u32_e64 s0, 6, v0
	s_wait_loadcnt 0x0
	ds_store_b32 v1, v100
	s_wait_storecnt_dscnt 0x0
	s_barrier_signal -1
	s_barrier_wait -1
	s_wait_xcnt 0x0
	s_and_saveexec_b32 s12, s0
	s_cbranch_execz .LBB111_406
; %bb.397:
	s_and_not1_b32 vcc_lo, exec_lo, s3
	s_cbranch_vccnz .LBB111_399
; %bb.398:
	scratch_load_b32 v100, v7, off
	ds_load_b32 v101, v1
	s_wait_loadcnt_dscnt 0x0
	v_mul_f32_e32 v100, v100, v101
	s_cbranch_execz .LBB111_400
	s_branch .LBB111_401
.LBB111_399:
                                        ; implicit-def: $vgpr100
.LBB111_400:
	ds_load_b32 v100, v1
.LBB111_401:
	s_and_saveexec_b32 s13, s1
	s_cbranch_execz .LBB111_405
; %bb.402:
	v_add_nc_u32_e32 v101, -7, v0
	s_movk_i32 s14, 0xdc
	s_mov_b32 s1, 0
.LBB111_403:                            ; =>This Inner Loop Header: Depth=1
	scratch_load_b32 v102, off, s11
	v_dual_mov_b32 v103, s14 :: v_dual_add_nc_u32 v101, -1, v101
	s_add_co_i32 s14, s14, 4
	s_wait_xcnt 0x0
	s_add_co_i32 s11, s11, 4
	ds_load_b32 v103, v103
	v_cmp_eq_u32_e32 vcc_lo, 0, v101
	s_or_b32 s1, vcc_lo, s1
	s_wait_loadcnt_dscnt 0x0
	v_fmac_f32_e32 v100, v102, v103
	s_and_not1_b32 exec_lo, exec_lo, s1
	s_cbranch_execnz .LBB111_403
; %bb.404:
	s_or_b32 exec_lo, exec_lo, s1
.LBB111_405:
	s_delay_alu instid0(SALU_CYCLE_1)
	s_or_b32 exec_lo, exec_lo, s13
	v_mov_b32_e32 v101, 0
	ds_load_b32 v101, v101 offset:24
	s_wait_dscnt 0x0
	v_mul_f32_e32 v100, v100, v101
	scratch_store_b32 off, v100, off offset:24
.LBB111_406:
	s_wait_xcnt 0x0
	s_or_b32 exec_lo, exec_lo, s12
	scratch_load_b32 v100, off, off offset:20
	v_cmp_lt_u32_e64 s1, 5, v0
	s_wait_loadcnt 0x0
	ds_store_b32 v1, v100
	s_wait_storecnt_dscnt 0x0
	s_barrier_signal -1
	s_barrier_wait -1
	s_wait_xcnt 0x0
	s_and_saveexec_b32 s11, s1
	s_cbranch_execz .LBB111_416
; %bb.407:
	s_and_not1_b32 vcc_lo, exec_lo, s3
	s_cbranch_vccnz .LBB111_409
; %bb.408:
	scratch_load_b32 v100, v7, off
	ds_load_b32 v101, v1
	s_wait_loadcnt_dscnt 0x0
	v_mul_f32_e32 v100, v100, v101
	s_cbranch_execz .LBB111_410
	s_branch .LBB111_411
.LBB111_409:
                                        ; implicit-def: $vgpr100
.LBB111_410:
	ds_load_b32 v100, v1
.LBB111_411:
	s_and_saveexec_b32 s12, s0
	s_cbranch_execz .LBB111_415
; %bb.412:
	v_add_nc_u32_e32 v101, -6, v0
	s_movk_i32 s13, 0xd8
	s_mov_b32 s0, 0
.LBB111_413:                            ; =>This Inner Loop Header: Depth=1
	scratch_load_b32 v102, off, s10
	v_dual_mov_b32 v103, s13 :: v_dual_add_nc_u32 v101, -1, v101
	s_add_co_i32 s13, s13, 4
	s_wait_xcnt 0x0
	s_add_co_i32 s10, s10, 4
	ds_load_b32 v103, v103
	v_cmp_eq_u32_e32 vcc_lo, 0, v101
	s_or_b32 s0, vcc_lo, s0
	s_wait_loadcnt_dscnt 0x0
	v_fmac_f32_e32 v100, v102, v103
	s_and_not1_b32 exec_lo, exec_lo, s0
	s_cbranch_execnz .LBB111_413
; %bb.414:
	s_or_b32 exec_lo, exec_lo, s0
.LBB111_415:
	s_delay_alu instid0(SALU_CYCLE_1)
	s_or_b32 exec_lo, exec_lo, s12
	v_mov_b32_e32 v101, 0
	ds_load_b32 v101, v101 offset:20
	s_wait_dscnt 0x0
	v_mul_f32_e32 v100, v100, v101
	scratch_store_b32 off, v100, off offset:20
.LBB111_416:
	s_wait_xcnt 0x0
	s_or_b32 exec_lo, exec_lo, s11
	scratch_load_b32 v100, off, off offset:16
	v_cmp_lt_u32_e64 s0, 4, v0
	s_wait_loadcnt 0x0
	ds_store_b32 v1, v100
	s_wait_storecnt_dscnt 0x0
	s_barrier_signal -1
	s_barrier_wait -1
	s_wait_xcnt 0x0
	s_and_saveexec_b32 s10, s0
	s_cbranch_execz .LBB111_426
; %bb.417:
	s_and_not1_b32 vcc_lo, exec_lo, s3
	s_cbranch_vccnz .LBB111_419
; %bb.418:
	scratch_load_b32 v100, v7, off
	ds_load_b32 v101, v1
	s_wait_loadcnt_dscnt 0x0
	v_mul_f32_e32 v100, v100, v101
	s_cbranch_execz .LBB111_420
	s_branch .LBB111_421
.LBB111_419:
                                        ; implicit-def: $vgpr100
.LBB111_420:
	ds_load_b32 v100, v1
.LBB111_421:
	s_and_saveexec_b32 s11, s1
	s_cbranch_execz .LBB111_425
; %bb.422:
	v_add_nc_u32_e32 v101, -5, v0
	s_movk_i32 s12, 0xd4
	s_mov_b32 s1, 0
.LBB111_423:                            ; =>This Inner Loop Header: Depth=1
	scratch_load_b32 v102, off, s9
	v_dual_mov_b32 v103, s12 :: v_dual_add_nc_u32 v101, -1, v101
	s_add_co_i32 s12, s12, 4
	s_wait_xcnt 0x0
	s_add_co_i32 s9, s9, 4
	ds_load_b32 v103, v103
	v_cmp_eq_u32_e32 vcc_lo, 0, v101
	s_or_b32 s1, vcc_lo, s1
	s_wait_loadcnt_dscnt 0x0
	v_fmac_f32_e32 v100, v102, v103
	s_and_not1_b32 exec_lo, exec_lo, s1
	s_cbranch_execnz .LBB111_423
; %bb.424:
	s_or_b32 exec_lo, exec_lo, s1
.LBB111_425:
	s_delay_alu instid0(SALU_CYCLE_1)
	s_or_b32 exec_lo, exec_lo, s11
	v_mov_b32_e32 v101, 0
	ds_load_b32 v101, v101 offset:16
	s_wait_dscnt 0x0
	v_mul_f32_e32 v100, v100, v101
	scratch_store_b32 off, v100, off offset:16
.LBB111_426:
	s_wait_xcnt 0x0
	s_or_b32 exec_lo, exec_lo, s10
	scratch_load_b32 v100, off, off offset:12
	v_cmp_lt_u32_e64 s1, 3, v0
	s_wait_loadcnt 0x0
	ds_store_b32 v1, v100
	s_wait_storecnt_dscnt 0x0
	s_barrier_signal -1
	s_barrier_wait -1
	s_wait_xcnt 0x0
	s_and_saveexec_b32 s9, s1
	s_cbranch_execz .LBB111_436
; %bb.427:
	s_and_not1_b32 vcc_lo, exec_lo, s3
	s_cbranch_vccnz .LBB111_429
; %bb.428:
	scratch_load_b32 v100, v7, off
	ds_load_b32 v101, v1
	s_wait_loadcnt_dscnt 0x0
	v_mul_f32_e32 v100, v100, v101
	s_cbranch_execz .LBB111_430
	s_branch .LBB111_431
.LBB111_429:
                                        ; implicit-def: $vgpr100
.LBB111_430:
	ds_load_b32 v100, v1
.LBB111_431:
	s_and_saveexec_b32 s10, s0
	s_cbranch_execz .LBB111_435
; %bb.432:
	v_add_nc_u32_e32 v101, -4, v0
	s_movk_i32 s11, 0xd0
	s_mov_b32 s0, 0
.LBB111_433:                            ; =>This Inner Loop Header: Depth=1
	scratch_load_b32 v102, off, s2
	v_dual_mov_b32 v103, s11 :: v_dual_add_nc_u32 v101, -1, v101
	s_add_co_i32 s11, s11, 4
	s_wait_xcnt 0x0
	s_add_co_i32 s2, s2, 4
	ds_load_b32 v103, v103
	v_cmp_eq_u32_e32 vcc_lo, 0, v101
	s_or_b32 s0, vcc_lo, s0
	s_wait_loadcnt_dscnt 0x0
	v_fmac_f32_e32 v100, v102, v103
	s_and_not1_b32 exec_lo, exec_lo, s0
	s_cbranch_execnz .LBB111_433
; %bb.434:
	s_or_b32 exec_lo, exec_lo, s0
.LBB111_435:
	s_delay_alu instid0(SALU_CYCLE_1)
	s_or_b32 exec_lo, exec_lo, s10
	v_mov_b32_e32 v101, 0
	ds_load_b32 v101, v101 offset:12
	s_wait_dscnt 0x0
	v_mul_f32_e32 v100, v100, v101
	scratch_store_b32 off, v100, off offset:12
.LBB111_436:
	s_wait_xcnt 0x0
	s_or_b32 exec_lo, exec_lo, s9
	scratch_load_b32 v100, off, off offset:8
	v_cmp_lt_u32_e64 s2, 2, v0
	s_wait_loadcnt 0x0
	ds_store_b32 v1, v100
	s_wait_storecnt_dscnt 0x0
	s_barrier_signal -1
	s_barrier_wait -1
	s_wait_xcnt 0x0
	s_and_saveexec_b32 s0, s2
	s_cbranch_execz .LBB111_446
; %bb.437:
	s_and_not1_b32 vcc_lo, exec_lo, s3
	s_cbranch_vccnz .LBB111_439
; %bb.438:
	scratch_load_b32 v100, v7, off
	ds_load_b32 v101, v1
	s_wait_loadcnt_dscnt 0x0
	v_mul_f32_e32 v100, v100, v101
	s_cbranch_execz .LBB111_440
	s_branch .LBB111_441
.LBB111_439:
                                        ; implicit-def: $vgpr100
.LBB111_440:
	ds_load_b32 v100, v1
.LBB111_441:
	s_and_saveexec_b32 s9, s1
	s_cbranch_execz .LBB111_445
; %bb.442:
	v_add_nc_u32_e32 v101, -3, v0
	s_movk_i32 s10, 0xcc
	s_mov_b32 s1, 0
.LBB111_443:                            ; =>This Inner Loop Header: Depth=1
	scratch_load_b32 v102, off, s8
	v_dual_mov_b32 v103, s10 :: v_dual_add_nc_u32 v101, -1, v101
	s_add_co_i32 s10, s10, 4
	s_wait_xcnt 0x0
	s_add_co_i32 s8, s8, 4
	ds_load_b32 v103, v103
	v_cmp_eq_u32_e32 vcc_lo, 0, v101
	s_or_b32 s1, vcc_lo, s1
	s_wait_loadcnt_dscnt 0x0
	v_fmac_f32_e32 v100, v102, v103
	s_and_not1_b32 exec_lo, exec_lo, s1
	s_cbranch_execnz .LBB111_443
; %bb.444:
	s_or_b32 exec_lo, exec_lo, s1
.LBB111_445:
	s_delay_alu instid0(SALU_CYCLE_1)
	s_or_b32 exec_lo, exec_lo, s9
	v_mov_b32_e32 v101, 0
	ds_load_b32 v101, v101 offset:8
	s_wait_dscnt 0x0
	v_mul_f32_e32 v100, v100, v101
	scratch_store_b32 off, v100, off offset:8
.LBB111_446:
	s_wait_xcnt 0x0
	s_or_b32 exec_lo, exec_lo, s0
	scratch_load_b32 v100, off, off offset:4
	v_cmp_lt_u32_e64 s0, 1, v0
	s_wait_loadcnt 0x0
	ds_store_b32 v1, v100
	s_wait_storecnt_dscnt 0x0
	s_barrier_signal -1
	s_barrier_wait -1
	s_wait_xcnt 0x0
	s_and_saveexec_b32 s1, s0
	s_cbranch_execz .LBB111_456
; %bb.447:
	s_and_not1_b32 vcc_lo, exec_lo, s3
	s_cbranch_vccnz .LBB111_449
; %bb.448:
	scratch_load_b32 v100, v7, off
	ds_load_b32 v101, v1
	s_wait_loadcnt_dscnt 0x0
	v_mul_f32_e32 v100, v100, v101
	s_cbranch_execz .LBB111_450
	s_branch .LBB111_451
.LBB111_449:
                                        ; implicit-def: $vgpr100
.LBB111_450:
	ds_load_b32 v100, v1
.LBB111_451:
	s_and_saveexec_b32 s8, s2
	s_cbranch_execz .LBB111_455
; %bb.452:
	v_add_nc_u32_e32 v101, -2, v0
	s_movk_i32 s9, 0xc8
	s_mov_b32 s2, 0
.LBB111_453:                            ; =>This Inner Loop Header: Depth=1
	scratch_load_b32 v102, off, s5
	v_dual_mov_b32 v103, s9 :: v_dual_add_nc_u32 v101, -1, v101
	s_add_co_i32 s9, s9, 4
	s_wait_xcnt 0x0
	s_add_co_i32 s5, s5, 4
	ds_load_b32 v103, v103
	v_cmp_eq_u32_e32 vcc_lo, 0, v101
	s_or_b32 s2, vcc_lo, s2
	s_wait_loadcnt_dscnt 0x0
	v_fmac_f32_e32 v100, v102, v103
	s_and_not1_b32 exec_lo, exec_lo, s2
	s_cbranch_execnz .LBB111_453
; %bb.454:
	s_or_b32 exec_lo, exec_lo, s2
.LBB111_455:
	s_delay_alu instid0(SALU_CYCLE_1)
	s_or_b32 exec_lo, exec_lo, s8
	v_mov_b32_e32 v101, 0
	ds_load_b32 v101, v101 offset:4
	s_wait_dscnt 0x0
	v_mul_f32_e32 v100, v100, v101
	scratch_store_b32 off, v100, off offset:4
.LBB111_456:
	s_wait_xcnt 0x0
	s_or_b32 exec_lo, exec_lo, s1
	scratch_load_b32 v100, off, off
	s_mov_b32 s2, 0
	s_mov_b32 s1, exec_lo
	s_wait_loadcnt 0x0
	ds_store_b32 v1, v100
	s_wait_storecnt_dscnt 0x0
	s_barrier_signal -1
	s_barrier_wait -1
	s_wait_xcnt 0x0
	v_cmpx_ne_u32_e32 0, v0
	s_cbranch_execz .LBB111_466
; %bb.457:
	s_and_not1_b32 vcc_lo, exec_lo, s3
	s_cbranch_vccnz .LBB111_459
; %bb.458:
	scratch_load_b32 v100, v7, off
	ds_load_b32 v101, v1
	s_wait_loadcnt_dscnt 0x0
	v_mul_f32_e32 v100, v100, v101
	s_cbranch_execz .LBB111_460
	s_branch .LBB111_461
.LBB111_459:
                                        ; implicit-def: $vgpr100
.LBB111_460:
	ds_load_b32 v100, v1
.LBB111_461:
	s_and_saveexec_b32 s5, s0
	s_cbranch_execz .LBB111_465
; %bb.462:
	v_add_nc_u32_e32 v101, -1, v0
	s_movk_i32 s8, 0xc4
	s_mov_b32 s0, 0
.LBB111_463:                            ; =>This Inner Loop Header: Depth=1
	scratch_load_b32 v102, off, s4
	v_dual_mov_b32 v103, s8 :: v_dual_add_nc_u32 v101, -1, v101
	s_add_co_i32 s8, s8, 4
	s_wait_xcnt 0x0
	s_add_co_i32 s4, s4, 4
	ds_load_b32 v103, v103
	v_cmp_eq_u32_e32 vcc_lo, 0, v101
	s_or_b32 s0, vcc_lo, s0
	s_wait_loadcnt_dscnt 0x0
	v_fmac_f32_e32 v100, v102, v103
	s_and_not1_b32 exec_lo, exec_lo, s0
	s_cbranch_execnz .LBB111_463
; %bb.464:
	s_or_b32 exec_lo, exec_lo, s0
.LBB111_465:
	s_delay_alu instid0(SALU_CYCLE_1)
	s_or_b32 exec_lo, exec_lo, s5
	v_mov_b32_e32 v101, 0
	ds_load_b32 v101, v101
	s_wait_dscnt 0x0
	v_mul_f32_e32 v100, v100, v101
	scratch_store_b32 off, v100, off
.LBB111_466:
	s_wait_xcnt 0x0
	s_or_b32 exec_lo, exec_lo, s1
.LBB111_467:
	v_lshl_add_u64 v[144:145], v[8:9], 2, s[6:7]
	v_lshl_add_u64 v[142:143], v[10:11], 2, s[6:7]
	;; [unrolled: 1-line block ×46, first 2 shown]
	s_and_b32 vcc_lo, exec_lo, s2
	s_cbranch_vccz .LBB111_929
; %bb.468:
	scratch_load_b32 v54, off, off offset:4
	v_cmp_eq_u32_e64 s0, 0, v0
	s_wait_loadcnt 0x0
	ds_store_b32 v1, v54
	s_wait_storecnt_dscnt 0x0
	s_barrier_signal -1
	s_barrier_wait -1
	s_wait_xcnt 0x0
	s_and_saveexec_b32 s1, s0
	s_cbranch_execz .LBB111_474
; %bb.469:
	s_and_b32 vcc_lo, exec_lo, s3
	s_cbranch_vccz .LBB111_471
; %bb.470:
	scratch_load_b32 v54, v7, off
	ds_load_b32 v55, v1
	s_wait_loadcnt_dscnt 0x0
	v_mul_f32_e32 v54, v54, v55
	s_cbranch_execz .LBB111_472
	s_branch .LBB111_473
.LBB111_471:
                                        ; implicit-def: $vgpr54
.LBB111_472:
	ds_load_b32 v54, v1
.LBB111_473:
	v_mov_b32_e32 v55, 0
	ds_load_b32 v55, v55 offset:4
	s_wait_dscnt 0x0
	v_mul_f32_e32 v54, v54, v55
	scratch_store_b32 off, v54, off offset:4
.LBB111_474:
	s_wait_xcnt 0x0
	s_or_b32 exec_lo, exec_lo, s1
	scratch_load_b32 v55, off, off offset:8
	v_cndmask_b32_e64 v54, 0, 1, s3
	s_mov_b32 s1, exec_lo
	s_wait_loadcnt 0x0
	ds_store_b32 v1, v55
	s_wait_storecnt_dscnt 0x0
	s_barrier_signal -1
	s_barrier_wait -1
	s_wait_xcnt 0x0
	v_cmpx_gt_u32_e32 2, v0
	s_cbranch_execz .LBB111_480
; %bb.475:
	s_and_not1_b32 vcc_lo, exec_lo, s3
	s_cbranch_vccnz .LBB111_477
; %bb.476:
	scratch_load_b32 v55, v7, off
	ds_load_b32 v56, v1
	s_wait_loadcnt_dscnt 0x0
	v_mul_f32_e32 v55, v55, v56
	s_cbranch_execz .LBB111_478
	s_branch .LBB111_479
.LBB111_477:
                                        ; implicit-def: $vgpr55
.LBB111_478:
	ds_load_b32 v55, v1
.LBB111_479:
	scratch_load_b32 v58, off, off offset:4
	v_mov_b32_e32 v56, 0
	ds_load_2addr_b32 v[56:57], v56 offset0:2 offset1:49
	s_wait_loadcnt_dscnt 0x0
	v_fma_f32 v57, v58, v57, v55
	s_delay_alu instid0(VALU_DEP_1) | instskip(NEXT) | instid1(VALU_DEP_1)
	v_cndmask_b32_e64 v55, v55, v57, s0
	v_mul_f32_e32 v55, v55, v56
	scratch_store_b32 off, v55, off offset:8
.LBB111_480:
	s_wait_xcnt 0x0
	s_or_b32 exec_lo, exec_lo, s1
	scratch_load_b32 v55, off, off offset:12
	s_mov_b32 s1, exec_lo
	s_wait_loadcnt 0x0
	ds_store_b32 v1, v55
	s_wait_storecnt_dscnt 0x0
	s_barrier_signal -1
	s_barrier_wait -1
	s_wait_xcnt 0x0
	v_cmpx_gt_u32_e32 3, v0
	s_cbranch_execz .LBB111_488
; %bb.481:
	v_cmp_ne_u32_e32 vcc_lo, 1, v54
	s_cbranch_vccnz .LBB111_483
; %bb.482:
	scratch_load_b32 v55, v7, off
	ds_load_b32 v56, v1
	s_wait_loadcnt_dscnt 0x0
	v_mul_f32_e32 v55, v55, v56
	s_cbranch_execz .LBB111_484
	s_branch .LBB111_485
.LBB111_483:
                                        ; implicit-def: $vgpr55
.LBB111_484:
	ds_load_b32 v55, v1
.LBB111_485:
	s_mov_b32 s2, exec_lo
	v_cmpx_ne_u32_e32 2, v0
	s_cbranch_execz .LBB111_487
; %bb.486:
	scratch_load_b32 v56, v7, off offset:4
	scratch_load_b32 v57, off, off offset:8
	ds_load_b32 v58, v1 offset:4
	v_mov_b32_e32 v59, 0
	ds_load_b32 v59, v59 offset:200
	s_wait_loadcnt_dscnt 0x101
	v_fmac_f32_e32 v55, v56, v58
	s_wait_loadcnt_dscnt 0x0
	s_delay_alu instid0(VALU_DEP_1) | instskip(NEXT) | instid1(VALU_DEP_1)
	v_fma_f32 v56, v57, v59, v55
	v_cndmask_b32_e64 v55, v55, v56, s0
.LBB111_487:
	s_or_b32 exec_lo, exec_lo, s2
	v_mov_b32_e32 v56, 0
	ds_load_b32 v56, v56 offset:12
	s_wait_dscnt 0x0
	v_mul_f32_e32 v55, v55, v56
	scratch_store_b32 off, v55, off offset:12
.LBB111_488:
	s_wait_xcnt 0x0
	s_or_b32 exec_lo, exec_lo, s1
	scratch_load_b32 v55, off, off offset:16
	s_mov_b32 s0, exec_lo
	s_wait_loadcnt 0x0
	ds_store_b32 v1, v55
	s_wait_storecnt_dscnt 0x0
	s_barrier_signal -1
	s_barrier_wait -1
	s_wait_xcnt 0x0
	v_cmpx_gt_u32_e32 4, v0
	s_cbranch_execz .LBB111_498
; %bb.489:
	v_cmp_ne_u32_e32 vcc_lo, 1, v54
	s_cbranch_vccnz .LBB111_491
; %bb.490:
	scratch_load_b32 v55, v7, off
	ds_load_b32 v56, v1
	s_wait_loadcnt_dscnt 0x0
	v_mul_f32_e32 v55, v55, v56
	s_cbranch_execz .LBB111_492
	s_branch .LBB111_493
.LBB111_491:
                                        ; implicit-def: $vgpr55
.LBB111_492:
	ds_load_b32 v55, v1
.LBB111_493:
	s_mov_b32 s1, exec_lo
	v_cmpx_ne_u32_e32 3, v0
	s_cbranch_execz .LBB111_497
; %bb.494:
	v_add_nc_u32_e32 v56, 0xc4, v6
	v_add3_u32 v57, 0, v6, 4
	v_mov_b32_e32 v58, v0
	s_mov_b32 s2, 0
.LBB111_495:                            ; =>This Inner Loop Header: Depth=1
	scratch_load_b32 v59, v57, off
	ds_load_b32 v60, v56
	v_dual_add_nc_u32 v58, 1, v58 :: v_dual_add_nc_u32 v56, 4, v56
	s_wait_xcnt 0x0
	v_add_nc_u32_e32 v57, 4, v57
	s_delay_alu instid0(VALU_DEP_2)
	v_cmp_lt_u32_e32 vcc_lo, 2, v58
	s_or_b32 s2, vcc_lo, s2
	s_wait_loadcnt_dscnt 0x0
	v_fmac_f32_e32 v55, v59, v60
	s_and_not1_b32 exec_lo, exec_lo, s2
	s_cbranch_execnz .LBB111_495
; %bb.496:
	s_or_b32 exec_lo, exec_lo, s2
.LBB111_497:
	s_delay_alu instid0(SALU_CYCLE_1)
	s_or_b32 exec_lo, exec_lo, s1
	v_mov_b32_e32 v56, 0
	ds_load_b32 v56, v56 offset:16
	s_wait_dscnt 0x0
	v_mul_f32_e32 v55, v55, v56
	scratch_store_b32 off, v55, off offset:16
.LBB111_498:
	s_wait_xcnt 0x0
	s_or_b32 exec_lo, exec_lo, s0
	scratch_load_b32 v55, off, off offset:20
	s_mov_b32 s0, exec_lo
	s_wait_loadcnt 0x0
	ds_store_b32 v1, v55
	s_wait_storecnt_dscnt 0x0
	s_barrier_signal -1
	s_barrier_wait -1
	s_wait_xcnt 0x0
	v_cmpx_gt_u32_e32 5, v0
	s_cbranch_execz .LBB111_508
; %bb.499:
	v_cmp_ne_u32_e32 vcc_lo, 1, v54
	s_cbranch_vccnz .LBB111_501
; %bb.500:
	scratch_load_b32 v55, v7, off
	ds_load_b32 v56, v1
	s_wait_loadcnt_dscnt 0x0
	v_mul_f32_e32 v55, v55, v56
	s_cbranch_execz .LBB111_502
	s_branch .LBB111_503
.LBB111_501:
                                        ; implicit-def: $vgpr55
.LBB111_502:
	ds_load_b32 v55, v1
.LBB111_503:
	s_mov_b32 s1, exec_lo
	v_cmpx_ne_u32_e32 4, v0
	s_cbranch_execz .LBB111_507
; %bb.504:
	v_add_nc_u32_e32 v56, 0xc4, v6
	v_add3_u32 v57, 0, v6, 4
	v_mov_b32_e32 v58, v0
	s_mov_b32 s2, 0
.LBB111_505:                            ; =>This Inner Loop Header: Depth=1
	scratch_load_b32 v59, v57, off
	ds_load_b32 v60, v56
	v_dual_add_nc_u32 v58, 1, v58 :: v_dual_add_nc_u32 v56, 4, v56
	s_wait_xcnt 0x0
	v_add_nc_u32_e32 v57, 4, v57
	s_delay_alu instid0(VALU_DEP_2)
	v_cmp_lt_u32_e32 vcc_lo, 3, v58
	s_or_b32 s2, vcc_lo, s2
	s_wait_loadcnt_dscnt 0x0
	v_fmac_f32_e32 v55, v59, v60
	s_and_not1_b32 exec_lo, exec_lo, s2
	s_cbranch_execnz .LBB111_505
; %bb.506:
	s_or_b32 exec_lo, exec_lo, s2
.LBB111_507:
	s_delay_alu instid0(SALU_CYCLE_1)
	s_or_b32 exec_lo, exec_lo, s1
	v_mov_b32_e32 v56, 0
	ds_load_b32 v56, v56 offset:20
	s_wait_dscnt 0x0
	v_mul_f32_e32 v55, v55, v56
	scratch_store_b32 off, v55, off offset:20
.LBB111_508:
	;; [unrolled: 59-line block ×42, first 2 shown]
	s_wait_xcnt 0x0
	s_or_b32 exec_lo, exec_lo, s0
	scratch_load_b32 v55, off, off offset:184
	v_cmp_gt_u32_e64 s0, 46, v0
	s_wait_loadcnt 0x0
	ds_store_b32 v1, v55
	s_wait_storecnt_dscnt 0x0
	s_barrier_signal -1
	s_barrier_wait -1
	s_wait_xcnt 0x0
	s_and_saveexec_b32 s1, s0
	s_cbranch_execz .LBB111_918
; %bb.909:
	v_cmp_ne_u32_e32 vcc_lo, 1, v54
	s_cbranch_vccnz .LBB111_911
; %bb.910:
	scratch_load_b32 v55, v7, off
	ds_load_b32 v56, v1
	s_wait_loadcnt_dscnt 0x0
	v_mul_f32_e32 v55, v55, v56
	s_cbranch_execz .LBB111_912
	s_branch .LBB111_913
.LBB111_911:
                                        ; implicit-def: $vgpr55
.LBB111_912:
	ds_load_b32 v55, v1
.LBB111_913:
	s_mov_b32 s2, exec_lo
	v_cmpx_ne_u32_e32 45, v0
	s_cbranch_execz .LBB111_917
; %bb.914:
	v_add_nc_u32_e32 v56, 0xc4, v6
	v_add3_u32 v57, 0, v6, 4
	v_mov_b32_e32 v58, v0
	s_mov_b32 s3, 0
.LBB111_915:                            ; =>This Inner Loop Header: Depth=1
	scratch_load_b32 v59, v57, off
	ds_load_b32 v60, v56
	v_dual_add_nc_u32 v58, 1, v58 :: v_dual_add_nc_u32 v56, 4, v56
	s_wait_xcnt 0x0
	v_add_nc_u32_e32 v57, 4, v57
	s_delay_alu instid0(VALU_DEP_2)
	v_cmp_lt_u32_e32 vcc_lo, 44, v58
	s_or_b32 s3, vcc_lo, s3
	s_wait_loadcnt_dscnt 0x0
	v_fmac_f32_e32 v55, v59, v60
	s_and_not1_b32 exec_lo, exec_lo, s3
	s_cbranch_execnz .LBB111_915
; %bb.916:
	s_or_b32 exec_lo, exec_lo, s3
.LBB111_917:
	s_delay_alu instid0(SALU_CYCLE_1)
	s_or_b32 exec_lo, exec_lo, s2
	v_mov_b32_e32 v56, 0
	ds_load_b32 v56, v56 offset:184
	s_wait_dscnt 0x0
	v_mul_f32_e32 v55, v55, v56
	scratch_store_b32 off, v55, off offset:184
.LBB111_918:
	s_wait_xcnt 0x0
	s_or_b32 exec_lo, exec_lo, s1
	scratch_load_b32 v55, off, off offset:188
	s_mov_b32 s1, exec_lo
	s_wait_loadcnt 0x0
	ds_store_b32 v1, v55
	s_wait_storecnt_dscnt 0x0
	s_barrier_signal -1
	s_barrier_wait -1
	s_wait_xcnt 0x0
	v_cmpx_ne_u32_e32 47, v0
	s_cbranch_execz .LBB111_928
; %bb.919:
	v_cmp_ne_u32_e32 vcc_lo, 1, v54
	s_cbranch_vccnz .LBB111_921
; %bb.920:
	scratch_load_b32 v7, v7, off
	ds_load_b32 v54, v1
	s_wait_loadcnt_dscnt 0x0
	v_mul_f32_e32 v7, v7, v54
	s_cbranch_execz .LBB111_922
	s_branch .LBB111_923
.LBB111_921:
                                        ; implicit-def: $vgpr7
.LBB111_922:
	ds_load_b32 v7, v1
.LBB111_923:
	s_and_saveexec_b32 s2, s0
	s_cbranch_execz .LBB111_927
; %bb.924:
	v_add_nc_u32_e32 v1, 0xc4, v6
	v_add3_u32 v6, 0, v6, 4
	s_mov_b32 s0, 0
.LBB111_925:                            ; =>This Inner Loop Header: Depth=1
	scratch_load_b32 v54, v6, off
	ds_load_b32 v55, v1
	v_dual_add_nc_u32 v0, 1, v0 :: v_dual_add_nc_u32 v1, 4, v1
	s_wait_xcnt 0x0
	v_add_nc_u32_e32 v6, 4, v6
	s_delay_alu instid0(VALU_DEP_2)
	v_cmp_lt_u32_e32 vcc_lo, 45, v0
	s_or_b32 s0, vcc_lo, s0
	s_wait_loadcnt_dscnt 0x0
	v_fmac_f32_e32 v7, v54, v55
	s_and_not1_b32 exec_lo, exec_lo, s0
	s_cbranch_execnz .LBB111_925
; %bb.926:
	s_or_b32 exec_lo, exec_lo, s0
.LBB111_927:
	s_delay_alu instid0(SALU_CYCLE_1)
	s_or_b32 exec_lo, exec_lo, s2
	v_mov_b32_e32 v0, 0
	ds_load_b32 v0, v0 offset:188
	s_wait_dscnt 0x0
	v_mul_f32_e32 v0, v7, v0
	scratch_store_b32 off, v0, off offset:188
.LBB111_928:
	s_wait_xcnt 0x0
	s_or_b32 exec_lo, exec_lo, s1
.LBB111_929:
	scratch_load_b32 v0, off, off
	s_wait_loadcnt 0x0
	flat_store_b32 v[2:3], v0
	scratch_load_b32 v0, off, off offset:4
	s_wait_loadcnt 0x0
	flat_store_b32 v[4:5], v0
	scratch_load_b32 v0, off, off offset:8
	;; [unrolled: 3-line block ×47, first 2 shown]
	s_wait_loadcnt 0x0
	flat_store_b32 v[8:9], v0
.LBB111_930:
	s_sendmsg sendmsg(MSG_DEALLOC_VGPRS)
	s_endpgm
	.section	.rodata,"a",@progbits
	.p2align	6, 0x0
	.amdhsa_kernel _ZN9rocsolver6v33100L18trti2_kernel_smallILi48EfPKPfEEv13rocblas_fill_17rocblas_diagonal_T1_iil
		.amdhsa_group_segment_fixed_size 384
		.amdhsa_private_segment_fixed_size 208
		.amdhsa_kernarg_size 32
		.amdhsa_user_sgpr_count 2
		.amdhsa_user_sgpr_dispatch_ptr 0
		.amdhsa_user_sgpr_queue_ptr 0
		.amdhsa_user_sgpr_kernarg_segment_ptr 1
		.amdhsa_user_sgpr_dispatch_id 0
		.amdhsa_user_sgpr_kernarg_preload_length 0
		.amdhsa_user_sgpr_kernarg_preload_offset 0
		.amdhsa_user_sgpr_private_segment_size 0
		.amdhsa_wavefront_size32 1
		.amdhsa_uses_dynamic_stack 0
		.amdhsa_enable_private_segment 1
		.amdhsa_system_sgpr_workgroup_id_x 1
		.amdhsa_system_sgpr_workgroup_id_y 0
		.amdhsa_system_sgpr_workgroup_id_z 0
		.amdhsa_system_sgpr_workgroup_info 0
		.amdhsa_system_vgpr_workitem_id 0
		.amdhsa_next_free_vgpr 146
		.amdhsa_next_free_sgpr 54
		.amdhsa_named_barrier_count 0
		.amdhsa_reserve_vcc 1
		.amdhsa_float_round_mode_32 0
		.amdhsa_float_round_mode_16_64 0
		.amdhsa_float_denorm_mode_32 3
		.amdhsa_float_denorm_mode_16_64 3
		.amdhsa_fp16_overflow 0
		.amdhsa_memory_ordered 1
		.amdhsa_forward_progress 1
		.amdhsa_inst_pref_size 217
		.amdhsa_round_robin_scheduling 0
		.amdhsa_exception_fp_ieee_invalid_op 0
		.amdhsa_exception_fp_denorm_src 0
		.amdhsa_exception_fp_ieee_div_zero 0
		.amdhsa_exception_fp_ieee_overflow 0
		.amdhsa_exception_fp_ieee_underflow 0
		.amdhsa_exception_fp_ieee_inexact 0
		.amdhsa_exception_int_div_zero 0
	.end_amdhsa_kernel
	.section	.text._ZN9rocsolver6v33100L18trti2_kernel_smallILi48EfPKPfEEv13rocblas_fill_17rocblas_diagonal_T1_iil,"axG",@progbits,_ZN9rocsolver6v33100L18trti2_kernel_smallILi48EfPKPfEEv13rocblas_fill_17rocblas_diagonal_T1_iil,comdat
.Lfunc_end111:
	.size	_ZN9rocsolver6v33100L18trti2_kernel_smallILi48EfPKPfEEv13rocblas_fill_17rocblas_diagonal_T1_iil, .Lfunc_end111-_ZN9rocsolver6v33100L18trti2_kernel_smallILi48EfPKPfEEv13rocblas_fill_17rocblas_diagonal_T1_iil
                                        ; -- End function
	.set _ZN9rocsolver6v33100L18trti2_kernel_smallILi48EfPKPfEEv13rocblas_fill_17rocblas_diagonal_T1_iil.num_vgpr, 146
	.set _ZN9rocsolver6v33100L18trti2_kernel_smallILi48EfPKPfEEv13rocblas_fill_17rocblas_diagonal_T1_iil.num_agpr, 0
	.set _ZN9rocsolver6v33100L18trti2_kernel_smallILi48EfPKPfEEv13rocblas_fill_17rocblas_diagonal_T1_iil.numbered_sgpr, 54
	.set _ZN9rocsolver6v33100L18trti2_kernel_smallILi48EfPKPfEEv13rocblas_fill_17rocblas_diagonal_T1_iil.num_named_barrier, 0
	.set _ZN9rocsolver6v33100L18trti2_kernel_smallILi48EfPKPfEEv13rocblas_fill_17rocblas_diagonal_T1_iil.private_seg_size, 208
	.set _ZN9rocsolver6v33100L18trti2_kernel_smallILi48EfPKPfEEv13rocblas_fill_17rocblas_diagonal_T1_iil.uses_vcc, 1
	.set _ZN9rocsolver6v33100L18trti2_kernel_smallILi48EfPKPfEEv13rocblas_fill_17rocblas_diagonal_T1_iil.uses_flat_scratch, 0
	.set _ZN9rocsolver6v33100L18trti2_kernel_smallILi48EfPKPfEEv13rocblas_fill_17rocblas_diagonal_T1_iil.has_dyn_sized_stack, 0
	.set _ZN9rocsolver6v33100L18trti2_kernel_smallILi48EfPKPfEEv13rocblas_fill_17rocblas_diagonal_T1_iil.has_recursion, 0
	.set _ZN9rocsolver6v33100L18trti2_kernel_smallILi48EfPKPfEEv13rocblas_fill_17rocblas_diagonal_T1_iil.has_indirect_call, 0
	.section	.AMDGPU.csdata,"",@progbits
; Kernel info:
; codeLenInByte = 27680
; TotalNumSgprs: 56
; NumVgprs: 146
; ScratchSize: 208
; MemoryBound: 0
; FloatMode: 240
; IeeeMode: 1
; LDSByteSize: 384 bytes/workgroup (compile time only)
; SGPRBlocks: 0
; VGPRBlocks: 9
; NumSGPRsForWavesPerEU: 56
; NumVGPRsForWavesPerEU: 146
; NamedBarCnt: 0
; Occupancy: 6
; WaveLimiterHint : 1
; COMPUTE_PGM_RSRC2:SCRATCH_EN: 1
; COMPUTE_PGM_RSRC2:USER_SGPR: 2
; COMPUTE_PGM_RSRC2:TRAP_HANDLER: 0
; COMPUTE_PGM_RSRC2:TGID_X_EN: 1
; COMPUTE_PGM_RSRC2:TGID_Y_EN: 0
; COMPUTE_PGM_RSRC2:TGID_Z_EN: 0
; COMPUTE_PGM_RSRC2:TIDIG_COMP_CNT: 0
	.section	.text._ZN9rocsolver6v33100L18trti2_kernel_smallILi49EfPKPfEEv13rocblas_fill_17rocblas_diagonal_T1_iil,"axG",@progbits,_ZN9rocsolver6v33100L18trti2_kernel_smallILi49EfPKPfEEv13rocblas_fill_17rocblas_diagonal_T1_iil,comdat
	.globl	_ZN9rocsolver6v33100L18trti2_kernel_smallILi49EfPKPfEEv13rocblas_fill_17rocblas_diagonal_T1_iil ; -- Begin function _ZN9rocsolver6v33100L18trti2_kernel_smallILi49EfPKPfEEv13rocblas_fill_17rocblas_diagonal_T1_iil
	.p2align	8
	.type	_ZN9rocsolver6v33100L18trti2_kernel_smallILi49EfPKPfEEv13rocblas_fill_17rocblas_diagonal_T1_iil,@function
_ZN9rocsolver6v33100L18trti2_kernel_smallILi49EfPKPfEEv13rocblas_fill_17rocblas_diagonal_T1_iil: ; @_ZN9rocsolver6v33100L18trti2_kernel_smallILi49EfPKPfEEv13rocblas_fill_17rocblas_diagonal_T1_iil
; %bb.0:
	s_mov_b32 s2, exec_lo
	v_cmpx_gt_u32_e32 49, v0
	s_cbranch_execz .LBB112_950
; %bb.1:
	s_clause 0x1
	s_load_b64 s[8:9], s[0:1], 0x10
	s_load_b128 s[4:7], s[0:1], 0x0
	s_wait_xcnt 0x0
	s_bfe_u32 s0, ttmp6, 0x4000c
	s_and_b32 s1, ttmp6, 15
	s_add_co_i32 s0, s0, 1
	s_getreg_b32 s2, hwreg(HW_REG_IB_STS2, 6, 4)
	s_mul_i32 s0, ttmp9, s0
	v_dual_mov_b32 v7, 0 :: v_dual_lshlrev_b32 v6, 2, v0
	s_add_co_i32 s0, s1, s0
	v_mov_b32_e32 v102, -1.0
	s_wait_kmcnt 0x0
	s_ashr_i32 s1, s8, 31
	s_cmp_eq_u32 s2, 0
	v_add3_u32 v8, s9, s9, v0
	s_cselect_b32 s2, ttmp9, s0
	s_mov_b32 s0, s8
	s_ashr_i32 s3, s2, 31
	s_lshl_b64 s[0:1], s[0:1], 2
	s_lshl_b64 s[2:3], s[2:3], 3
	v_add_nc_u32_e32 v10, s9, v8
	s_add_nc_u64 s[2:3], s[6:7], s[2:3]
	v_ashrrev_i32_e32 v9, 31, v8
	s_load_b64 s[2:3], s[2:3], 0x0
	s_delay_alu instid0(VALU_DEP_2) | instskip(NEXT) | instid1(VALU_DEP_1)
	v_add_nc_u32_e32 v12, s9, v10
	v_add_nc_u32_e32 v14, s9, v12
	s_delay_alu instid0(VALU_DEP_1) | instskip(NEXT) | instid1(VALU_DEP_1)
	v_add_nc_u32_e32 v16, s9, v14
	v_dual_ashrrev_i32 v11, 31, v10 :: v_dual_add_nc_u32 v18, s9, v16
	v_ashrrev_i32_e32 v17, 31, v16
	s_wait_kmcnt 0x0
	s_add_nc_u64 s[2:3], s[2:3], s[0:1]
	s_mov_b32 s0, s9
	flat_load_b32 v1, v0, s[2:3] scale_offset
	v_add_nc_u64_e32 v[2:3], s[2:3], v[6:7]
	s_ashr_i32 s1, s9, 31
	v_dual_add_nc_u32 v20, s9, v18 :: v_dual_ashrrev_i32 v13, 31, v12
	v_ashrrev_i32_e32 v15, 31, v14
	v_ashrrev_i32_e32 v19, 31, v18
	s_cmp_lg_u32 s5, 0x84
	s_delay_alu instid0(VALU_DEP_4) | instskip(SKIP_4) | instid1(VALU_DEP_1)
	v_lshl_add_u64 v[4:5], s[0:1], 2, v[2:3]
	v_add_nc_u32_e32 v22, s9, v20
	s_cselect_b32 s6, -1, 0
	s_cmp_eq_u32 s5, 0x84
	s_movk_i32 s1, 0x84
	v_add_nc_u32_e32 v24, s9, v22
	s_delay_alu instid0(VALU_DEP_1) | instskip(NEXT) | instid1(VALU_DEP_1)
	v_add_nc_u32_e32 v26, s9, v24
	v_dual_add_nc_u32 v28, s9, v26 :: v_dual_ashrrev_i32 v21, 31, v20
	s_delay_alu instid0(VALU_DEP_1) | instskip(NEXT) | instid1(VALU_DEP_1)
	v_dual_ashrrev_i32 v23, 31, v22 :: v_dual_add_nc_u32 v30, s9, v28
	v_dual_ashrrev_i32 v29, 31, v28 :: v_dual_ashrrev_i32 v31, 31, v30
	v_dual_add_nc_u32 v32, s9, v30 :: v_dual_ashrrev_i32 v25, 31, v24
	s_delay_alu instid0(VALU_DEP_1) | instskip(NEXT) | instid1(VALU_DEP_1)
	v_dual_ashrrev_i32 v27, 31, v26 :: v_dual_add_nc_u32 v34, s9, v32
	v_add_nc_u32_e32 v36, s9, v34
	s_delay_alu instid0(VALU_DEP_1) | instskip(NEXT) | instid1(VALU_DEP_1)
	v_add_nc_u32_e32 v38, s9, v36
	v_dual_add_nc_u32 v40, s9, v38 :: v_dual_ashrrev_i32 v33, 31, v32
	s_delay_alu instid0(VALU_DEP_1) | instskip(NEXT) | instid1(VALU_DEP_1)
	v_dual_ashrrev_i32 v35, 31, v34 :: v_dual_add_nc_u32 v42, s9, v40
	v_dual_ashrrev_i32 v41, 31, v40 :: v_dual_ashrrev_i32 v43, 31, v42
	v_dual_add_nc_u32 v44, s9, v42 :: v_dual_ashrrev_i32 v37, 31, v36
	s_delay_alu instid0(VALU_DEP_1) | instskip(NEXT) | instid1(VALU_DEP_1)
	v_dual_ashrrev_i32 v39, 31, v38 :: v_dual_add_nc_u32 v46, s9, v44
	;; [unrolled: 10-line block ×6, first 2 shown]
	v_add_nc_u32_e32 v96, s9, v94
	s_delay_alu instid0(VALU_DEP_1) | instskip(NEXT) | instid1(VALU_DEP_1)
	v_dual_add_nc_u32 v98, s9, v96 :: v_dual_ashrrev_i32 v97, 31, v96
	v_dual_ashrrev_i32 v99, 31, v98 :: v_dual_add_nc_u32 v100, s9, v98
	v_dual_ashrrev_i32 v93, 31, v92 :: v_dual_ashrrev_i32 v95, 31, v94
	s_delay_alu instid0(VALU_DEP_2)
	v_ashrrev_i32_e32 v101, 31, v100
	s_wait_loadcnt_dscnt 0x0
	scratch_store_b32 off, v1, off
	flat_load_b32 v1, v[4:5]
	s_wait_loadcnt_dscnt 0x0
	scratch_store_b32 off, v1, off offset:4
	flat_load_b32 v1, v8, s[2:3] scale_offset
	s_wait_loadcnt_dscnt 0x0
	scratch_store_b32 off, v1, off offset:8
	flat_load_b32 v1, v10, s[2:3] scale_offset
	;; [unrolled: 3-line block ×47, first 2 shown]
	s_wait_loadcnt_dscnt 0x0
	scratch_store_b32 off, v1, off offset:192
	s_cbranch_scc1 .LBB112_3
; %bb.2:
	scratch_load_b32 v1, v0, off scale_offset
	s_wait_loadcnt 0x0
	v_div_scale_f32 v7, null, v1, v1, 1.0
	s_delay_alu instid0(VALU_DEP_1) | instskip(SKIP_1) | instid1(TRANS32_DEP_1)
	v_rcp_f32_e32 v102, v7
	v_nop
	v_fma_f32 v103, -v7, v102, 1.0
	s_delay_alu instid0(VALU_DEP_1) | instskip(SKIP_1) | instid1(VALU_DEP_1)
	v_fmac_f32_e32 v102, v103, v102
	v_div_scale_f32 v103, vcc_lo, 1.0, v1, 1.0
	v_mul_f32_e32 v104, v103, v102
	s_delay_alu instid0(VALU_DEP_1) | instskip(NEXT) | instid1(VALU_DEP_1)
	v_fma_f32 v105, -v7, v104, v103
	v_fmac_f32_e32 v104, v105, v102
	s_delay_alu instid0(VALU_DEP_1) | instskip(NEXT) | instid1(VALU_DEP_1)
	v_fma_f32 v7, -v7, v104, v103
	v_div_fmas_f32 v7, v7, v102, v104
	s_delay_alu instid0(VALU_DEP_1) | instskip(NEXT) | instid1(VALU_DEP_1)
	v_div_fixup_f32 v1, v7, v1, 1.0
	v_xor_b32_e32 v102, 0x80000000, v1
	scratch_store_b32 v0, v1, off scale_offset
.LBB112_3:
	s_wait_xcnt 0x0
	v_add_nc_u32_e32 v1, 0xd0, v6
	v_mov_b32_e32 v7, v6
	s_cmp_eq_u32 s4, 0x79
	s_mov_b32 s5, -1
	ds_store_b32 v6, v102
	s_cbranch_scc1 .LBB112_477
; %bb.4:
	scratch_load_b32 v102, off, off offset:188
	v_cmp_eq_u32_e64 s0, 48, v0
	s_movk_i32 s21, 0x44
	s_movk_i32 s22, 0x48
	;; [unrolled: 1-line block ×29, first 2 shown]
	s_wait_loadcnt 0x0
	ds_store_b32 v1, v102
	s_wait_storecnt_dscnt 0x0
	s_barrier_signal -1
	s_barrier_wait -1
	s_wait_xcnt 0x0
	s_and_saveexec_b32 s4, s0
	s_cbranch_execz .LBB112_10
; %bb.5:
	s_and_b32 vcc_lo, exec_lo, s6
	s_cbranch_vccz .LBB112_7
; %bb.6:
	scratch_load_b32 v102, v7, off
	ds_load_b32 v103, v1
	s_wait_loadcnt_dscnt 0x0
	v_mul_f32_e32 v102, v102, v103
	s_cbranch_execz .LBB112_8
	s_branch .LBB112_9
.LBB112_7:
                                        ; implicit-def: $vgpr102
	s_and_not1_b32 vcc_lo, exec_lo, s5
	s_cbranch_vccnz .LBB112_9
.LBB112_8:
	ds_load_b32 v102, v1
.LBB112_9:
	v_mov_b32_e32 v103, 0
	ds_load_b32 v103, v103 offset:188
	s_wait_dscnt 0x0
	v_mul_f32_e32 v102, v102, v103
	scratch_store_b32 off, v102, off offset:188
.LBB112_10:
	s_wait_xcnt 0x0
	s_or_b32 exec_lo, exec_lo, s4
	scratch_load_b32 v102, off, off offset:184
	s_mov_b32 s38, s1
	v_cmp_lt_u32_e64 s1, 46, v0
	s_or_b32 s4, 0, 4
	s_or_b32 s5, 0, 8
	;; [unrolled: 1-line block ×3, first 2 shown]
	s_mov_b32 s8, 16
	s_mov_b32 s9, 20
	;; [unrolled: 1-line block ×13, first 2 shown]
	s_wait_loadcnt 0x0
	ds_store_b32 v1, v102
	s_wait_storecnt_dscnt 0x0
	s_barrier_signal -1
	s_barrier_wait -1
	s_wait_xcnt 0x0
	s_and_saveexec_b32 s52, s1
	s_cbranch_execz .LBB112_16
; %bb.11:
	s_and_not1_b32 vcc_lo, exec_lo, s6
	s_cbranch_vccnz .LBB112_13
; %bb.12:
	scratch_load_b32 v102, v7, off
	ds_load_b32 v103, v1
	s_wait_loadcnt_dscnt 0x0
	v_mul_f32_e32 v102, v102, v103
	s_cbranch_execz .LBB112_14
	s_branch .LBB112_15
.LBB112_13:
                                        ; implicit-def: $vgpr102
.LBB112_14:
	ds_load_b32 v102, v1
.LBB112_15:
	scratch_load_b32 v103, off, off offset:188
	v_mov_b32_e32 v104, 0
	ds_load_2addr_b32 v[104:105], v104 offset0:46 offset1:99
	s_wait_loadcnt_dscnt 0x0
	v_fma_f32 v103, v103, v105, v102
	s_delay_alu instid0(VALU_DEP_1) | instskip(NEXT) | instid1(VALU_DEP_1)
	v_cndmask_b32_e64 v102, v102, v103, s0
	v_mul_f32_e32 v102, v102, v104
	scratch_store_b32 off, v102, off offset:184
.LBB112_16:
	s_wait_xcnt 0x0
	s_or_b32 exec_lo, exec_lo, s52
	scratch_load_b32 v102, off, off offset:180
	v_cmp_lt_u32_e64 s0, 45, v0
	s_wait_loadcnt 0x0
	ds_store_b32 v1, v102
	s_wait_storecnt_dscnt 0x0
	s_barrier_signal -1
	s_barrier_wait -1
	s_wait_xcnt 0x0
	s_and_saveexec_b32 s52, s0
	s_cbranch_execz .LBB112_26
; %bb.17:
	s_and_not1_b32 vcc_lo, exec_lo, s6
	s_cbranch_vccnz .LBB112_19
; %bb.18:
	scratch_load_b32 v102, v7, off
	ds_load_b32 v103, v1
	s_wait_loadcnt_dscnt 0x0
	v_mul_f32_e32 v102, v102, v103
	s_cbranch_execz .LBB112_20
	s_branch .LBB112_21
.LBB112_19:
                                        ; implicit-def: $vgpr102
.LBB112_20:
	ds_load_b32 v102, v1
.LBB112_21:
	s_and_saveexec_b32 s53, s1
	s_cbranch_execz .LBB112_25
; %bb.22:
	v_subrev_nc_u32_e32 v103, 46, v0
	s_movk_i32 s54, 0x188
	s_mov_b32 s1, 0
.LBB112_23:                             ; =>This Inner Loop Header: Depth=1
	scratch_load_b32 v104, off, s51
	v_dual_mov_b32 v105, s54 :: v_dual_add_nc_u32 v103, -1, v103
	s_add_co_i32 s54, s54, 4
	s_wait_xcnt 0x0
	s_add_co_i32 s51, s51, 4
	ds_load_b32 v105, v105
	v_cmp_eq_u32_e32 vcc_lo, 0, v103
	s_or_b32 s1, vcc_lo, s1
	s_wait_loadcnt_dscnt 0x0
	v_fmac_f32_e32 v102, v104, v105
	s_and_not1_b32 exec_lo, exec_lo, s1
	s_cbranch_execnz .LBB112_23
; %bb.24:
	s_or_b32 exec_lo, exec_lo, s1
.LBB112_25:
	s_delay_alu instid0(SALU_CYCLE_1)
	s_or_b32 exec_lo, exec_lo, s53
	v_mov_b32_e32 v103, 0
	ds_load_b32 v103, v103 offset:180
	s_wait_dscnt 0x0
	v_mul_f32_e32 v102, v102, v103
	scratch_store_b32 off, v102, off offset:180
.LBB112_26:
	s_wait_xcnt 0x0
	s_or_b32 exec_lo, exec_lo, s52
	scratch_load_b32 v102, off, off offset:176
	v_cmp_lt_u32_e64 s1, 44, v0
	s_wait_loadcnt 0x0
	ds_store_b32 v1, v102
	s_wait_storecnt_dscnt 0x0
	s_barrier_signal -1
	s_barrier_wait -1
	s_wait_xcnt 0x0
	s_and_saveexec_b32 s51, s1
	s_cbranch_execz .LBB112_36
; %bb.27:
	s_and_not1_b32 vcc_lo, exec_lo, s6
	s_cbranch_vccnz .LBB112_29
; %bb.28:
	scratch_load_b32 v102, v7, off
	ds_load_b32 v103, v1
	s_wait_loadcnt_dscnt 0x0
	v_mul_f32_e32 v102, v102, v103
	s_cbranch_execz .LBB112_30
	s_branch .LBB112_31
.LBB112_29:
                                        ; implicit-def: $vgpr102
.LBB112_30:
	ds_load_b32 v102, v1
.LBB112_31:
	s_and_saveexec_b32 s52, s0
	s_cbranch_execz .LBB112_35
; %bb.32:
	v_subrev_nc_u32_e32 v103, 45, v0
	s_movk_i32 s53, 0x184
	s_mov_b32 s0, 0
.LBB112_33:                             ; =>This Inner Loop Header: Depth=1
	scratch_load_b32 v104, off, s50
	v_dual_mov_b32 v105, s53 :: v_dual_add_nc_u32 v103, -1, v103
	s_add_co_i32 s53, s53, 4
	s_wait_xcnt 0x0
	s_add_co_i32 s50, s50, 4
	ds_load_b32 v105, v105
	v_cmp_eq_u32_e32 vcc_lo, 0, v103
	s_or_b32 s0, vcc_lo, s0
	s_wait_loadcnt_dscnt 0x0
	v_fmac_f32_e32 v102, v104, v105
	s_and_not1_b32 exec_lo, exec_lo, s0
	s_cbranch_execnz .LBB112_33
; %bb.34:
	s_or_b32 exec_lo, exec_lo, s0
.LBB112_35:
	s_delay_alu instid0(SALU_CYCLE_1)
	s_or_b32 exec_lo, exec_lo, s52
	v_mov_b32_e32 v103, 0
	ds_load_b32 v103, v103 offset:176
	s_wait_dscnt 0x0
	v_mul_f32_e32 v102, v102, v103
	scratch_store_b32 off, v102, off offset:176
.LBB112_36:
	;; [unrolled: 57-line block ×8, first 2 shown]
	s_wait_xcnt 0x0
	s_or_b32 exec_lo, exec_lo, s45
	scratch_load_b32 v102, off, off offset:148
	v_cmp_lt_u32_e64 s0, 37, v0
	s_wait_loadcnt 0x0
	ds_store_b32 v1, v102
	s_wait_storecnt_dscnt 0x0
	s_barrier_signal -1
	s_barrier_wait -1
	s_wait_xcnt 0x0
	s_and_saveexec_b32 s44, s0
	s_cbranch_execz .LBB112_106
; %bb.97:
	s_and_not1_b32 vcc_lo, exec_lo, s6
	s_cbranch_vccnz .LBB112_99
; %bb.98:
	scratch_load_b32 v102, v7, off
	ds_load_b32 v103, v1
	s_wait_loadcnt_dscnt 0x0
	v_mul_f32_e32 v102, v102, v103
	s_cbranch_execz .LBB112_100
	s_branch .LBB112_101
.LBB112_99:
                                        ; implicit-def: $vgpr102
.LBB112_100:
	ds_load_b32 v102, v1
.LBB112_101:
	s_and_saveexec_b32 s45, s1
	s_cbranch_execz .LBB112_105
; %bb.102:
	v_subrev_nc_u32_e32 v103, 38, v0
	s_movk_i32 s46, 0x168
	s_mov_b32 s1, 0
.LBB112_103:                            ; =>This Inner Loop Header: Depth=1
	scratch_load_b32 v104, off, s43
	v_dual_mov_b32 v105, s46 :: v_dual_add_nc_u32 v103, -1, v103
	s_add_co_i32 s46, s46, 4
	s_wait_xcnt 0x0
	s_add_co_i32 s43, s43, 4
	ds_load_b32 v105, v105
	v_cmp_eq_u32_e32 vcc_lo, 0, v103
	s_or_b32 s1, vcc_lo, s1
	s_wait_loadcnt_dscnt 0x0
	v_fmac_f32_e32 v102, v104, v105
	s_and_not1_b32 exec_lo, exec_lo, s1
	s_cbranch_execnz .LBB112_103
; %bb.104:
	s_or_b32 exec_lo, exec_lo, s1
.LBB112_105:
	s_delay_alu instid0(SALU_CYCLE_1)
	s_or_b32 exec_lo, exec_lo, s45
	v_mov_b32_e32 v103, 0
	ds_load_b32 v103, v103 offset:148
	s_wait_dscnt 0x0
	v_mul_f32_e32 v102, v102, v103
	scratch_store_b32 off, v102, off offset:148
.LBB112_106:
	s_wait_xcnt 0x0
	s_or_b32 exec_lo, exec_lo, s44
	scratch_load_b32 v102, off, off offset:144
	v_cmp_lt_u32_e64 s1, 36, v0
	s_wait_loadcnt 0x0
	ds_store_b32 v1, v102
	s_wait_storecnt_dscnt 0x0
	s_barrier_signal -1
	s_barrier_wait -1
	s_wait_xcnt 0x0
	s_and_saveexec_b32 s43, s1
	s_cbranch_execz .LBB112_116
; %bb.107:
	s_and_not1_b32 vcc_lo, exec_lo, s6
	s_cbranch_vccnz .LBB112_109
; %bb.108:
	scratch_load_b32 v102, v7, off
	ds_load_b32 v103, v1
	s_wait_loadcnt_dscnt 0x0
	v_mul_f32_e32 v102, v102, v103
	s_cbranch_execz .LBB112_110
	s_branch .LBB112_111
.LBB112_109:
                                        ; implicit-def: $vgpr102
.LBB112_110:
	ds_load_b32 v102, v1
.LBB112_111:
	s_and_saveexec_b32 s44, s0
	s_cbranch_execz .LBB112_115
; %bb.112:
	v_subrev_nc_u32_e32 v103, 37, v0
	s_movk_i32 s45, 0x164
	s_mov_b32 s0, 0
.LBB112_113:                            ; =>This Inner Loop Header: Depth=1
	scratch_load_b32 v104, off, s42
	v_dual_mov_b32 v105, s45 :: v_dual_add_nc_u32 v103, -1, v103
	s_add_co_i32 s45, s45, 4
	s_wait_xcnt 0x0
	s_add_co_i32 s42, s42, 4
	ds_load_b32 v105, v105
	v_cmp_eq_u32_e32 vcc_lo, 0, v103
	s_or_b32 s0, vcc_lo, s0
	s_wait_loadcnt_dscnt 0x0
	v_fmac_f32_e32 v102, v104, v105
	s_and_not1_b32 exec_lo, exec_lo, s0
	s_cbranch_execnz .LBB112_113
; %bb.114:
	s_or_b32 exec_lo, exec_lo, s0
.LBB112_115:
	s_delay_alu instid0(SALU_CYCLE_1)
	s_or_b32 exec_lo, exec_lo, s44
	v_mov_b32_e32 v103, 0
	ds_load_b32 v103, v103 offset:144
	s_wait_dscnt 0x0
	v_mul_f32_e32 v102, v102, v103
	scratch_store_b32 off, v102, off offset:144
.LBB112_116:
	;; [unrolled: 57-line block ×22, first 2 shown]
	s_wait_xcnt 0x0
	s_or_b32 exec_lo, exec_lo, s22
	scratch_load_b32 v102, off, off offset:60
	v_cmp_lt_u32_e64 s0, 15, v0
	s_wait_loadcnt 0x0
	ds_store_b32 v1, v102
	s_wait_storecnt_dscnt 0x0
	s_barrier_signal -1
	s_barrier_wait -1
	s_wait_xcnt 0x0
	s_and_saveexec_b32 s21, s0
	s_cbranch_execz .LBB112_326
; %bb.317:
	s_and_not1_b32 vcc_lo, exec_lo, s6
	s_cbranch_vccnz .LBB112_319
; %bb.318:
	scratch_load_b32 v102, v7, off
	ds_load_b32 v103, v1
	s_wait_loadcnt_dscnt 0x0
	v_mul_f32_e32 v102, v102, v103
	s_cbranch_execz .LBB112_320
	s_branch .LBB112_321
.LBB112_319:
                                        ; implicit-def: $vgpr102
.LBB112_320:
	ds_load_b32 v102, v1
.LBB112_321:
	s_and_saveexec_b32 s22, s1
	s_cbranch_execz .LBB112_325
; %bb.322:
	v_add_nc_u32_e32 v103, -16, v0
	s_movk_i32 s23, 0x110
	s_mov_b32 s1, 0
.LBB112_323:                            ; =>This Inner Loop Header: Depth=1
	scratch_load_b32 v104, off, s20
	v_dual_mov_b32 v105, s23 :: v_dual_add_nc_u32 v103, -1, v103
	s_add_co_i32 s23, s23, 4
	s_wait_xcnt 0x0
	s_add_co_i32 s20, s20, 4
	ds_load_b32 v105, v105
	v_cmp_eq_u32_e32 vcc_lo, 0, v103
	s_or_b32 s1, vcc_lo, s1
	s_wait_loadcnt_dscnt 0x0
	v_fmac_f32_e32 v102, v104, v105
	s_and_not1_b32 exec_lo, exec_lo, s1
	s_cbranch_execnz .LBB112_323
; %bb.324:
	s_or_b32 exec_lo, exec_lo, s1
.LBB112_325:
	s_delay_alu instid0(SALU_CYCLE_1)
	s_or_b32 exec_lo, exec_lo, s22
	v_mov_b32_e32 v103, 0
	ds_load_b32 v103, v103 offset:60
	s_wait_dscnt 0x0
	v_mul_f32_e32 v102, v102, v103
	scratch_store_b32 off, v102, off offset:60
.LBB112_326:
	s_wait_xcnt 0x0
	s_or_b32 exec_lo, exec_lo, s21
	scratch_load_b32 v102, off, off offset:56
	v_cmp_lt_u32_e64 s1, 14, v0
	s_wait_loadcnt 0x0
	ds_store_b32 v1, v102
	s_wait_storecnt_dscnt 0x0
	s_barrier_signal -1
	s_barrier_wait -1
	s_wait_xcnt 0x0
	s_and_saveexec_b32 s20, s1
	s_cbranch_execz .LBB112_336
; %bb.327:
	s_and_not1_b32 vcc_lo, exec_lo, s6
	s_cbranch_vccnz .LBB112_329
; %bb.328:
	scratch_load_b32 v102, v7, off
	ds_load_b32 v103, v1
	s_wait_loadcnt_dscnt 0x0
	v_mul_f32_e32 v102, v102, v103
	s_cbranch_execz .LBB112_330
	s_branch .LBB112_331
.LBB112_329:
                                        ; implicit-def: $vgpr102
.LBB112_330:
	ds_load_b32 v102, v1
.LBB112_331:
	s_and_saveexec_b32 s21, s0
	s_cbranch_execz .LBB112_335
; %bb.332:
	v_add_nc_u32_e32 v103, -15, v0
	s_movk_i32 s22, 0x10c
	s_mov_b32 s0, 0
.LBB112_333:                            ; =>This Inner Loop Header: Depth=1
	scratch_load_b32 v104, off, s19
	v_dual_mov_b32 v105, s22 :: v_dual_add_nc_u32 v103, -1, v103
	s_add_co_i32 s22, s22, 4
	s_wait_xcnt 0x0
	s_add_co_i32 s19, s19, 4
	ds_load_b32 v105, v105
	v_cmp_eq_u32_e32 vcc_lo, 0, v103
	s_or_b32 s0, vcc_lo, s0
	s_wait_loadcnt_dscnt 0x0
	v_fmac_f32_e32 v102, v104, v105
	s_and_not1_b32 exec_lo, exec_lo, s0
	s_cbranch_execnz .LBB112_333
; %bb.334:
	s_or_b32 exec_lo, exec_lo, s0
.LBB112_335:
	s_delay_alu instid0(SALU_CYCLE_1)
	s_or_b32 exec_lo, exec_lo, s21
	v_mov_b32_e32 v103, 0
	ds_load_b32 v103, v103 offset:56
	s_wait_dscnt 0x0
	v_mul_f32_e32 v102, v102, v103
	scratch_store_b32 off, v102, off offset:56
.LBB112_336:
	;; [unrolled: 57-line block ×15, first 2 shown]
	s_wait_xcnt 0x0
	s_or_b32 exec_lo, exec_lo, s7
	scratch_load_b32 v102, off, off
	s_mov_b32 s5, 0
	s_mov_b32 s1, exec_lo
	s_wait_loadcnt 0x0
	ds_store_b32 v1, v102
	s_wait_storecnt_dscnt 0x0
	s_barrier_signal -1
	s_barrier_wait -1
	s_wait_xcnt 0x0
	v_cmpx_ne_u32_e32 0, v0
	s_cbranch_execz .LBB112_476
; %bb.467:
	s_and_not1_b32 vcc_lo, exec_lo, s6
	s_cbranch_vccnz .LBB112_469
; %bb.468:
	scratch_load_b32 v102, v7, off
	ds_load_b32 v103, v1
	s_wait_loadcnt_dscnt 0x0
	v_mul_f32_e32 v102, v102, v103
	s_cbranch_execz .LBB112_470
	s_branch .LBB112_471
.LBB112_469:
                                        ; implicit-def: $vgpr102
.LBB112_470:
	ds_load_b32 v102, v1
.LBB112_471:
	s_and_saveexec_b32 s7, s0
	s_cbranch_execz .LBB112_475
; %bb.472:
	v_add_nc_u32_e32 v103, -1, v0
	s_movk_i32 s8, 0xd4
	s_mov_b32 s0, 0
.LBB112_473:                            ; =>This Inner Loop Header: Depth=1
	scratch_load_b32 v104, off, s4
	v_dual_mov_b32 v105, s8 :: v_dual_add_nc_u32 v103, -1, v103
	s_add_co_i32 s8, s8, 4
	s_wait_xcnt 0x0
	s_add_co_i32 s4, s4, 4
	ds_load_b32 v105, v105
	v_cmp_eq_u32_e32 vcc_lo, 0, v103
	s_or_b32 s0, vcc_lo, s0
	s_wait_loadcnt_dscnt 0x0
	v_fmac_f32_e32 v102, v104, v105
	s_and_not1_b32 exec_lo, exec_lo, s0
	s_cbranch_execnz .LBB112_473
; %bb.474:
	s_or_b32 exec_lo, exec_lo, s0
.LBB112_475:
	s_delay_alu instid0(SALU_CYCLE_1)
	s_or_b32 exec_lo, exec_lo, s7
	v_mov_b32_e32 v103, 0
	ds_load_b32 v103, v103
	s_wait_dscnt 0x0
	v_mul_f32_e32 v102, v102, v103
	scratch_store_b32 off, v102, off
.LBB112_476:
	s_wait_xcnt 0x0
	s_or_b32 exec_lo, exec_lo, s1
.LBB112_477:
	v_lshl_add_u64 v[146:147], v[8:9], 2, s[2:3]
	v_lshl_add_u64 v[144:145], v[10:11], 2, s[2:3]
	v_lshl_add_u64 v[142:143], v[12:13], 2, s[2:3]
	v_lshl_add_u64 v[140:141], v[14:15], 2, s[2:3]
	v_lshl_add_u64 v[138:139], v[16:17], 2, s[2:3]
	v_lshl_add_u64 v[136:137], v[18:19], 2, s[2:3]
	v_lshl_add_u64 v[134:135], v[20:21], 2, s[2:3]
	v_lshl_add_u64 v[132:133], v[22:23], 2, s[2:3]
	v_lshl_add_u64 v[130:131], v[24:25], 2, s[2:3]
	v_lshl_add_u64 v[128:129], v[26:27], 2, s[2:3]
	v_lshl_add_u64 v[126:127], v[28:29], 2, s[2:3]
	v_lshl_add_u64 v[124:125], v[30:31], 2, s[2:3]
	v_lshl_add_u64 v[122:123], v[32:33], 2, s[2:3]
	v_lshl_add_u64 v[120:121], v[34:35], 2, s[2:3]
	v_lshl_add_u64 v[118:119], v[36:37], 2, s[2:3]
	v_lshl_add_u64 v[116:117], v[38:39], 2, s[2:3]
	v_lshl_add_u64 v[114:115], v[40:41], 2, s[2:3]
	v_lshl_add_u64 v[112:113], v[42:43], 2, s[2:3]
	v_lshl_add_u64 v[110:111], v[44:45], 2, s[2:3]
	v_lshl_add_u64 v[108:109], v[46:47], 2, s[2:3]
	v_lshl_add_u64 v[106:107], v[48:49], 2, s[2:3]
	v_lshl_add_u64 v[104:105], v[50:51], 2, s[2:3]
	v_lshl_add_u64 v[102:103], v[52:53], 2, s[2:3]
	v_lshl_add_u64 v[54:55], v[54:55], 2, s[2:3]
	v_lshl_add_u64 v[52:53], v[56:57], 2, s[2:3]
	v_lshl_add_u64 v[50:51], v[58:59], 2, s[2:3]
	v_lshl_add_u64 v[48:49], v[60:61], 2, s[2:3]
	v_lshl_add_u64 v[46:47], v[62:63], 2, s[2:3]
	v_lshl_add_u64 v[44:45], v[64:65], 2, s[2:3]
	v_lshl_add_u64 v[42:43], v[66:67], 2, s[2:3]
	v_lshl_add_u64 v[40:41], v[68:69], 2, s[2:3]
	v_lshl_add_u64 v[38:39], v[70:71], 2, s[2:3]
	v_lshl_add_u64 v[36:37], v[72:73], 2, s[2:3]
	v_lshl_add_u64 v[34:35], v[74:75], 2, s[2:3]
	v_lshl_add_u64 v[32:33], v[76:77], 2, s[2:3]
	v_lshl_add_u64 v[30:31], v[78:79], 2, s[2:3]
	v_lshl_add_u64 v[28:29], v[80:81], 2, s[2:3]
	v_lshl_add_u64 v[26:27], v[82:83], 2, s[2:3]
	v_lshl_add_u64 v[24:25], v[84:85], 2, s[2:3]
	v_lshl_add_u64 v[22:23], v[86:87], 2, s[2:3]
	v_lshl_add_u64 v[20:21], v[88:89], 2, s[2:3]
	v_lshl_add_u64 v[18:19], v[90:91], 2, s[2:3]
	v_lshl_add_u64 v[16:17], v[92:93], 2, s[2:3]
	v_lshl_add_u64 v[14:15], v[94:95], 2, s[2:3]
	v_lshl_add_u64 v[12:13], v[96:97], 2, s[2:3]
	v_lshl_add_u64 v[10:11], v[98:99], 2, s[2:3]
	v_lshl_add_u64 v[8:9], v[100:101], 2, s[2:3]
	s_and_b32 vcc_lo, exec_lo, s5
	s_cbranch_vccz .LBB112_949
; %bb.478:
	scratch_load_b32 v56, off, off offset:4
	v_cmp_eq_u32_e64 s0, 0, v0
	s_wait_loadcnt 0x0
	ds_store_b32 v1, v56
	s_wait_storecnt_dscnt 0x0
	s_barrier_signal -1
	s_barrier_wait -1
	s_wait_xcnt 0x0
	s_and_saveexec_b32 s1, s0
	s_cbranch_execz .LBB112_484
; %bb.479:
	s_and_b32 vcc_lo, exec_lo, s6
	s_cbranch_vccz .LBB112_481
; %bb.480:
	scratch_load_b32 v56, v7, off
	ds_load_b32 v57, v1
	s_wait_loadcnt_dscnt 0x0
	v_mul_f32_e32 v56, v56, v57
	s_cbranch_execz .LBB112_482
	s_branch .LBB112_483
.LBB112_481:
                                        ; implicit-def: $vgpr56
.LBB112_482:
	ds_load_b32 v56, v1
.LBB112_483:
	v_mov_b32_e32 v57, 0
	ds_load_b32 v57, v57 offset:4
	s_wait_dscnt 0x0
	v_mul_f32_e32 v56, v56, v57
	scratch_store_b32 off, v56, off offset:4
.LBB112_484:
	s_wait_xcnt 0x0
	s_or_b32 exec_lo, exec_lo, s1
	scratch_load_b32 v57, off, off offset:8
	v_cndmask_b32_e64 v56, 0, 1, s6
	s_mov_b32 s1, exec_lo
	s_wait_loadcnt 0x0
	ds_store_b32 v1, v57
	s_wait_storecnt_dscnt 0x0
	s_barrier_signal -1
	s_barrier_wait -1
	s_wait_xcnt 0x0
	v_cmpx_gt_u32_e32 2, v0
	s_cbranch_execz .LBB112_490
; %bb.485:
	s_and_not1_b32 vcc_lo, exec_lo, s6
	s_cbranch_vccnz .LBB112_487
; %bb.486:
	scratch_load_b32 v57, v7, off
	ds_load_b32 v58, v1
	s_wait_loadcnt_dscnt 0x0
	v_mul_f32_e32 v57, v57, v58
	s_cbranch_execz .LBB112_488
	s_branch .LBB112_489
.LBB112_487:
                                        ; implicit-def: $vgpr57
.LBB112_488:
	ds_load_b32 v57, v1
.LBB112_489:
	scratch_load_b32 v60, off, off offset:4
	v_mov_b32_e32 v58, 0
	ds_load_2addr_b32 v[58:59], v58 offset0:2 offset1:53
	s_wait_loadcnt_dscnt 0x0
	v_fma_f32 v59, v60, v59, v57
	s_delay_alu instid0(VALU_DEP_1) | instskip(NEXT) | instid1(VALU_DEP_1)
	v_cndmask_b32_e64 v57, v57, v59, s0
	v_mul_f32_e32 v57, v57, v58
	scratch_store_b32 off, v57, off offset:8
.LBB112_490:
	s_wait_xcnt 0x0
	s_or_b32 exec_lo, exec_lo, s1
	scratch_load_b32 v57, off, off offset:12
	s_mov_b32 s1, exec_lo
	s_wait_loadcnt 0x0
	ds_store_b32 v1, v57
	s_wait_storecnt_dscnt 0x0
	s_barrier_signal -1
	s_barrier_wait -1
	s_wait_xcnt 0x0
	v_cmpx_gt_u32_e32 3, v0
	s_cbranch_execz .LBB112_498
; %bb.491:
	v_cmp_ne_u32_e32 vcc_lo, 1, v56
	s_cbranch_vccnz .LBB112_493
; %bb.492:
	scratch_load_b32 v57, v7, off
	ds_load_b32 v58, v1
	s_wait_loadcnt_dscnt 0x0
	v_mul_f32_e32 v57, v57, v58
	s_cbranch_execz .LBB112_494
	s_branch .LBB112_495
.LBB112_493:
                                        ; implicit-def: $vgpr57
.LBB112_494:
	ds_load_b32 v57, v1
.LBB112_495:
	s_mov_b32 s2, exec_lo
	v_cmpx_ne_u32_e32 2, v0
	s_cbranch_execz .LBB112_497
; %bb.496:
	scratch_load_b32 v58, v7, off offset:4
	scratch_load_b32 v59, off, off offset:8
	ds_load_b32 v60, v1 offset:4
	v_mov_b32_e32 v61, 0
	ds_load_b32 v61, v61 offset:216
	s_wait_loadcnt_dscnt 0x101
	v_fmac_f32_e32 v57, v58, v60
	s_wait_loadcnt_dscnt 0x0
	s_delay_alu instid0(VALU_DEP_1) | instskip(NEXT) | instid1(VALU_DEP_1)
	v_fma_f32 v58, v59, v61, v57
	v_cndmask_b32_e64 v57, v57, v58, s0
.LBB112_497:
	s_or_b32 exec_lo, exec_lo, s2
	v_mov_b32_e32 v58, 0
	ds_load_b32 v58, v58 offset:12
	s_wait_dscnt 0x0
	v_mul_f32_e32 v57, v57, v58
	scratch_store_b32 off, v57, off offset:12
.LBB112_498:
	s_wait_xcnt 0x0
	s_or_b32 exec_lo, exec_lo, s1
	scratch_load_b32 v57, off, off offset:16
	s_mov_b32 s0, exec_lo
	s_wait_loadcnt 0x0
	ds_store_b32 v1, v57
	s_wait_storecnt_dscnt 0x0
	s_barrier_signal -1
	s_barrier_wait -1
	s_wait_xcnt 0x0
	v_cmpx_gt_u32_e32 4, v0
	s_cbranch_execz .LBB112_508
; %bb.499:
	v_cmp_ne_u32_e32 vcc_lo, 1, v56
	s_cbranch_vccnz .LBB112_501
; %bb.500:
	scratch_load_b32 v57, v7, off
	ds_load_b32 v58, v1
	s_wait_loadcnt_dscnt 0x0
	v_mul_f32_e32 v57, v57, v58
	s_cbranch_execz .LBB112_502
	s_branch .LBB112_503
.LBB112_501:
                                        ; implicit-def: $vgpr57
.LBB112_502:
	ds_load_b32 v57, v1
.LBB112_503:
	s_mov_b32 s1, exec_lo
	v_cmpx_ne_u32_e32 3, v0
	s_cbranch_execz .LBB112_507
; %bb.504:
	v_add_nc_u32_e32 v58, 0xd4, v6
	v_add3_u32 v59, 0, v6, 4
	v_mov_b32_e32 v60, v0
	s_mov_b32 s2, 0
.LBB112_505:                            ; =>This Inner Loop Header: Depth=1
	scratch_load_b32 v61, v59, off
	ds_load_b32 v62, v58
	v_dual_add_nc_u32 v60, 1, v60 :: v_dual_add_nc_u32 v58, 4, v58
	s_wait_xcnt 0x0
	v_add_nc_u32_e32 v59, 4, v59
	s_delay_alu instid0(VALU_DEP_2)
	v_cmp_lt_u32_e32 vcc_lo, 2, v60
	s_or_b32 s2, vcc_lo, s2
	s_wait_loadcnt_dscnt 0x0
	v_fmac_f32_e32 v57, v61, v62
	s_and_not1_b32 exec_lo, exec_lo, s2
	s_cbranch_execnz .LBB112_505
; %bb.506:
	s_or_b32 exec_lo, exec_lo, s2
.LBB112_507:
	s_delay_alu instid0(SALU_CYCLE_1)
	s_or_b32 exec_lo, exec_lo, s1
	v_mov_b32_e32 v58, 0
	ds_load_b32 v58, v58 offset:16
	s_wait_dscnt 0x0
	v_mul_f32_e32 v57, v57, v58
	scratch_store_b32 off, v57, off offset:16
.LBB112_508:
	s_wait_xcnt 0x0
	s_or_b32 exec_lo, exec_lo, s0
	scratch_load_b32 v57, off, off offset:20
	s_mov_b32 s0, exec_lo
	s_wait_loadcnt 0x0
	ds_store_b32 v1, v57
	s_wait_storecnt_dscnt 0x0
	s_barrier_signal -1
	s_barrier_wait -1
	s_wait_xcnt 0x0
	v_cmpx_gt_u32_e32 5, v0
	s_cbranch_execz .LBB112_518
; %bb.509:
	v_cmp_ne_u32_e32 vcc_lo, 1, v56
	s_cbranch_vccnz .LBB112_511
; %bb.510:
	scratch_load_b32 v57, v7, off
	ds_load_b32 v58, v1
	s_wait_loadcnt_dscnt 0x0
	v_mul_f32_e32 v57, v57, v58
	s_cbranch_execz .LBB112_512
	s_branch .LBB112_513
.LBB112_511:
                                        ; implicit-def: $vgpr57
.LBB112_512:
	ds_load_b32 v57, v1
.LBB112_513:
	s_mov_b32 s1, exec_lo
	v_cmpx_ne_u32_e32 4, v0
	s_cbranch_execz .LBB112_517
; %bb.514:
	v_add_nc_u32_e32 v58, 0xd4, v6
	v_add3_u32 v59, 0, v6, 4
	v_mov_b32_e32 v60, v0
	s_mov_b32 s2, 0
.LBB112_515:                            ; =>This Inner Loop Header: Depth=1
	scratch_load_b32 v61, v59, off
	ds_load_b32 v62, v58
	v_dual_add_nc_u32 v60, 1, v60 :: v_dual_add_nc_u32 v58, 4, v58
	s_wait_xcnt 0x0
	v_add_nc_u32_e32 v59, 4, v59
	s_delay_alu instid0(VALU_DEP_2)
	v_cmp_lt_u32_e32 vcc_lo, 3, v60
	s_or_b32 s2, vcc_lo, s2
	s_wait_loadcnt_dscnt 0x0
	v_fmac_f32_e32 v57, v61, v62
	s_and_not1_b32 exec_lo, exec_lo, s2
	s_cbranch_execnz .LBB112_515
; %bb.516:
	s_or_b32 exec_lo, exec_lo, s2
.LBB112_517:
	s_delay_alu instid0(SALU_CYCLE_1)
	s_or_b32 exec_lo, exec_lo, s1
	v_mov_b32_e32 v58, 0
	ds_load_b32 v58, v58 offset:20
	s_wait_dscnt 0x0
	v_mul_f32_e32 v57, v57, v58
	scratch_store_b32 off, v57, off offset:20
.LBB112_518:
	;; [unrolled: 59-line block ×43, first 2 shown]
	s_wait_xcnt 0x0
	s_or_b32 exec_lo, exec_lo, s0
	scratch_load_b32 v57, off, off offset:188
	v_cmp_gt_u32_e64 s0, 47, v0
	s_wait_loadcnt 0x0
	ds_store_b32 v1, v57
	s_wait_storecnt_dscnt 0x0
	s_barrier_signal -1
	s_barrier_wait -1
	s_wait_xcnt 0x0
	s_and_saveexec_b32 s1, s0
	s_cbranch_execz .LBB112_938
; %bb.929:
	v_cmp_ne_u32_e32 vcc_lo, 1, v56
	s_cbranch_vccnz .LBB112_931
; %bb.930:
	scratch_load_b32 v57, v7, off
	ds_load_b32 v58, v1
	s_wait_loadcnt_dscnt 0x0
	v_mul_f32_e32 v57, v57, v58
	s_cbranch_execz .LBB112_932
	s_branch .LBB112_933
.LBB112_931:
                                        ; implicit-def: $vgpr57
.LBB112_932:
	ds_load_b32 v57, v1
.LBB112_933:
	s_mov_b32 s2, exec_lo
	v_cmpx_ne_u32_e32 46, v0
	s_cbranch_execz .LBB112_937
; %bb.934:
	v_add_nc_u32_e32 v58, 0xd4, v6
	v_add3_u32 v59, 0, v6, 4
	v_mov_b32_e32 v60, v0
	s_mov_b32 s3, 0
.LBB112_935:                            ; =>This Inner Loop Header: Depth=1
	scratch_load_b32 v61, v59, off
	ds_load_b32 v62, v58
	v_dual_add_nc_u32 v60, 1, v60 :: v_dual_add_nc_u32 v58, 4, v58
	s_wait_xcnt 0x0
	v_add_nc_u32_e32 v59, 4, v59
	s_delay_alu instid0(VALU_DEP_2)
	v_cmp_lt_u32_e32 vcc_lo, 45, v60
	s_or_b32 s3, vcc_lo, s3
	s_wait_loadcnt_dscnt 0x0
	v_fmac_f32_e32 v57, v61, v62
	s_and_not1_b32 exec_lo, exec_lo, s3
	s_cbranch_execnz .LBB112_935
; %bb.936:
	s_or_b32 exec_lo, exec_lo, s3
.LBB112_937:
	s_delay_alu instid0(SALU_CYCLE_1)
	s_or_b32 exec_lo, exec_lo, s2
	v_mov_b32_e32 v58, 0
	ds_load_b32 v58, v58 offset:188
	s_wait_dscnt 0x0
	v_mul_f32_e32 v57, v57, v58
	scratch_store_b32 off, v57, off offset:188
.LBB112_938:
	s_wait_xcnt 0x0
	s_or_b32 exec_lo, exec_lo, s1
	scratch_load_b32 v57, off, off offset:192
	s_mov_b32 s1, exec_lo
	s_wait_loadcnt 0x0
	ds_store_b32 v1, v57
	s_wait_storecnt_dscnt 0x0
	s_barrier_signal -1
	s_barrier_wait -1
	s_wait_xcnt 0x0
	v_cmpx_ne_u32_e32 48, v0
	s_cbranch_execz .LBB112_948
; %bb.939:
	v_cmp_ne_u32_e32 vcc_lo, 1, v56
	s_cbranch_vccnz .LBB112_941
; %bb.940:
	scratch_load_b32 v7, v7, off
	ds_load_b32 v56, v1
	s_wait_loadcnt_dscnt 0x0
	v_mul_f32_e32 v7, v7, v56
	s_cbranch_execz .LBB112_942
	s_branch .LBB112_943
.LBB112_941:
                                        ; implicit-def: $vgpr7
.LBB112_942:
	ds_load_b32 v7, v1
.LBB112_943:
	s_and_saveexec_b32 s2, s0
	s_cbranch_execz .LBB112_947
; %bb.944:
	v_add_nc_u32_e32 v1, 0xd4, v6
	v_add3_u32 v6, 0, v6, 4
	s_mov_b32 s0, 0
.LBB112_945:                            ; =>This Inner Loop Header: Depth=1
	scratch_load_b32 v56, v6, off
	ds_load_b32 v57, v1
	v_dual_add_nc_u32 v0, 1, v0 :: v_dual_add_nc_u32 v1, 4, v1
	s_wait_xcnt 0x0
	v_add_nc_u32_e32 v6, 4, v6
	s_delay_alu instid0(VALU_DEP_2)
	v_cmp_lt_u32_e32 vcc_lo, 46, v0
	s_or_b32 s0, vcc_lo, s0
	s_wait_loadcnt_dscnt 0x0
	v_fmac_f32_e32 v7, v56, v57
	s_and_not1_b32 exec_lo, exec_lo, s0
	s_cbranch_execnz .LBB112_945
; %bb.946:
	s_or_b32 exec_lo, exec_lo, s0
.LBB112_947:
	s_delay_alu instid0(SALU_CYCLE_1)
	s_or_b32 exec_lo, exec_lo, s2
	v_mov_b32_e32 v0, 0
	ds_load_b32 v0, v0 offset:192
	s_wait_dscnt 0x0
	v_mul_f32_e32 v0, v7, v0
	scratch_store_b32 off, v0, off offset:192
.LBB112_948:
	s_wait_xcnt 0x0
	s_or_b32 exec_lo, exec_lo, s1
.LBB112_949:
	scratch_load_b32 v0, off, off
	s_wait_loadcnt 0x0
	flat_store_b32 v[2:3], v0
	scratch_load_b32 v0, off, off offset:4
	s_wait_loadcnt 0x0
	flat_store_b32 v[4:5], v0
	scratch_load_b32 v0, off, off offset:8
	;; [unrolled: 3-line block ×48, first 2 shown]
	s_wait_loadcnt 0x0
	flat_store_b32 v[8:9], v0
.LBB112_950:
	s_sendmsg sendmsg(MSG_DEALLOC_VGPRS)
	s_endpgm
	.section	.rodata,"a",@progbits
	.p2align	6, 0x0
	.amdhsa_kernel _ZN9rocsolver6v33100L18trti2_kernel_smallILi49EfPKPfEEv13rocblas_fill_17rocblas_diagonal_T1_iil
		.amdhsa_group_segment_fixed_size 404
		.amdhsa_private_segment_fixed_size 208
		.amdhsa_kernarg_size 32
		.amdhsa_user_sgpr_count 2
		.amdhsa_user_sgpr_dispatch_ptr 0
		.amdhsa_user_sgpr_queue_ptr 0
		.amdhsa_user_sgpr_kernarg_segment_ptr 1
		.amdhsa_user_sgpr_dispatch_id 0
		.amdhsa_user_sgpr_kernarg_preload_length 0
		.amdhsa_user_sgpr_kernarg_preload_offset 0
		.amdhsa_user_sgpr_private_segment_size 0
		.amdhsa_wavefront_size32 1
		.amdhsa_uses_dynamic_stack 0
		.amdhsa_enable_private_segment 1
		.amdhsa_system_sgpr_workgroup_id_x 1
		.amdhsa_system_sgpr_workgroup_id_y 0
		.amdhsa_system_sgpr_workgroup_id_z 0
		.amdhsa_system_sgpr_workgroup_info 0
		.amdhsa_system_vgpr_workitem_id 0
		.amdhsa_next_free_vgpr 148
		.amdhsa_next_free_sgpr 55
		.amdhsa_named_barrier_count 0
		.amdhsa_reserve_vcc 1
		.amdhsa_float_round_mode_32 0
		.amdhsa_float_round_mode_16_64 0
		.amdhsa_float_denorm_mode_32 3
		.amdhsa_float_denorm_mode_16_64 3
		.amdhsa_fp16_overflow 0
		.amdhsa_memory_ordered 1
		.amdhsa_forward_progress 1
		.amdhsa_inst_pref_size 221
		.amdhsa_round_robin_scheduling 0
		.amdhsa_exception_fp_ieee_invalid_op 0
		.amdhsa_exception_fp_denorm_src 0
		.amdhsa_exception_fp_ieee_div_zero 0
		.amdhsa_exception_fp_ieee_overflow 0
		.amdhsa_exception_fp_ieee_underflow 0
		.amdhsa_exception_fp_ieee_inexact 0
		.amdhsa_exception_int_div_zero 0
	.end_amdhsa_kernel
	.section	.text._ZN9rocsolver6v33100L18trti2_kernel_smallILi49EfPKPfEEv13rocblas_fill_17rocblas_diagonal_T1_iil,"axG",@progbits,_ZN9rocsolver6v33100L18trti2_kernel_smallILi49EfPKPfEEv13rocblas_fill_17rocblas_diagonal_T1_iil,comdat
.Lfunc_end112:
	.size	_ZN9rocsolver6v33100L18trti2_kernel_smallILi49EfPKPfEEv13rocblas_fill_17rocblas_diagonal_T1_iil, .Lfunc_end112-_ZN9rocsolver6v33100L18trti2_kernel_smallILi49EfPKPfEEv13rocblas_fill_17rocblas_diagonal_T1_iil
                                        ; -- End function
	.set _ZN9rocsolver6v33100L18trti2_kernel_smallILi49EfPKPfEEv13rocblas_fill_17rocblas_diagonal_T1_iil.num_vgpr, 148
	.set _ZN9rocsolver6v33100L18trti2_kernel_smallILi49EfPKPfEEv13rocblas_fill_17rocblas_diagonal_T1_iil.num_agpr, 0
	.set _ZN9rocsolver6v33100L18trti2_kernel_smallILi49EfPKPfEEv13rocblas_fill_17rocblas_diagonal_T1_iil.numbered_sgpr, 55
	.set _ZN9rocsolver6v33100L18trti2_kernel_smallILi49EfPKPfEEv13rocblas_fill_17rocblas_diagonal_T1_iil.num_named_barrier, 0
	.set _ZN9rocsolver6v33100L18trti2_kernel_smallILi49EfPKPfEEv13rocblas_fill_17rocblas_diagonal_T1_iil.private_seg_size, 208
	.set _ZN9rocsolver6v33100L18trti2_kernel_smallILi49EfPKPfEEv13rocblas_fill_17rocblas_diagonal_T1_iil.uses_vcc, 1
	.set _ZN9rocsolver6v33100L18trti2_kernel_smallILi49EfPKPfEEv13rocblas_fill_17rocblas_diagonal_T1_iil.uses_flat_scratch, 0
	.set _ZN9rocsolver6v33100L18trti2_kernel_smallILi49EfPKPfEEv13rocblas_fill_17rocblas_diagonal_T1_iil.has_dyn_sized_stack, 0
	.set _ZN9rocsolver6v33100L18trti2_kernel_smallILi49EfPKPfEEv13rocblas_fill_17rocblas_diagonal_T1_iil.has_recursion, 0
	.set _ZN9rocsolver6v33100L18trti2_kernel_smallILi49EfPKPfEEv13rocblas_fill_17rocblas_diagonal_T1_iil.has_indirect_call, 0
	.section	.AMDGPU.csdata,"",@progbits
; Kernel info:
; codeLenInByte = 28288
; TotalNumSgprs: 57
; NumVgprs: 148
; ScratchSize: 208
; MemoryBound: 0
; FloatMode: 240
; IeeeMode: 1
; LDSByteSize: 404 bytes/workgroup (compile time only)
; SGPRBlocks: 0
; VGPRBlocks: 9
; NumSGPRsForWavesPerEU: 57
; NumVGPRsForWavesPerEU: 148
; NamedBarCnt: 0
; Occupancy: 6
; WaveLimiterHint : 1
; COMPUTE_PGM_RSRC2:SCRATCH_EN: 1
; COMPUTE_PGM_RSRC2:USER_SGPR: 2
; COMPUTE_PGM_RSRC2:TRAP_HANDLER: 0
; COMPUTE_PGM_RSRC2:TGID_X_EN: 1
; COMPUTE_PGM_RSRC2:TGID_Y_EN: 0
; COMPUTE_PGM_RSRC2:TGID_Z_EN: 0
; COMPUTE_PGM_RSRC2:TIDIG_COMP_CNT: 0
	.section	.text._ZN9rocsolver6v33100L18trti2_kernel_smallILi50EfPKPfEEv13rocblas_fill_17rocblas_diagonal_T1_iil,"axG",@progbits,_ZN9rocsolver6v33100L18trti2_kernel_smallILi50EfPKPfEEv13rocblas_fill_17rocblas_diagonal_T1_iil,comdat
	.globl	_ZN9rocsolver6v33100L18trti2_kernel_smallILi50EfPKPfEEv13rocblas_fill_17rocblas_diagonal_T1_iil ; -- Begin function _ZN9rocsolver6v33100L18trti2_kernel_smallILi50EfPKPfEEv13rocblas_fill_17rocblas_diagonal_T1_iil
	.p2align	8
	.type	_ZN9rocsolver6v33100L18trti2_kernel_smallILi50EfPKPfEEv13rocblas_fill_17rocblas_diagonal_T1_iil,@function
_ZN9rocsolver6v33100L18trti2_kernel_smallILi50EfPKPfEEv13rocblas_fill_17rocblas_diagonal_T1_iil: ; @_ZN9rocsolver6v33100L18trti2_kernel_smallILi50EfPKPfEEv13rocblas_fill_17rocblas_diagonal_T1_iil
; %bb.0:
	s_mov_b32 s2, exec_lo
	v_cmpx_gt_u32_e32 50, v0
	s_cbranch_execz .LBB113_970
; %bb.1:
	s_clause 0x1
	s_load_b64 s[2:3], s[0:1], 0x10
	s_load_b128 s[4:7], s[0:1], 0x0
	s_wait_xcnt 0x0
	s_bfe_u32 s0, ttmp6, 0x4000c
	s_and_b32 s1, ttmp6, 15
	s_add_co_i32 s0, s0, 1
	s_getreg_b32 s8, hwreg(HW_REG_IB_STS2, 6, 4)
	s_mul_i32 s0, ttmp9, s0
	v_dual_mov_b32 v7, 0 :: v_dual_lshlrev_b32 v6, 2, v0
	s_add_co_i32 s0, s1, s0
	v_mov_b32_e32 v104, -1.0
	s_wait_kmcnt 0x0
	s_ashr_i32 s1, s2, 31
	s_cmp_eq_u32 s8, 0
	v_add3_u32 v8, s3, s3, v0
	s_cselect_b32 s8, ttmp9, s0
	s_mov_b32 s0, s2
	s_ashr_i32 s9, s8, 31
	s_lshl_b64 s[0:1], s[0:1], 2
	s_lshl_b64 s[8:9], s[8:9], 3
	v_add_nc_u32_e32 v10, s3, v8
	s_add_nc_u64 s[6:7], s[6:7], s[8:9]
	s_load_b64 s[6:7], s[6:7], 0x0
	s_delay_alu instid0(VALU_DEP_1) | instskip(NEXT) | instid1(VALU_DEP_1)
	v_add_nc_u32_e32 v12, s3, v10
	v_add_nc_u32_e32 v14, s3, v12
	s_delay_alu instid0(VALU_DEP_1) | instskip(NEXT) | instid1(VALU_DEP_1)
	v_add_nc_u32_e32 v16, s3, v14
	v_dual_ashrrev_i32 v11, 31, v10 :: v_dual_add_nc_u32 v18, s3, v16
	v_ashrrev_i32_e32 v13, 31, v12
	s_wait_kmcnt 0x0
	s_add_nc_u64 s[6:7], s[6:7], s[0:1]
	s_mov_b32 s0, s3
	flat_load_b32 v1, v0, s[6:7] scale_offset
	v_add_nc_u64_e32 v[2:3], s[6:7], v[6:7]
	s_ashr_i32 s1, s3, 31
	v_dual_add_nc_u32 v20, s3, v18 :: v_dual_ashrrev_i32 v9, 31, v8
	v_ashrrev_i32_e32 v15, 31, v14
	v_ashrrev_i32_e32 v19, 31, v18
	s_cmp_lg_u32 s5, 0x84
	s_delay_alu instid0(VALU_DEP_4) | instskip(SKIP_2) | instid1(VALU_DEP_1)
	v_lshl_add_u64 v[4:5], s[0:1], 2, v[2:3]
	v_add_nc_u32_e32 v22, s3, v20
	s_movk_i32 s1, 0x84
	v_add_nc_u32_e32 v24, s3, v22
	s_delay_alu instid0(VALU_DEP_1) | instskip(NEXT) | instid1(VALU_DEP_1)
	v_add_nc_u32_e32 v26, s3, v24
	v_dual_add_nc_u32 v28, s3, v26 :: v_dual_ashrrev_i32 v17, 31, v16
	s_delay_alu instid0(VALU_DEP_1) | instskip(NEXT) | instid1(VALU_DEP_1)
	v_dual_ashrrev_i32 v23, 31, v22 :: v_dual_add_nc_u32 v30, s3, v28
	v_dual_ashrrev_i32 v25, 31, v24 :: v_dual_ashrrev_i32 v31, 31, v30
	v_dual_add_nc_u32 v32, s3, v30 :: v_dual_ashrrev_i32 v21, 31, v20
	s_delay_alu instid0(VALU_DEP_1) | instskip(NEXT) | instid1(VALU_DEP_1)
	v_dual_ashrrev_i32 v27, 31, v26 :: v_dual_add_nc_u32 v34, s3, v32
	v_add_nc_u32_e32 v36, s3, v34
	s_delay_alu instid0(VALU_DEP_1) | instskip(NEXT) | instid1(VALU_DEP_1)
	v_add_nc_u32_e32 v38, s3, v36
	v_dual_add_nc_u32 v40, s3, v38 :: v_dual_ashrrev_i32 v29, 31, v28
	s_delay_alu instid0(VALU_DEP_1) | instskip(NEXT) | instid1(VALU_DEP_1)
	v_dual_ashrrev_i32 v35, 31, v34 :: v_dual_add_nc_u32 v42, s3, v40
	v_dual_ashrrev_i32 v37, 31, v36 :: v_dual_ashrrev_i32 v43, 31, v42
	v_dual_add_nc_u32 v44, s3, v42 :: v_dual_ashrrev_i32 v33, 31, v32
	s_delay_alu instid0(VALU_DEP_1) | instskip(NEXT) | instid1(VALU_DEP_1)
	v_dual_ashrrev_i32 v39, 31, v38 :: v_dual_add_nc_u32 v46, s3, v44
	;; [unrolled: 10-line block ×6, first 2 shown]
	v_add_nc_u32_e32 v96, s3, v94
	s_delay_alu instid0(VALU_DEP_1) | instskip(NEXT) | instid1(VALU_DEP_1)
	v_add_nc_u32_e32 v98, s3, v96
	v_dual_ashrrev_i32 v93, 31, v92 :: v_dual_ashrrev_i32 v99, 31, v98
	v_dual_add_nc_u32 v100, s3, v98 :: v_dual_ashrrev_i32 v89, 31, v88
	s_delay_alu instid0(VALU_DEP_1)
	v_dual_ashrrev_i32 v95, 31, v94 :: v_dual_add_nc_u32 v102, s3, v100
	v_ashrrev_i32_e32 v97, 31, v96
	v_ashrrev_i32_e32 v101, 31, v100
	s_cselect_b32 s3, -1, 0
	s_cmp_eq_u32 s5, 0x84
	v_ashrrev_i32_e32 v103, 31, v102
	s_wait_loadcnt_dscnt 0x0
	scratch_store_b32 off, v1, off
	flat_load_b32 v1, v[4:5]
	s_wait_loadcnt_dscnt 0x0
	scratch_store_b32 off, v1, off offset:4
	flat_load_b32 v1, v8, s[6:7] scale_offset
	s_wait_loadcnt_dscnt 0x0
	scratch_store_b32 off, v1, off offset:8
	flat_load_b32 v1, v10, s[6:7] scale_offset
	;; [unrolled: 3-line block ×48, first 2 shown]
	s_wait_loadcnt_dscnt 0x0
	scratch_store_b32 off, v1, off offset:196
	s_cbranch_scc1 .LBB113_3
; %bb.2:
	scratch_load_b32 v1, v0, off scale_offset
	s_wait_loadcnt 0x0
	v_div_scale_f32 v7, null, v1, v1, 1.0
	s_delay_alu instid0(VALU_DEP_1) | instskip(SKIP_1) | instid1(TRANS32_DEP_1)
	v_rcp_f32_e32 v104, v7
	v_nop
	v_fma_f32 v105, -v7, v104, 1.0
	s_delay_alu instid0(VALU_DEP_1) | instskip(SKIP_1) | instid1(VALU_DEP_1)
	v_fmac_f32_e32 v104, v105, v104
	v_div_scale_f32 v105, vcc_lo, 1.0, v1, 1.0
	v_mul_f32_e32 v106, v105, v104
	s_delay_alu instid0(VALU_DEP_1) | instskip(NEXT) | instid1(VALU_DEP_1)
	v_fma_f32 v107, -v7, v106, v105
	v_fmac_f32_e32 v106, v107, v104
	s_delay_alu instid0(VALU_DEP_1) | instskip(NEXT) | instid1(VALU_DEP_1)
	v_fma_f32 v7, -v7, v106, v105
	v_div_fmas_f32 v7, v7, v104, v106
	s_delay_alu instid0(VALU_DEP_1) | instskip(NEXT) | instid1(VALU_DEP_1)
	v_div_fixup_f32 v1, v7, v1, 1.0
	v_xor_b32_e32 v104, 0x80000000, v1
	scratch_store_b32 v0, v1, off scale_offset
.LBB113_3:
	s_wait_xcnt 0x0
	v_add_nc_u32_e32 v1, 0xd0, v6
	v_mov_b32_e32 v7, v6
	s_cmp_eq_u32 s4, 0x79
	s_mov_b32 s2, -1
	ds_store_b32 v6, v104
	s_cbranch_scc1 .LBB113_487
; %bb.4:
	scratch_load_b32 v104, off, off offset:192
	v_cmp_eq_u32_e64 s0, 49, v0
	s_movk_i32 s21, 0x44
	s_movk_i32 s22, 0x48
	;; [unrolled: 1-line block ×30, first 2 shown]
	s_wait_loadcnt 0x0
	ds_store_b32 v1, v104
	s_wait_storecnt_dscnt 0x0
	s_barrier_signal -1
	s_barrier_wait -1
	s_wait_xcnt 0x0
	s_and_saveexec_b32 s2, s0
	s_cbranch_execz .LBB113_10
; %bb.5:
	s_and_b32 vcc_lo, exec_lo, s3
	s_cbranch_vccz .LBB113_7
; %bb.6:
	scratch_load_b32 v104, v7, off
	ds_load_b32 v105, v1
	s_wait_loadcnt_dscnt 0x0
	v_mul_f32_e32 v104, v104, v105
	s_cbranch_execz .LBB113_8
	s_branch .LBB113_9
.LBB113_7:
                                        ; implicit-def: $vgpr104
.LBB113_8:
	ds_load_b32 v104, v1
.LBB113_9:
	v_mov_b32_e32 v105, 0
	ds_load_b32 v105, v105 offset:192
	s_wait_dscnt 0x0
	v_mul_f32_e32 v104, v104, v105
	scratch_store_b32 off, v104, off offset:192
.LBB113_10:
	s_wait_xcnt 0x0
	s_or_b32 exec_lo, exec_lo, s2
	scratch_load_b32 v104, off, off offset:188
	s_mov_b32 s38, s1
	v_cmp_lt_u32_e64 s1, 47, v0
	s_or_b32 s4, 0, 4
	s_or_b32 s5, 0, 8
	;; [unrolled: 1-line block ×3, first 2 shown]
	s_mov_b32 s2, 16
	s_mov_b32 s9, 20
	;; [unrolled: 1-line block ×13, first 2 shown]
	s_wait_loadcnt 0x0
	ds_store_b32 v1, v104
	s_wait_storecnt_dscnt 0x0
	s_barrier_signal -1
	s_barrier_wait -1
	s_wait_xcnt 0x0
	s_and_saveexec_b32 s53, s1
	s_cbranch_execz .LBB113_16
; %bb.11:
	s_and_not1_b32 vcc_lo, exec_lo, s3
	s_cbranch_vccnz .LBB113_13
; %bb.12:
	scratch_load_b32 v104, v7, off
	ds_load_b32 v105, v1
	s_wait_loadcnt_dscnt 0x0
	v_mul_f32_e32 v104, v104, v105
	s_cbranch_execz .LBB113_14
	s_branch .LBB113_15
.LBB113_13:
                                        ; implicit-def: $vgpr104
.LBB113_14:
	ds_load_b32 v104, v1
.LBB113_15:
	scratch_load_b32 v105, off, off offset:192
	v_mov_b32_e32 v106, 0
	ds_load_2addr_b32 v[106:107], v106 offset0:47 offset1:100
	s_wait_loadcnt_dscnt 0x0
	v_fma_f32 v105, v105, v107, v104
	s_delay_alu instid0(VALU_DEP_1) | instskip(NEXT) | instid1(VALU_DEP_1)
	v_cndmask_b32_e64 v104, v104, v105, s0
	v_mul_f32_e32 v104, v104, v106
	scratch_store_b32 off, v104, off offset:188
.LBB113_16:
	s_wait_xcnt 0x0
	s_or_b32 exec_lo, exec_lo, s53
	scratch_load_b32 v104, off, off offset:184
	v_cmp_lt_u32_e64 s0, 46, v0
	s_wait_loadcnt 0x0
	ds_store_b32 v1, v104
	s_wait_storecnt_dscnt 0x0
	s_barrier_signal -1
	s_barrier_wait -1
	s_wait_xcnt 0x0
	s_and_saveexec_b32 s53, s0
	s_cbranch_execz .LBB113_26
; %bb.17:
	s_and_not1_b32 vcc_lo, exec_lo, s3
	s_cbranch_vccnz .LBB113_19
; %bb.18:
	scratch_load_b32 v104, v7, off
	ds_load_b32 v105, v1
	s_wait_loadcnt_dscnt 0x0
	v_mul_f32_e32 v104, v104, v105
	s_cbranch_execz .LBB113_20
	s_branch .LBB113_21
.LBB113_19:
                                        ; implicit-def: $vgpr104
.LBB113_20:
	ds_load_b32 v104, v1
.LBB113_21:
	s_and_saveexec_b32 s54, s1
	s_cbranch_execz .LBB113_25
; %bb.22:
	v_subrev_nc_u32_e32 v105, 47, v0
	s_movk_i32 s55, 0x18c
	s_mov_b32 s1, 0
.LBB113_23:                             ; =>This Inner Loop Header: Depth=1
	scratch_load_b32 v106, off, s52
	v_dual_mov_b32 v107, s55 :: v_dual_add_nc_u32 v105, -1, v105
	s_add_co_i32 s55, s55, 4
	s_wait_xcnt 0x0
	s_add_co_i32 s52, s52, 4
	ds_load_b32 v107, v107
	v_cmp_eq_u32_e32 vcc_lo, 0, v105
	s_or_b32 s1, vcc_lo, s1
	s_wait_loadcnt_dscnt 0x0
	v_fmac_f32_e32 v104, v106, v107
	s_and_not1_b32 exec_lo, exec_lo, s1
	s_cbranch_execnz .LBB113_23
; %bb.24:
	s_or_b32 exec_lo, exec_lo, s1
.LBB113_25:
	s_delay_alu instid0(SALU_CYCLE_1)
	s_or_b32 exec_lo, exec_lo, s54
	v_mov_b32_e32 v105, 0
	ds_load_b32 v105, v105 offset:184
	s_wait_dscnt 0x0
	v_mul_f32_e32 v104, v104, v105
	scratch_store_b32 off, v104, off offset:184
.LBB113_26:
	s_wait_xcnt 0x0
	s_or_b32 exec_lo, exec_lo, s53
	scratch_load_b32 v104, off, off offset:180
	v_cmp_lt_u32_e64 s1, 45, v0
	s_wait_loadcnt 0x0
	ds_store_b32 v1, v104
	s_wait_storecnt_dscnt 0x0
	s_barrier_signal -1
	s_barrier_wait -1
	s_wait_xcnt 0x0
	s_and_saveexec_b32 s52, s1
	s_cbranch_execz .LBB113_36
; %bb.27:
	s_and_not1_b32 vcc_lo, exec_lo, s3
	s_cbranch_vccnz .LBB113_29
; %bb.28:
	scratch_load_b32 v104, v7, off
	ds_load_b32 v105, v1
	s_wait_loadcnt_dscnt 0x0
	v_mul_f32_e32 v104, v104, v105
	s_cbranch_execz .LBB113_30
	s_branch .LBB113_31
.LBB113_29:
                                        ; implicit-def: $vgpr104
.LBB113_30:
	ds_load_b32 v104, v1
.LBB113_31:
	s_and_saveexec_b32 s53, s0
	s_cbranch_execz .LBB113_35
; %bb.32:
	v_subrev_nc_u32_e32 v105, 46, v0
	s_movk_i32 s54, 0x188
	s_mov_b32 s0, 0
.LBB113_33:                             ; =>This Inner Loop Header: Depth=1
	scratch_load_b32 v106, off, s51
	v_dual_mov_b32 v107, s54 :: v_dual_add_nc_u32 v105, -1, v105
	s_add_co_i32 s54, s54, 4
	s_wait_xcnt 0x0
	s_add_co_i32 s51, s51, 4
	ds_load_b32 v107, v107
	v_cmp_eq_u32_e32 vcc_lo, 0, v105
	s_or_b32 s0, vcc_lo, s0
	s_wait_loadcnt_dscnt 0x0
	v_fmac_f32_e32 v104, v106, v107
	s_and_not1_b32 exec_lo, exec_lo, s0
	s_cbranch_execnz .LBB113_33
; %bb.34:
	s_or_b32 exec_lo, exec_lo, s0
.LBB113_35:
	s_delay_alu instid0(SALU_CYCLE_1)
	s_or_b32 exec_lo, exec_lo, s53
	v_mov_b32_e32 v105, 0
	ds_load_b32 v105, v105 offset:180
	s_wait_dscnt 0x0
	v_mul_f32_e32 v104, v104, v105
	scratch_store_b32 off, v104, off offset:180
.LBB113_36:
	;; [unrolled: 57-line block ×8, first 2 shown]
	s_wait_xcnt 0x0
	s_or_b32 exec_lo, exec_lo, s46
	scratch_load_b32 v104, off, off offset:152
	v_cmp_lt_u32_e64 s0, 38, v0
	s_wait_loadcnt 0x0
	ds_store_b32 v1, v104
	s_wait_storecnt_dscnt 0x0
	s_barrier_signal -1
	s_barrier_wait -1
	s_wait_xcnt 0x0
	s_and_saveexec_b32 s45, s0
	s_cbranch_execz .LBB113_106
; %bb.97:
	s_and_not1_b32 vcc_lo, exec_lo, s3
	s_cbranch_vccnz .LBB113_99
; %bb.98:
	scratch_load_b32 v104, v7, off
	ds_load_b32 v105, v1
	s_wait_loadcnt_dscnt 0x0
	v_mul_f32_e32 v104, v104, v105
	s_cbranch_execz .LBB113_100
	s_branch .LBB113_101
.LBB113_99:
                                        ; implicit-def: $vgpr104
.LBB113_100:
	ds_load_b32 v104, v1
.LBB113_101:
	s_and_saveexec_b32 s46, s1
	s_cbranch_execz .LBB113_105
; %bb.102:
	v_subrev_nc_u32_e32 v105, 39, v0
	s_movk_i32 s47, 0x16c
	s_mov_b32 s1, 0
.LBB113_103:                            ; =>This Inner Loop Header: Depth=1
	scratch_load_b32 v106, off, s44
	v_dual_mov_b32 v107, s47 :: v_dual_add_nc_u32 v105, -1, v105
	s_add_co_i32 s47, s47, 4
	s_wait_xcnt 0x0
	s_add_co_i32 s44, s44, 4
	ds_load_b32 v107, v107
	v_cmp_eq_u32_e32 vcc_lo, 0, v105
	s_or_b32 s1, vcc_lo, s1
	s_wait_loadcnt_dscnt 0x0
	v_fmac_f32_e32 v104, v106, v107
	s_and_not1_b32 exec_lo, exec_lo, s1
	s_cbranch_execnz .LBB113_103
; %bb.104:
	s_or_b32 exec_lo, exec_lo, s1
.LBB113_105:
	s_delay_alu instid0(SALU_CYCLE_1)
	s_or_b32 exec_lo, exec_lo, s46
	v_mov_b32_e32 v105, 0
	ds_load_b32 v105, v105 offset:152
	s_wait_dscnt 0x0
	v_mul_f32_e32 v104, v104, v105
	scratch_store_b32 off, v104, off offset:152
.LBB113_106:
	s_wait_xcnt 0x0
	s_or_b32 exec_lo, exec_lo, s45
	scratch_load_b32 v104, off, off offset:148
	v_cmp_lt_u32_e64 s1, 37, v0
	s_wait_loadcnt 0x0
	ds_store_b32 v1, v104
	s_wait_storecnt_dscnt 0x0
	s_barrier_signal -1
	s_barrier_wait -1
	s_wait_xcnt 0x0
	s_and_saveexec_b32 s44, s1
	s_cbranch_execz .LBB113_116
; %bb.107:
	s_and_not1_b32 vcc_lo, exec_lo, s3
	s_cbranch_vccnz .LBB113_109
; %bb.108:
	scratch_load_b32 v104, v7, off
	ds_load_b32 v105, v1
	s_wait_loadcnt_dscnt 0x0
	v_mul_f32_e32 v104, v104, v105
	s_cbranch_execz .LBB113_110
	s_branch .LBB113_111
.LBB113_109:
                                        ; implicit-def: $vgpr104
.LBB113_110:
	ds_load_b32 v104, v1
.LBB113_111:
	s_and_saveexec_b32 s45, s0
	s_cbranch_execz .LBB113_115
; %bb.112:
	v_subrev_nc_u32_e32 v105, 38, v0
	s_movk_i32 s46, 0x168
	s_mov_b32 s0, 0
.LBB113_113:                            ; =>This Inner Loop Header: Depth=1
	scratch_load_b32 v106, off, s43
	v_dual_mov_b32 v107, s46 :: v_dual_add_nc_u32 v105, -1, v105
	s_add_co_i32 s46, s46, 4
	s_wait_xcnt 0x0
	s_add_co_i32 s43, s43, 4
	ds_load_b32 v107, v107
	v_cmp_eq_u32_e32 vcc_lo, 0, v105
	s_or_b32 s0, vcc_lo, s0
	s_wait_loadcnt_dscnt 0x0
	v_fmac_f32_e32 v104, v106, v107
	s_and_not1_b32 exec_lo, exec_lo, s0
	s_cbranch_execnz .LBB113_113
; %bb.114:
	s_or_b32 exec_lo, exec_lo, s0
.LBB113_115:
	s_delay_alu instid0(SALU_CYCLE_1)
	s_or_b32 exec_lo, exec_lo, s45
	v_mov_b32_e32 v105, 0
	ds_load_b32 v105, v105 offset:148
	s_wait_dscnt 0x0
	v_mul_f32_e32 v104, v104, v105
	scratch_store_b32 off, v104, off offset:148
.LBB113_116:
	;; [unrolled: 57-line block ×23, first 2 shown]
	s_wait_xcnt 0x0
	s_or_b32 exec_lo, exec_lo, s22
	scratch_load_b32 v104, off, off offset:60
	v_cmp_lt_u32_e64 s1, 15, v0
	s_wait_loadcnt 0x0
	ds_store_b32 v1, v104
	s_wait_storecnt_dscnt 0x0
	s_barrier_signal -1
	s_barrier_wait -1
	s_wait_xcnt 0x0
	s_and_saveexec_b32 s21, s1
	s_cbranch_execz .LBB113_336
; %bb.327:
	s_and_not1_b32 vcc_lo, exec_lo, s3
	s_cbranch_vccnz .LBB113_329
; %bb.328:
	scratch_load_b32 v104, v7, off
	ds_load_b32 v105, v1
	s_wait_loadcnt_dscnt 0x0
	v_mul_f32_e32 v104, v104, v105
	s_cbranch_execz .LBB113_330
	s_branch .LBB113_331
.LBB113_329:
                                        ; implicit-def: $vgpr104
.LBB113_330:
	ds_load_b32 v104, v1
.LBB113_331:
	s_and_saveexec_b32 s22, s0
	s_cbranch_execz .LBB113_335
; %bb.332:
	v_add_nc_u32_e32 v105, -16, v0
	s_movk_i32 s23, 0x110
	s_mov_b32 s0, 0
.LBB113_333:                            ; =>This Inner Loop Header: Depth=1
	scratch_load_b32 v106, off, s20
	v_dual_mov_b32 v107, s23 :: v_dual_add_nc_u32 v105, -1, v105
	s_add_co_i32 s23, s23, 4
	s_wait_xcnt 0x0
	s_add_co_i32 s20, s20, 4
	ds_load_b32 v107, v107
	v_cmp_eq_u32_e32 vcc_lo, 0, v105
	s_or_b32 s0, vcc_lo, s0
	s_wait_loadcnt_dscnt 0x0
	v_fmac_f32_e32 v104, v106, v107
	s_and_not1_b32 exec_lo, exec_lo, s0
	s_cbranch_execnz .LBB113_333
; %bb.334:
	s_or_b32 exec_lo, exec_lo, s0
.LBB113_335:
	s_delay_alu instid0(SALU_CYCLE_1)
	s_or_b32 exec_lo, exec_lo, s22
	v_mov_b32_e32 v105, 0
	ds_load_b32 v105, v105 offset:60
	s_wait_dscnt 0x0
	v_mul_f32_e32 v104, v104, v105
	scratch_store_b32 off, v104, off offset:60
.LBB113_336:
	s_wait_xcnt 0x0
	s_or_b32 exec_lo, exec_lo, s21
	scratch_load_b32 v104, off, off offset:56
	v_cmp_lt_u32_e64 s0, 14, v0
	s_wait_loadcnt 0x0
	ds_store_b32 v1, v104
	s_wait_storecnt_dscnt 0x0
	s_barrier_signal -1
	s_barrier_wait -1
	s_wait_xcnt 0x0
	s_and_saveexec_b32 s20, s0
	s_cbranch_execz .LBB113_346
; %bb.337:
	s_and_not1_b32 vcc_lo, exec_lo, s3
	s_cbranch_vccnz .LBB113_339
; %bb.338:
	scratch_load_b32 v104, v7, off
	ds_load_b32 v105, v1
	s_wait_loadcnt_dscnt 0x0
	v_mul_f32_e32 v104, v104, v105
	s_cbranch_execz .LBB113_340
	s_branch .LBB113_341
.LBB113_339:
                                        ; implicit-def: $vgpr104
.LBB113_340:
	ds_load_b32 v104, v1
.LBB113_341:
	s_and_saveexec_b32 s21, s1
	s_cbranch_execz .LBB113_345
; %bb.342:
	v_add_nc_u32_e32 v105, -15, v0
	s_movk_i32 s22, 0x10c
	s_mov_b32 s1, 0
.LBB113_343:                            ; =>This Inner Loop Header: Depth=1
	scratch_load_b32 v106, off, s19
	v_dual_mov_b32 v107, s22 :: v_dual_add_nc_u32 v105, -1, v105
	s_add_co_i32 s22, s22, 4
	s_wait_xcnt 0x0
	s_add_co_i32 s19, s19, 4
	ds_load_b32 v107, v107
	v_cmp_eq_u32_e32 vcc_lo, 0, v105
	s_or_b32 s1, vcc_lo, s1
	s_wait_loadcnt_dscnt 0x0
	v_fmac_f32_e32 v104, v106, v107
	s_and_not1_b32 exec_lo, exec_lo, s1
	s_cbranch_execnz .LBB113_343
; %bb.344:
	s_or_b32 exec_lo, exec_lo, s1
.LBB113_345:
	s_delay_alu instid0(SALU_CYCLE_1)
	s_or_b32 exec_lo, exec_lo, s21
	v_mov_b32_e32 v105, 0
	ds_load_b32 v105, v105 offset:56
	s_wait_dscnt 0x0
	v_mul_f32_e32 v104, v104, v105
	scratch_store_b32 off, v104, off offset:56
.LBB113_346:
	;; [unrolled: 57-line block ×15, first 2 shown]
	s_wait_xcnt 0x0
	s_or_b32 exec_lo, exec_lo, s1
	scratch_load_b32 v104, off, off
	s_mov_b32 s2, 0
	s_mov_b32 s1, exec_lo
	s_wait_loadcnt 0x0
	ds_store_b32 v1, v104
	s_wait_storecnt_dscnt 0x0
	s_barrier_signal -1
	s_barrier_wait -1
	s_wait_xcnt 0x0
	v_cmpx_ne_u32_e32 0, v0
	s_cbranch_execz .LBB113_486
; %bb.477:
	s_and_not1_b32 vcc_lo, exec_lo, s3
	s_cbranch_vccnz .LBB113_479
; %bb.478:
	scratch_load_b32 v104, v7, off
	ds_load_b32 v105, v1
	s_wait_loadcnt_dscnt 0x0
	v_mul_f32_e32 v104, v104, v105
	s_cbranch_execz .LBB113_480
	s_branch .LBB113_481
.LBB113_479:
                                        ; implicit-def: $vgpr104
.LBB113_480:
	ds_load_b32 v104, v1
.LBB113_481:
	s_and_saveexec_b32 s5, s0
	s_cbranch_execz .LBB113_485
; %bb.482:
	v_add_nc_u32_e32 v105, -1, v0
	s_movk_i32 s8, 0xd4
	s_mov_b32 s0, 0
.LBB113_483:                            ; =>This Inner Loop Header: Depth=1
	scratch_load_b32 v106, off, s4
	v_dual_mov_b32 v107, s8 :: v_dual_add_nc_u32 v105, -1, v105
	s_add_co_i32 s8, s8, 4
	s_wait_xcnt 0x0
	s_add_co_i32 s4, s4, 4
	ds_load_b32 v107, v107
	v_cmp_eq_u32_e32 vcc_lo, 0, v105
	s_or_b32 s0, vcc_lo, s0
	s_wait_loadcnt_dscnt 0x0
	v_fmac_f32_e32 v104, v106, v107
	s_and_not1_b32 exec_lo, exec_lo, s0
	s_cbranch_execnz .LBB113_483
; %bb.484:
	s_or_b32 exec_lo, exec_lo, s0
.LBB113_485:
	s_delay_alu instid0(SALU_CYCLE_1)
	s_or_b32 exec_lo, exec_lo, s5
	v_mov_b32_e32 v105, 0
	ds_load_b32 v105, v105
	s_wait_dscnt 0x0
	v_mul_f32_e32 v104, v104, v105
	scratch_store_b32 off, v104, off
.LBB113_486:
	s_wait_xcnt 0x0
	s_or_b32 exec_lo, exec_lo, s1
.LBB113_487:
	v_lshl_add_u64 v[150:151], v[8:9], 2, s[6:7]
	v_lshl_add_u64 v[148:149], v[10:11], 2, s[6:7]
	;; [unrolled: 1-line block ×48, first 2 shown]
	s_and_b32 vcc_lo, exec_lo, s2
	s_cbranch_vccz .LBB113_969
; %bb.488:
	scratch_load_b32 v56, off, off offset:4
	v_cmp_eq_u32_e64 s0, 0, v0
	s_wait_loadcnt 0x0
	ds_store_b32 v1, v56
	s_wait_storecnt_dscnt 0x0
	s_barrier_signal -1
	s_barrier_wait -1
	s_wait_xcnt 0x0
	s_and_saveexec_b32 s1, s0
	s_cbranch_execz .LBB113_494
; %bb.489:
	s_and_b32 vcc_lo, exec_lo, s3
	s_cbranch_vccz .LBB113_491
; %bb.490:
	scratch_load_b32 v56, v7, off
	ds_load_b32 v57, v1
	s_wait_loadcnt_dscnt 0x0
	v_mul_f32_e32 v56, v56, v57
	s_cbranch_execz .LBB113_492
	s_branch .LBB113_493
.LBB113_491:
                                        ; implicit-def: $vgpr56
.LBB113_492:
	ds_load_b32 v56, v1
.LBB113_493:
	v_mov_b32_e32 v57, 0
	ds_load_b32 v57, v57 offset:4
	s_wait_dscnt 0x0
	v_mul_f32_e32 v56, v56, v57
	scratch_store_b32 off, v56, off offset:4
.LBB113_494:
	s_wait_xcnt 0x0
	s_or_b32 exec_lo, exec_lo, s1
	scratch_load_b32 v57, off, off offset:8
	v_cndmask_b32_e64 v56, 0, 1, s3
	s_mov_b32 s1, exec_lo
	s_wait_loadcnt 0x0
	ds_store_b32 v1, v57
	s_wait_storecnt_dscnt 0x0
	s_barrier_signal -1
	s_barrier_wait -1
	s_wait_xcnt 0x0
	v_cmpx_gt_u32_e32 2, v0
	s_cbranch_execz .LBB113_500
; %bb.495:
	s_and_not1_b32 vcc_lo, exec_lo, s3
	s_cbranch_vccnz .LBB113_497
; %bb.496:
	scratch_load_b32 v57, v7, off
	ds_load_b32 v58, v1
	s_wait_loadcnt_dscnt 0x0
	v_mul_f32_e32 v57, v57, v58
	s_cbranch_execz .LBB113_498
	s_branch .LBB113_499
.LBB113_497:
                                        ; implicit-def: $vgpr57
.LBB113_498:
	ds_load_b32 v57, v1
.LBB113_499:
	scratch_load_b32 v60, off, off offset:4
	v_mov_b32_e32 v58, 0
	ds_load_2addr_b32 v[58:59], v58 offset0:2 offset1:53
	s_wait_loadcnt_dscnt 0x0
	v_fma_f32 v59, v60, v59, v57
	s_delay_alu instid0(VALU_DEP_1) | instskip(NEXT) | instid1(VALU_DEP_1)
	v_cndmask_b32_e64 v57, v57, v59, s0
	v_mul_f32_e32 v57, v57, v58
	scratch_store_b32 off, v57, off offset:8
.LBB113_500:
	s_wait_xcnt 0x0
	s_or_b32 exec_lo, exec_lo, s1
	scratch_load_b32 v57, off, off offset:12
	s_mov_b32 s1, exec_lo
	s_wait_loadcnt 0x0
	ds_store_b32 v1, v57
	s_wait_storecnt_dscnt 0x0
	s_barrier_signal -1
	s_barrier_wait -1
	s_wait_xcnt 0x0
	v_cmpx_gt_u32_e32 3, v0
	s_cbranch_execz .LBB113_508
; %bb.501:
	v_cmp_ne_u32_e32 vcc_lo, 1, v56
	s_cbranch_vccnz .LBB113_503
; %bb.502:
	scratch_load_b32 v57, v7, off
	ds_load_b32 v58, v1
	s_wait_loadcnt_dscnt 0x0
	v_mul_f32_e32 v57, v57, v58
	s_cbranch_execz .LBB113_504
	s_branch .LBB113_505
.LBB113_503:
                                        ; implicit-def: $vgpr57
.LBB113_504:
	ds_load_b32 v57, v1
.LBB113_505:
	s_mov_b32 s2, exec_lo
	v_cmpx_ne_u32_e32 2, v0
	s_cbranch_execz .LBB113_507
; %bb.506:
	scratch_load_b32 v58, v7, off offset:4
	scratch_load_b32 v59, off, off offset:8
	ds_load_b32 v60, v1 offset:4
	v_mov_b32_e32 v61, 0
	ds_load_b32 v61, v61 offset:216
	s_wait_loadcnt_dscnt 0x101
	v_fmac_f32_e32 v57, v58, v60
	s_wait_loadcnt_dscnt 0x0
	s_delay_alu instid0(VALU_DEP_1) | instskip(NEXT) | instid1(VALU_DEP_1)
	v_fma_f32 v58, v59, v61, v57
	v_cndmask_b32_e64 v57, v57, v58, s0
.LBB113_507:
	s_or_b32 exec_lo, exec_lo, s2
	v_mov_b32_e32 v58, 0
	ds_load_b32 v58, v58 offset:12
	s_wait_dscnt 0x0
	v_mul_f32_e32 v57, v57, v58
	scratch_store_b32 off, v57, off offset:12
.LBB113_508:
	s_wait_xcnt 0x0
	s_or_b32 exec_lo, exec_lo, s1
	scratch_load_b32 v57, off, off offset:16
	s_mov_b32 s0, exec_lo
	s_wait_loadcnt 0x0
	ds_store_b32 v1, v57
	s_wait_storecnt_dscnt 0x0
	s_barrier_signal -1
	s_barrier_wait -1
	s_wait_xcnt 0x0
	v_cmpx_gt_u32_e32 4, v0
	s_cbranch_execz .LBB113_518
; %bb.509:
	v_cmp_ne_u32_e32 vcc_lo, 1, v56
	s_cbranch_vccnz .LBB113_511
; %bb.510:
	scratch_load_b32 v57, v7, off
	ds_load_b32 v58, v1
	s_wait_loadcnt_dscnt 0x0
	v_mul_f32_e32 v57, v57, v58
	s_cbranch_execz .LBB113_512
	s_branch .LBB113_513
.LBB113_511:
                                        ; implicit-def: $vgpr57
.LBB113_512:
	ds_load_b32 v57, v1
.LBB113_513:
	s_mov_b32 s1, exec_lo
	v_cmpx_ne_u32_e32 3, v0
	s_cbranch_execz .LBB113_517
; %bb.514:
	v_add_nc_u32_e32 v58, 0xd4, v6
	v_add3_u32 v59, 0, v6, 4
	v_mov_b32_e32 v60, v0
	s_mov_b32 s2, 0
.LBB113_515:                            ; =>This Inner Loop Header: Depth=1
	scratch_load_b32 v61, v59, off
	ds_load_b32 v62, v58
	v_dual_add_nc_u32 v60, 1, v60 :: v_dual_add_nc_u32 v58, 4, v58
	s_wait_xcnt 0x0
	v_add_nc_u32_e32 v59, 4, v59
	s_delay_alu instid0(VALU_DEP_2)
	v_cmp_lt_u32_e32 vcc_lo, 2, v60
	s_or_b32 s2, vcc_lo, s2
	s_wait_loadcnt_dscnt 0x0
	v_fmac_f32_e32 v57, v61, v62
	s_and_not1_b32 exec_lo, exec_lo, s2
	s_cbranch_execnz .LBB113_515
; %bb.516:
	s_or_b32 exec_lo, exec_lo, s2
.LBB113_517:
	s_delay_alu instid0(SALU_CYCLE_1)
	s_or_b32 exec_lo, exec_lo, s1
	v_mov_b32_e32 v58, 0
	ds_load_b32 v58, v58 offset:16
	s_wait_dscnt 0x0
	v_mul_f32_e32 v57, v57, v58
	scratch_store_b32 off, v57, off offset:16
.LBB113_518:
	s_wait_xcnt 0x0
	s_or_b32 exec_lo, exec_lo, s0
	scratch_load_b32 v57, off, off offset:20
	s_mov_b32 s0, exec_lo
	s_wait_loadcnt 0x0
	ds_store_b32 v1, v57
	s_wait_storecnt_dscnt 0x0
	s_barrier_signal -1
	s_barrier_wait -1
	s_wait_xcnt 0x0
	v_cmpx_gt_u32_e32 5, v0
	s_cbranch_execz .LBB113_528
; %bb.519:
	v_cmp_ne_u32_e32 vcc_lo, 1, v56
	s_cbranch_vccnz .LBB113_521
; %bb.520:
	scratch_load_b32 v57, v7, off
	ds_load_b32 v58, v1
	s_wait_loadcnt_dscnt 0x0
	v_mul_f32_e32 v57, v57, v58
	s_cbranch_execz .LBB113_522
	s_branch .LBB113_523
.LBB113_521:
                                        ; implicit-def: $vgpr57
.LBB113_522:
	ds_load_b32 v57, v1
.LBB113_523:
	s_mov_b32 s1, exec_lo
	v_cmpx_ne_u32_e32 4, v0
	s_cbranch_execz .LBB113_527
; %bb.524:
	v_add_nc_u32_e32 v58, 0xd4, v6
	v_add3_u32 v59, 0, v6, 4
	v_mov_b32_e32 v60, v0
	s_mov_b32 s2, 0
.LBB113_525:                            ; =>This Inner Loop Header: Depth=1
	scratch_load_b32 v61, v59, off
	ds_load_b32 v62, v58
	v_dual_add_nc_u32 v60, 1, v60 :: v_dual_add_nc_u32 v58, 4, v58
	s_wait_xcnt 0x0
	v_add_nc_u32_e32 v59, 4, v59
	s_delay_alu instid0(VALU_DEP_2)
	v_cmp_lt_u32_e32 vcc_lo, 3, v60
	s_or_b32 s2, vcc_lo, s2
	s_wait_loadcnt_dscnt 0x0
	v_fmac_f32_e32 v57, v61, v62
	s_and_not1_b32 exec_lo, exec_lo, s2
	s_cbranch_execnz .LBB113_525
; %bb.526:
	s_or_b32 exec_lo, exec_lo, s2
.LBB113_527:
	s_delay_alu instid0(SALU_CYCLE_1)
	s_or_b32 exec_lo, exec_lo, s1
	v_mov_b32_e32 v58, 0
	ds_load_b32 v58, v58 offset:20
	s_wait_dscnt 0x0
	v_mul_f32_e32 v57, v57, v58
	scratch_store_b32 off, v57, off offset:20
.LBB113_528:
	;; [unrolled: 59-line block ×44, first 2 shown]
	s_wait_xcnt 0x0
	s_or_b32 exec_lo, exec_lo, s0
	scratch_load_b32 v57, off, off offset:192
	v_cmp_gt_u32_e64 s0, 48, v0
	s_wait_loadcnt 0x0
	ds_store_b32 v1, v57
	s_wait_storecnt_dscnt 0x0
	s_barrier_signal -1
	s_barrier_wait -1
	s_wait_xcnt 0x0
	s_and_saveexec_b32 s1, s0
	s_cbranch_execz .LBB113_958
; %bb.949:
	v_cmp_ne_u32_e32 vcc_lo, 1, v56
	s_cbranch_vccnz .LBB113_951
; %bb.950:
	scratch_load_b32 v57, v7, off
	ds_load_b32 v58, v1
	s_wait_loadcnt_dscnt 0x0
	v_mul_f32_e32 v57, v57, v58
	s_cbranch_execz .LBB113_952
	s_branch .LBB113_953
.LBB113_951:
                                        ; implicit-def: $vgpr57
.LBB113_952:
	ds_load_b32 v57, v1
.LBB113_953:
	s_mov_b32 s2, exec_lo
	v_cmpx_ne_u32_e32 47, v0
	s_cbranch_execz .LBB113_957
; %bb.954:
	v_add_nc_u32_e32 v58, 0xd4, v6
	v_add3_u32 v59, 0, v6, 4
	v_mov_b32_e32 v60, v0
	s_mov_b32 s3, 0
.LBB113_955:                            ; =>This Inner Loop Header: Depth=1
	scratch_load_b32 v61, v59, off
	ds_load_b32 v62, v58
	v_dual_add_nc_u32 v60, 1, v60 :: v_dual_add_nc_u32 v58, 4, v58
	s_wait_xcnt 0x0
	v_add_nc_u32_e32 v59, 4, v59
	s_delay_alu instid0(VALU_DEP_2)
	v_cmp_lt_u32_e32 vcc_lo, 46, v60
	s_or_b32 s3, vcc_lo, s3
	s_wait_loadcnt_dscnt 0x0
	v_fmac_f32_e32 v57, v61, v62
	s_and_not1_b32 exec_lo, exec_lo, s3
	s_cbranch_execnz .LBB113_955
; %bb.956:
	s_or_b32 exec_lo, exec_lo, s3
.LBB113_957:
	s_delay_alu instid0(SALU_CYCLE_1)
	s_or_b32 exec_lo, exec_lo, s2
	v_mov_b32_e32 v58, 0
	ds_load_b32 v58, v58 offset:192
	s_wait_dscnt 0x0
	v_mul_f32_e32 v57, v57, v58
	scratch_store_b32 off, v57, off offset:192
.LBB113_958:
	s_wait_xcnt 0x0
	s_or_b32 exec_lo, exec_lo, s1
	scratch_load_b32 v57, off, off offset:196
	s_mov_b32 s1, exec_lo
	s_wait_loadcnt 0x0
	ds_store_b32 v1, v57
	s_wait_storecnt_dscnt 0x0
	s_barrier_signal -1
	s_barrier_wait -1
	s_wait_xcnt 0x0
	v_cmpx_ne_u32_e32 49, v0
	s_cbranch_execz .LBB113_968
; %bb.959:
	v_cmp_ne_u32_e32 vcc_lo, 1, v56
	s_cbranch_vccnz .LBB113_961
; %bb.960:
	scratch_load_b32 v7, v7, off
	ds_load_b32 v56, v1
	s_wait_loadcnt_dscnt 0x0
	v_mul_f32_e32 v7, v7, v56
	s_cbranch_execz .LBB113_962
	s_branch .LBB113_963
.LBB113_961:
                                        ; implicit-def: $vgpr7
.LBB113_962:
	ds_load_b32 v7, v1
.LBB113_963:
	s_and_saveexec_b32 s2, s0
	s_cbranch_execz .LBB113_967
; %bb.964:
	v_add_nc_u32_e32 v1, 0xd4, v6
	v_add3_u32 v6, 0, v6, 4
	s_mov_b32 s0, 0
.LBB113_965:                            ; =>This Inner Loop Header: Depth=1
	scratch_load_b32 v56, v6, off
	ds_load_b32 v57, v1
	v_dual_add_nc_u32 v0, 1, v0 :: v_dual_add_nc_u32 v1, 4, v1
	s_wait_xcnt 0x0
	v_add_nc_u32_e32 v6, 4, v6
	s_delay_alu instid0(VALU_DEP_2)
	v_cmp_lt_u32_e32 vcc_lo, 47, v0
	s_or_b32 s0, vcc_lo, s0
	s_wait_loadcnt_dscnt 0x0
	v_fmac_f32_e32 v7, v56, v57
	s_and_not1_b32 exec_lo, exec_lo, s0
	s_cbranch_execnz .LBB113_965
; %bb.966:
	s_or_b32 exec_lo, exec_lo, s0
.LBB113_967:
	s_delay_alu instid0(SALU_CYCLE_1)
	s_or_b32 exec_lo, exec_lo, s2
	v_mov_b32_e32 v0, 0
	ds_load_b32 v0, v0 offset:196
	s_wait_dscnt 0x0
	v_mul_f32_e32 v0, v7, v0
	scratch_store_b32 off, v0, off offset:196
.LBB113_968:
	s_wait_xcnt 0x0
	s_or_b32 exec_lo, exec_lo, s1
.LBB113_969:
	scratch_load_b32 v0, off, off
	s_wait_loadcnt 0x0
	flat_store_b32 v[2:3], v0
	scratch_load_b32 v0, off, off offset:4
	s_wait_loadcnt 0x0
	flat_store_b32 v[4:5], v0
	scratch_load_b32 v0, off, off offset:8
	;; [unrolled: 3-line block ×49, first 2 shown]
	s_wait_loadcnt 0x0
	flat_store_b32 v[8:9], v0
.LBB113_970:
	s_sendmsg sendmsg(MSG_DEALLOC_VGPRS)
	s_endpgm
	.section	.rodata,"a",@progbits
	.p2align	6, 0x0
	.amdhsa_kernel _ZN9rocsolver6v33100L18trti2_kernel_smallILi50EfPKPfEEv13rocblas_fill_17rocblas_diagonal_T1_iil
		.amdhsa_group_segment_fixed_size 408
		.amdhsa_private_segment_fixed_size 208
		.amdhsa_kernarg_size 32
		.amdhsa_user_sgpr_count 2
		.amdhsa_user_sgpr_dispatch_ptr 0
		.amdhsa_user_sgpr_queue_ptr 0
		.amdhsa_user_sgpr_kernarg_segment_ptr 1
		.amdhsa_user_sgpr_dispatch_id 0
		.amdhsa_user_sgpr_kernarg_preload_length 0
		.amdhsa_user_sgpr_kernarg_preload_offset 0
		.amdhsa_user_sgpr_private_segment_size 0
		.amdhsa_wavefront_size32 1
		.amdhsa_uses_dynamic_stack 0
		.amdhsa_enable_private_segment 1
		.amdhsa_system_sgpr_workgroup_id_x 1
		.amdhsa_system_sgpr_workgroup_id_y 0
		.amdhsa_system_sgpr_workgroup_id_z 0
		.amdhsa_system_sgpr_workgroup_info 0
		.amdhsa_system_vgpr_workitem_id 0
		.amdhsa_next_free_vgpr 152
		.amdhsa_next_free_sgpr 56
		.amdhsa_named_barrier_count 0
		.amdhsa_reserve_vcc 1
		.amdhsa_float_round_mode_32 0
		.amdhsa_float_round_mode_16_64 0
		.amdhsa_float_denorm_mode_32 3
		.amdhsa_float_denorm_mode_16_64 3
		.amdhsa_fp16_overflow 0
		.amdhsa_memory_ordered 1
		.amdhsa_forward_progress 1
		.amdhsa_inst_pref_size 226
		.amdhsa_round_robin_scheduling 0
		.amdhsa_exception_fp_ieee_invalid_op 0
		.amdhsa_exception_fp_denorm_src 0
		.amdhsa_exception_fp_ieee_div_zero 0
		.amdhsa_exception_fp_ieee_overflow 0
		.amdhsa_exception_fp_ieee_underflow 0
		.amdhsa_exception_fp_ieee_inexact 0
		.amdhsa_exception_int_div_zero 0
	.end_amdhsa_kernel
	.section	.text._ZN9rocsolver6v33100L18trti2_kernel_smallILi50EfPKPfEEv13rocblas_fill_17rocblas_diagonal_T1_iil,"axG",@progbits,_ZN9rocsolver6v33100L18trti2_kernel_smallILi50EfPKPfEEv13rocblas_fill_17rocblas_diagonal_T1_iil,comdat
.Lfunc_end113:
	.size	_ZN9rocsolver6v33100L18trti2_kernel_smallILi50EfPKPfEEv13rocblas_fill_17rocblas_diagonal_T1_iil, .Lfunc_end113-_ZN9rocsolver6v33100L18trti2_kernel_smallILi50EfPKPfEEv13rocblas_fill_17rocblas_diagonal_T1_iil
                                        ; -- End function
	.set _ZN9rocsolver6v33100L18trti2_kernel_smallILi50EfPKPfEEv13rocblas_fill_17rocblas_diagonal_T1_iil.num_vgpr, 152
	.set _ZN9rocsolver6v33100L18trti2_kernel_smallILi50EfPKPfEEv13rocblas_fill_17rocblas_diagonal_T1_iil.num_agpr, 0
	.set _ZN9rocsolver6v33100L18trti2_kernel_smallILi50EfPKPfEEv13rocblas_fill_17rocblas_diagonal_T1_iil.numbered_sgpr, 56
	.set _ZN9rocsolver6v33100L18trti2_kernel_smallILi50EfPKPfEEv13rocblas_fill_17rocblas_diagonal_T1_iil.num_named_barrier, 0
	.set _ZN9rocsolver6v33100L18trti2_kernel_smallILi50EfPKPfEEv13rocblas_fill_17rocblas_diagonal_T1_iil.private_seg_size, 208
	.set _ZN9rocsolver6v33100L18trti2_kernel_smallILi50EfPKPfEEv13rocblas_fill_17rocblas_diagonal_T1_iil.uses_vcc, 1
	.set _ZN9rocsolver6v33100L18trti2_kernel_smallILi50EfPKPfEEv13rocblas_fill_17rocblas_diagonal_T1_iil.uses_flat_scratch, 0
	.set _ZN9rocsolver6v33100L18trti2_kernel_smallILi50EfPKPfEEv13rocblas_fill_17rocblas_diagonal_T1_iil.has_dyn_sized_stack, 0
	.set _ZN9rocsolver6v33100L18trti2_kernel_smallILi50EfPKPfEEv13rocblas_fill_17rocblas_diagonal_T1_iil.has_recursion, 0
	.set _ZN9rocsolver6v33100L18trti2_kernel_smallILi50EfPKPfEEv13rocblas_fill_17rocblas_diagonal_T1_iil.has_indirect_call, 0
	.section	.AMDGPU.csdata,"",@progbits
; Kernel info:
; codeLenInByte = 28864
; TotalNumSgprs: 58
; NumVgprs: 152
; ScratchSize: 208
; MemoryBound: 0
; FloatMode: 240
; IeeeMode: 1
; LDSByteSize: 408 bytes/workgroup (compile time only)
; SGPRBlocks: 0
; VGPRBlocks: 9
; NumSGPRsForWavesPerEU: 58
; NumVGPRsForWavesPerEU: 152
; NamedBarCnt: 0
; Occupancy: 6
; WaveLimiterHint : 1
; COMPUTE_PGM_RSRC2:SCRATCH_EN: 1
; COMPUTE_PGM_RSRC2:USER_SGPR: 2
; COMPUTE_PGM_RSRC2:TRAP_HANDLER: 0
; COMPUTE_PGM_RSRC2:TGID_X_EN: 1
; COMPUTE_PGM_RSRC2:TGID_Y_EN: 0
; COMPUTE_PGM_RSRC2:TGID_Z_EN: 0
; COMPUTE_PGM_RSRC2:TIDIG_COMP_CNT: 0
	.section	.text._ZN9rocsolver6v33100L18trti2_kernel_smallILi51EfPKPfEEv13rocblas_fill_17rocblas_diagonal_T1_iil,"axG",@progbits,_ZN9rocsolver6v33100L18trti2_kernel_smallILi51EfPKPfEEv13rocblas_fill_17rocblas_diagonal_T1_iil,comdat
	.globl	_ZN9rocsolver6v33100L18trti2_kernel_smallILi51EfPKPfEEv13rocblas_fill_17rocblas_diagonal_T1_iil ; -- Begin function _ZN9rocsolver6v33100L18trti2_kernel_smallILi51EfPKPfEEv13rocblas_fill_17rocblas_diagonal_T1_iil
	.p2align	8
	.type	_ZN9rocsolver6v33100L18trti2_kernel_smallILi51EfPKPfEEv13rocblas_fill_17rocblas_diagonal_T1_iil,@function
_ZN9rocsolver6v33100L18trti2_kernel_smallILi51EfPKPfEEv13rocblas_fill_17rocblas_diagonal_T1_iil: ; @_ZN9rocsolver6v33100L18trti2_kernel_smallILi51EfPKPfEEv13rocblas_fill_17rocblas_diagonal_T1_iil
; %bb.0:
	s_mov_b32 s2, exec_lo
	v_cmpx_gt_u32_e32 51, v0
	s_cbranch_execz .LBB114_990
; %bb.1:
	s_clause 0x1
	s_load_b64 s[8:9], s[0:1], 0x10
	s_load_b128 s[4:7], s[0:1], 0x0
	s_wait_xcnt 0x0
	s_bfe_u32 s0, ttmp6, 0x4000c
	s_and_b32 s1, ttmp6, 15
	s_add_co_i32 s0, s0, 1
	s_getreg_b32 s2, hwreg(HW_REG_IB_STS2, 6, 4)
	s_mul_i32 s0, ttmp9, s0
	v_dual_mov_b32 v7, 0 :: v_dual_lshlrev_b32 v6, 2, v0
	s_add_co_i32 s0, s1, s0
	v_mov_b32_e32 v106, -1.0
	s_wait_kmcnt 0x0
	s_ashr_i32 s1, s8, 31
	s_cmp_eq_u32 s2, 0
	v_add3_u32 v8, s9, s9, v0
	s_cselect_b32 s2, ttmp9, s0
	s_mov_b32 s0, s8
	s_ashr_i32 s3, s2, 31
	s_lshl_b64 s[0:1], s[0:1], 2
	s_lshl_b64 s[2:3], s[2:3], 3
	v_add_nc_u32_e32 v10, s9, v8
	s_add_nc_u64 s[2:3], s[6:7], s[2:3]
	s_load_b64 s[2:3], s[2:3], 0x0
	s_delay_alu instid0(VALU_DEP_1) | instskip(NEXT) | instid1(VALU_DEP_1)
	v_add_nc_u32_e32 v12, s9, v10
	v_add_nc_u32_e32 v14, s9, v12
	s_delay_alu instid0(VALU_DEP_1) | instskip(NEXT) | instid1(VALU_DEP_1)
	v_dual_add_nc_u32 v16, s9, v14 :: v_dual_ashrrev_i32 v9, 31, v8
	v_dual_ashrrev_i32 v11, 31, v10 :: v_dual_add_nc_u32 v18, s9, v16
	v_ashrrev_i32_e32 v17, 31, v16
	s_wait_kmcnt 0x0
	s_add_nc_u64 s[2:3], s[2:3], s[0:1]
	s_mov_b32 s0, s9
	flat_load_b32 v1, v0, s[2:3] scale_offset
	v_add_nc_u64_e32 v[2:3], s[2:3], v[6:7]
	s_ashr_i32 s1, s9, 31
	v_dual_add_nc_u32 v20, s9, v18 :: v_dual_ashrrev_i32 v13, 31, v12
	v_ashrrev_i32_e32 v15, 31, v14
	v_ashrrev_i32_e32 v19, 31, v18
	s_cmp_lg_u32 s5, 0x84
	s_delay_alu instid0(VALU_DEP_4) | instskip(SKIP_4) | instid1(VALU_DEP_1)
	v_lshl_add_u64 v[4:5], s[0:1], 2, v[2:3]
	v_add_nc_u32_e32 v22, s9, v20
	s_cselect_b32 s6, -1, 0
	s_cmp_eq_u32 s5, 0x84
	s_movk_i32 s1, 0x84
	v_add_nc_u32_e32 v24, s9, v22
	s_delay_alu instid0(VALU_DEP_1) | instskip(NEXT) | instid1(VALU_DEP_1)
	v_add_nc_u32_e32 v26, s9, v24
	v_dual_add_nc_u32 v28, s9, v26 :: v_dual_ashrrev_i32 v21, 31, v20
	s_delay_alu instid0(VALU_DEP_1) | instskip(NEXT) | instid1(VALU_DEP_1)
	v_dual_ashrrev_i32 v23, 31, v22 :: v_dual_add_nc_u32 v30, s9, v28
	v_dual_ashrrev_i32 v29, 31, v28 :: v_dual_ashrrev_i32 v31, 31, v30
	v_dual_add_nc_u32 v32, s9, v30 :: v_dual_ashrrev_i32 v25, 31, v24
	s_delay_alu instid0(VALU_DEP_1) | instskip(NEXT) | instid1(VALU_DEP_1)
	v_dual_ashrrev_i32 v27, 31, v26 :: v_dual_add_nc_u32 v34, s9, v32
	v_add_nc_u32_e32 v36, s9, v34
	s_delay_alu instid0(VALU_DEP_1) | instskip(NEXT) | instid1(VALU_DEP_1)
	v_add_nc_u32_e32 v38, s9, v36
	v_dual_add_nc_u32 v40, s9, v38 :: v_dual_ashrrev_i32 v33, 31, v32
	s_delay_alu instid0(VALU_DEP_1) | instskip(NEXT) | instid1(VALU_DEP_1)
	v_dual_ashrrev_i32 v35, 31, v34 :: v_dual_add_nc_u32 v42, s9, v40
	v_dual_ashrrev_i32 v41, 31, v40 :: v_dual_ashrrev_i32 v43, 31, v42
	v_dual_add_nc_u32 v44, s9, v42 :: v_dual_ashrrev_i32 v37, 31, v36
	s_delay_alu instid0(VALU_DEP_1) | instskip(NEXT) | instid1(VALU_DEP_1)
	v_dual_ashrrev_i32 v39, 31, v38 :: v_dual_add_nc_u32 v46, s9, v44
	;; [unrolled: 10-line block ×6, first 2 shown]
	v_add_nc_u32_e32 v96, s9, v94
	s_delay_alu instid0(VALU_DEP_1) | instskip(NEXT) | instid1(VALU_DEP_1)
	v_add_nc_u32_e32 v98, s9, v96
	v_dual_add_nc_u32 v100, s9, v98 :: v_dual_ashrrev_i32 v93, 31, v92
	s_delay_alu instid0(VALU_DEP_1) | instskip(NEXT) | instid1(VALU_DEP_1)
	v_dual_ashrrev_i32 v95, 31, v94 :: v_dual_add_nc_u32 v102, s9, v100
	v_dual_ashrrev_i32 v101, 31, v100 :: v_dual_ashrrev_i32 v103, 31, v102
	v_dual_add_nc_u32 v104, s9, v102 :: v_dual_ashrrev_i32 v97, 31, v96
	s_delay_alu instid0(VALU_DEP_1)
	v_dual_ashrrev_i32 v99, 31, v98 :: v_dual_ashrrev_i32 v105, 31, v104
	s_wait_loadcnt_dscnt 0x0
	scratch_store_b32 off, v1, off
	flat_load_b32 v1, v[4:5]
	s_wait_loadcnt_dscnt 0x0
	scratch_store_b32 off, v1, off offset:4
	flat_load_b32 v1, v8, s[2:3] scale_offset
	s_wait_loadcnt_dscnt 0x0
	scratch_store_b32 off, v1, off offset:8
	flat_load_b32 v1, v10, s[2:3] scale_offset
	;; [unrolled: 3-line block ×49, first 2 shown]
	s_wait_loadcnt_dscnt 0x0
	scratch_store_b32 off, v1, off offset:200
	s_cbranch_scc1 .LBB114_3
; %bb.2:
	scratch_load_b32 v1, v0, off scale_offset
	s_wait_loadcnt 0x0
	v_div_scale_f32 v7, null, v1, v1, 1.0
	s_delay_alu instid0(VALU_DEP_1) | instskip(SKIP_1) | instid1(TRANS32_DEP_1)
	v_rcp_f32_e32 v106, v7
	v_nop
	v_fma_f32 v107, -v7, v106, 1.0
	s_delay_alu instid0(VALU_DEP_1) | instskip(SKIP_1) | instid1(VALU_DEP_1)
	v_fmac_f32_e32 v106, v107, v106
	v_div_scale_f32 v107, vcc_lo, 1.0, v1, 1.0
	v_mul_f32_e32 v108, v107, v106
	s_delay_alu instid0(VALU_DEP_1) | instskip(NEXT) | instid1(VALU_DEP_1)
	v_fma_f32 v109, -v7, v108, v107
	v_fmac_f32_e32 v108, v109, v106
	s_delay_alu instid0(VALU_DEP_1) | instskip(NEXT) | instid1(VALU_DEP_1)
	v_fma_f32 v7, -v7, v108, v107
	v_div_fmas_f32 v7, v7, v106, v108
	s_delay_alu instid0(VALU_DEP_1) | instskip(NEXT) | instid1(VALU_DEP_1)
	v_div_fixup_f32 v1, v7, v1, 1.0
	v_xor_b32_e32 v106, 0x80000000, v1
	scratch_store_b32 v0, v1, off scale_offset
.LBB114_3:
	s_wait_xcnt 0x0
	v_add_nc_u32_e32 v1, 0xd0, v6
	v_mov_b32_e32 v7, v6
	s_cmp_eq_u32 s4, 0x79
	s_mov_b32 s5, -1
	ds_store_b32 v6, v106
	s_cbranch_scc1 .LBB114_497
; %bb.4:
	scratch_load_b32 v106, off, off offset:196
	v_cmp_eq_u32_e64 s0, 50, v0
	s_movk_i32 s21, 0x44
	s_movk_i32 s22, 0x48
	;; [unrolled: 1-line block ×31, first 2 shown]
	s_wait_loadcnt 0x0
	ds_store_b32 v1, v106
	s_wait_storecnt_dscnt 0x0
	s_barrier_signal -1
	s_barrier_wait -1
	s_wait_xcnt 0x0
	s_and_saveexec_b32 s4, s0
	s_cbranch_execz .LBB114_10
; %bb.5:
	s_and_b32 vcc_lo, exec_lo, s6
	s_cbranch_vccz .LBB114_7
; %bb.6:
	scratch_load_b32 v106, v7, off
	ds_load_b32 v107, v1
	s_wait_loadcnt_dscnt 0x0
	v_mul_f32_e32 v106, v106, v107
	s_cbranch_execz .LBB114_8
	s_branch .LBB114_9
.LBB114_7:
                                        ; implicit-def: $vgpr106
	s_and_not1_b32 vcc_lo, exec_lo, s5
	s_cbranch_vccnz .LBB114_9
.LBB114_8:
	ds_load_b32 v106, v1
.LBB114_9:
	v_mov_b32_e32 v107, 0
	ds_load_b32 v107, v107 offset:196
	s_wait_dscnt 0x0
	v_mul_f32_e32 v106, v106, v107
	scratch_store_b32 off, v106, off offset:196
.LBB114_10:
	s_wait_xcnt 0x0
	s_or_b32 exec_lo, exec_lo, s4
	scratch_load_b32 v106, off, off offset:192
	s_mov_b32 s38, s1
	v_cmp_lt_u32_e64 s1, 48, v0
	s_or_b32 s4, 0, 4
	s_or_b32 s5, 0, 8
	;; [unrolled: 1-line block ×3, first 2 shown]
	s_mov_b32 s8, 16
	s_mov_b32 s9, 20
	;; [unrolled: 1-line block ×13, first 2 shown]
	s_wait_loadcnt 0x0
	ds_store_b32 v1, v106
	s_wait_storecnt_dscnt 0x0
	s_barrier_signal -1
	s_barrier_wait -1
	s_wait_xcnt 0x0
	s_and_saveexec_b32 s54, s1
	s_cbranch_execz .LBB114_16
; %bb.11:
	s_and_not1_b32 vcc_lo, exec_lo, s6
	s_cbranch_vccnz .LBB114_13
; %bb.12:
	scratch_load_b32 v106, v7, off
	ds_load_b32 v107, v1
	s_wait_loadcnt_dscnt 0x0
	v_mul_f32_e32 v106, v106, v107
	s_cbranch_execz .LBB114_14
	s_branch .LBB114_15
.LBB114_13:
                                        ; implicit-def: $vgpr106
.LBB114_14:
	ds_load_b32 v106, v1
.LBB114_15:
	scratch_load_b32 v107, off, off offset:196
	v_mov_b32_e32 v108, 0
	ds_load_2addr_b32 v[108:109], v108 offset0:48 offset1:101
	s_wait_loadcnt_dscnt 0x0
	v_fma_f32 v107, v107, v109, v106
	s_delay_alu instid0(VALU_DEP_1) | instskip(NEXT) | instid1(VALU_DEP_1)
	v_cndmask_b32_e64 v106, v106, v107, s0
	v_mul_f32_e32 v106, v106, v108
	scratch_store_b32 off, v106, off offset:192
.LBB114_16:
	s_wait_xcnt 0x0
	s_or_b32 exec_lo, exec_lo, s54
	scratch_load_b32 v106, off, off offset:188
	v_cmp_lt_u32_e64 s0, 47, v0
	s_wait_loadcnt 0x0
	ds_store_b32 v1, v106
	s_wait_storecnt_dscnt 0x0
	s_barrier_signal -1
	s_barrier_wait -1
	s_wait_xcnt 0x0
	s_and_saveexec_b32 s54, s0
	s_cbranch_execz .LBB114_26
; %bb.17:
	s_and_not1_b32 vcc_lo, exec_lo, s6
	s_cbranch_vccnz .LBB114_19
; %bb.18:
	scratch_load_b32 v106, v7, off
	ds_load_b32 v107, v1
	s_wait_loadcnt_dscnt 0x0
	v_mul_f32_e32 v106, v106, v107
	s_cbranch_execz .LBB114_20
	s_branch .LBB114_21
.LBB114_19:
                                        ; implicit-def: $vgpr106
.LBB114_20:
	ds_load_b32 v106, v1
.LBB114_21:
	s_and_saveexec_b32 s55, s1
	s_cbranch_execz .LBB114_25
; %bb.22:
	v_subrev_nc_u32_e32 v107, 48, v0
	s_movk_i32 s56, 0x190
	s_mov_b32 s1, 0
.LBB114_23:                             ; =>This Inner Loop Header: Depth=1
	scratch_load_b32 v108, off, s53
	v_dual_mov_b32 v109, s56 :: v_dual_add_nc_u32 v107, -1, v107
	s_add_co_i32 s56, s56, 4
	s_wait_xcnt 0x0
	s_add_co_i32 s53, s53, 4
	ds_load_b32 v109, v109
	v_cmp_eq_u32_e32 vcc_lo, 0, v107
	s_or_b32 s1, vcc_lo, s1
	s_wait_loadcnt_dscnt 0x0
	v_fmac_f32_e32 v106, v108, v109
	s_and_not1_b32 exec_lo, exec_lo, s1
	s_cbranch_execnz .LBB114_23
; %bb.24:
	s_or_b32 exec_lo, exec_lo, s1
.LBB114_25:
	s_delay_alu instid0(SALU_CYCLE_1)
	s_or_b32 exec_lo, exec_lo, s55
	v_mov_b32_e32 v107, 0
	ds_load_b32 v107, v107 offset:188
	s_wait_dscnt 0x0
	v_mul_f32_e32 v106, v106, v107
	scratch_store_b32 off, v106, off offset:188
.LBB114_26:
	s_wait_xcnt 0x0
	s_or_b32 exec_lo, exec_lo, s54
	scratch_load_b32 v106, off, off offset:184
	v_cmp_lt_u32_e64 s1, 46, v0
	s_wait_loadcnt 0x0
	ds_store_b32 v1, v106
	s_wait_storecnt_dscnt 0x0
	s_barrier_signal -1
	s_barrier_wait -1
	s_wait_xcnt 0x0
	s_and_saveexec_b32 s53, s1
	s_cbranch_execz .LBB114_36
; %bb.27:
	s_and_not1_b32 vcc_lo, exec_lo, s6
	s_cbranch_vccnz .LBB114_29
; %bb.28:
	scratch_load_b32 v106, v7, off
	ds_load_b32 v107, v1
	s_wait_loadcnt_dscnt 0x0
	v_mul_f32_e32 v106, v106, v107
	s_cbranch_execz .LBB114_30
	s_branch .LBB114_31
.LBB114_29:
                                        ; implicit-def: $vgpr106
.LBB114_30:
	ds_load_b32 v106, v1
.LBB114_31:
	s_and_saveexec_b32 s54, s0
	s_cbranch_execz .LBB114_35
; %bb.32:
	v_subrev_nc_u32_e32 v107, 47, v0
	s_movk_i32 s55, 0x18c
	s_mov_b32 s0, 0
.LBB114_33:                             ; =>This Inner Loop Header: Depth=1
	scratch_load_b32 v108, off, s52
	v_dual_mov_b32 v109, s55 :: v_dual_add_nc_u32 v107, -1, v107
	s_add_co_i32 s55, s55, 4
	s_wait_xcnt 0x0
	s_add_co_i32 s52, s52, 4
	ds_load_b32 v109, v109
	v_cmp_eq_u32_e32 vcc_lo, 0, v107
	s_or_b32 s0, vcc_lo, s0
	s_wait_loadcnt_dscnt 0x0
	v_fmac_f32_e32 v106, v108, v109
	s_and_not1_b32 exec_lo, exec_lo, s0
	s_cbranch_execnz .LBB114_33
; %bb.34:
	s_or_b32 exec_lo, exec_lo, s0
.LBB114_35:
	s_delay_alu instid0(SALU_CYCLE_1)
	s_or_b32 exec_lo, exec_lo, s54
	v_mov_b32_e32 v107, 0
	ds_load_b32 v107, v107 offset:184
	s_wait_dscnt 0x0
	v_mul_f32_e32 v106, v106, v107
	scratch_store_b32 off, v106, off offset:184
.LBB114_36:
	;; [unrolled: 57-line block ×8, first 2 shown]
	s_wait_xcnt 0x0
	s_or_b32 exec_lo, exec_lo, s47
	scratch_load_b32 v106, off, off offset:156
	v_cmp_lt_u32_e64 s0, 39, v0
	s_wait_loadcnt 0x0
	ds_store_b32 v1, v106
	s_wait_storecnt_dscnt 0x0
	s_barrier_signal -1
	s_barrier_wait -1
	s_wait_xcnt 0x0
	s_and_saveexec_b32 s46, s0
	s_cbranch_execz .LBB114_106
; %bb.97:
	s_and_not1_b32 vcc_lo, exec_lo, s6
	s_cbranch_vccnz .LBB114_99
; %bb.98:
	scratch_load_b32 v106, v7, off
	ds_load_b32 v107, v1
	s_wait_loadcnt_dscnt 0x0
	v_mul_f32_e32 v106, v106, v107
	s_cbranch_execz .LBB114_100
	s_branch .LBB114_101
.LBB114_99:
                                        ; implicit-def: $vgpr106
.LBB114_100:
	ds_load_b32 v106, v1
.LBB114_101:
	s_and_saveexec_b32 s47, s1
	s_cbranch_execz .LBB114_105
; %bb.102:
	v_subrev_nc_u32_e32 v107, 40, v0
	s_movk_i32 s48, 0x170
	s_mov_b32 s1, 0
.LBB114_103:                            ; =>This Inner Loop Header: Depth=1
	scratch_load_b32 v108, off, s45
	v_dual_mov_b32 v109, s48 :: v_dual_add_nc_u32 v107, -1, v107
	s_add_co_i32 s48, s48, 4
	s_wait_xcnt 0x0
	s_add_co_i32 s45, s45, 4
	ds_load_b32 v109, v109
	v_cmp_eq_u32_e32 vcc_lo, 0, v107
	s_or_b32 s1, vcc_lo, s1
	s_wait_loadcnt_dscnt 0x0
	v_fmac_f32_e32 v106, v108, v109
	s_and_not1_b32 exec_lo, exec_lo, s1
	s_cbranch_execnz .LBB114_103
; %bb.104:
	s_or_b32 exec_lo, exec_lo, s1
.LBB114_105:
	s_delay_alu instid0(SALU_CYCLE_1)
	s_or_b32 exec_lo, exec_lo, s47
	v_mov_b32_e32 v107, 0
	ds_load_b32 v107, v107 offset:156
	s_wait_dscnt 0x0
	v_mul_f32_e32 v106, v106, v107
	scratch_store_b32 off, v106, off offset:156
.LBB114_106:
	s_wait_xcnt 0x0
	s_or_b32 exec_lo, exec_lo, s46
	scratch_load_b32 v106, off, off offset:152
	v_cmp_lt_u32_e64 s1, 38, v0
	s_wait_loadcnt 0x0
	ds_store_b32 v1, v106
	s_wait_storecnt_dscnt 0x0
	s_barrier_signal -1
	s_barrier_wait -1
	s_wait_xcnt 0x0
	s_and_saveexec_b32 s45, s1
	s_cbranch_execz .LBB114_116
; %bb.107:
	s_and_not1_b32 vcc_lo, exec_lo, s6
	s_cbranch_vccnz .LBB114_109
; %bb.108:
	scratch_load_b32 v106, v7, off
	ds_load_b32 v107, v1
	s_wait_loadcnt_dscnt 0x0
	v_mul_f32_e32 v106, v106, v107
	s_cbranch_execz .LBB114_110
	s_branch .LBB114_111
.LBB114_109:
                                        ; implicit-def: $vgpr106
.LBB114_110:
	ds_load_b32 v106, v1
.LBB114_111:
	s_and_saveexec_b32 s46, s0
	s_cbranch_execz .LBB114_115
; %bb.112:
	v_subrev_nc_u32_e32 v107, 39, v0
	s_movk_i32 s47, 0x16c
	s_mov_b32 s0, 0
.LBB114_113:                            ; =>This Inner Loop Header: Depth=1
	scratch_load_b32 v108, off, s44
	v_dual_mov_b32 v109, s47 :: v_dual_add_nc_u32 v107, -1, v107
	s_add_co_i32 s47, s47, 4
	s_wait_xcnt 0x0
	s_add_co_i32 s44, s44, 4
	ds_load_b32 v109, v109
	v_cmp_eq_u32_e32 vcc_lo, 0, v107
	s_or_b32 s0, vcc_lo, s0
	s_wait_loadcnt_dscnt 0x0
	v_fmac_f32_e32 v106, v108, v109
	s_and_not1_b32 exec_lo, exec_lo, s0
	s_cbranch_execnz .LBB114_113
; %bb.114:
	s_or_b32 exec_lo, exec_lo, s0
.LBB114_115:
	s_delay_alu instid0(SALU_CYCLE_1)
	s_or_b32 exec_lo, exec_lo, s46
	v_mov_b32_e32 v107, 0
	ds_load_b32 v107, v107 offset:152
	s_wait_dscnt 0x0
	v_mul_f32_e32 v106, v106, v107
	scratch_store_b32 off, v106, off offset:152
.LBB114_116:
	;; [unrolled: 57-line block ×24, first 2 shown]
	s_wait_xcnt 0x0
	s_or_b32 exec_lo, exec_lo, s22
	scratch_load_b32 v106, off, off offset:60
	v_cmp_lt_u32_e64 s0, 15, v0
	s_wait_loadcnt 0x0
	ds_store_b32 v1, v106
	s_wait_storecnt_dscnt 0x0
	s_barrier_signal -1
	s_barrier_wait -1
	s_wait_xcnt 0x0
	s_and_saveexec_b32 s21, s0
	s_cbranch_execz .LBB114_346
; %bb.337:
	s_and_not1_b32 vcc_lo, exec_lo, s6
	s_cbranch_vccnz .LBB114_339
; %bb.338:
	scratch_load_b32 v106, v7, off
	ds_load_b32 v107, v1
	s_wait_loadcnt_dscnt 0x0
	v_mul_f32_e32 v106, v106, v107
	s_cbranch_execz .LBB114_340
	s_branch .LBB114_341
.LBB114_339:
                                        ; implicit-def: $vgpr106
.LBB114_340:
	ds_load_b32 v106, v1
.LBB114_341:
	s_and_saveexec_b32 s22, s1
	s_cbranch_execz .LBB114_345
; %bb.342:
	v_add_nc_u32_e32 v107, -16, v0
	s_movk_i32 s23, 0x110
	s_mov_b32 s1, 0
.LBB114_343:                            ; =>This Inner Loop Header: Depth=1
	scratch_load_b32 v108, off, s20
	v_dual_mov_b32 v109, s23 :: v_dual_add_nc_u32 v107, -1, v107
	s_add_co_i32 s23, s23, 4
	s_wait_xcnt 0x0
	s_add_co_i32 s20, s20, 4
	ds_load_b32 v109, v109
	v_cmp_eq_u32_e32 vcc_lo, 0, v107
	s_or_b32 s1, vcc_lo, s1
	s_wait_loadcnt_dscnt 0x0
	v_fmac_f32_e32 v106, v108, v109
	s_and_not1_b32 exec_lo, exec_lo, s1
	s_cbranch_execnz .LBB114_343
; %bb.344:
	s_or_b32 exec_lo, exec_lo, s1
.LBB114_345:
	s_delay_alu instid0(SALU_CYCLE_1)
	s_or_b32 exec_lo, exec_lo, s22
	v_mov_b32_e32 v107, 0
	ds_load_b32 v107, v107 offset:60
	s_wait_dscnt 0x0
	v_mul_f32_e32 v106, v106, v107
	scratch_store_b32 off, v106, off offset:60
.LBB114_346:
	s_wait_xcnt 0x0
	s_or_b32 exec_lo, exec_lo, s21
	scratch_load_b32 v106, off, off offset:56
	v_cmp_lt_u32_e64 s1, 14, v0
	s_wait_loadcnt 0x0
	ds_store_b32 v1, v106
	s_wait_storecnt_dscnt 0x0
	s_barrier_signal -1
	s_barrier_wait -1
	s_wait_xcnt 0x0
	s_and_saveexec_b32 s20, s1
	s_cbranch_execz .LBB114_356
; %bb.347:
	s_and_not1_b32 vcc_lo, exec_lo, s6
	s_cbranch_vccnz .LBB114_349
; %bb.348:
	scratch_load_b32 v106, v7, off
	ds_load_b32 v107, v1
	s_wait_loadcnt_dscnt 0x0
	v_mul_f32_e32 v106, v106, v107
	s_cbranch_execz .LBB114_350
	s_branch .LBB114_351
.LBB114_349:
                                        ; implicit-def: $vgpr106
.LBB114_350:
	ds_load_b32 v106, v1
.LBB114_351:
	s_and_saveexec_b32 s21, s0
	s_cbranch_execz .LBB114_355
; %bb.352:
	v_add_nc_u32_e32 v107, -15, v0
	s_movk_i32 s22, 0x10c
	s_mov_b32 s0, 0
.LBB114_353:                            ; =>This Inner Loop Header: Depth=1
	scratch_load_b32 v108, off, s19
	v_dual_mov_b32 v109, s22 :: v_dual_add_nc_u32 v107, -1, v107
	s_add_co_i32 s22, s22, 4
	s_wait_xcnt 0x0
	s_add_co_i32 s19, s19, 4
	ds_load_b32 v109, v109
	v_cmp_eq_u32_e32 vcc_lo, 0, v107
	s_or_b32 s0, vcc_lo, s0
	s_wait_loadcnt_dscnt 0x0
	v_fmac_f32_e32 v106, v108, v109
	s_and_not1_b32 exec_lo, exec_lo, s0
	s_cbranch_execnz .LBB114_353
; %bb.354:
	s_or_b32 exec_lo, exec_lo, s0
.LBB114_355:
	s_delay_alu instid0(SALU_CYCLE_1)
	s_or_b32 exec_lo, exec_lo, s21
	v_mov_b32_e32 v107, 0
	ds_load_b32 v107, v107 offset:56
	s_wait_dscnt 0x0
	v_mul_f32_e32 v106, v106, v107
	scratch_store_b32 off, v106, off offset:56
.LBB114_356:
	;; [unrolled: 57-line block ×15, first 2 shown]
	s_wait_xcnt 0x0
	s_or_b32 exec_lo, exec_lo, s7
	scratch_load_b32 v106, off, off
	s_mov_b32 s5, 0
	s_mov_b32 s1, exec_lo
	s_wait_loadcnt 0x0
	ds_store_b32 v1, v106
	s_wait_storecnt_dscnt 0x0
	s_barrier_signal -1
	s_barrier_wait -1
	s_wait_xcnt 0x0
	v_cmpx_ne_u32_e32 0, v0
	s_cbranch_execz .LBB114_496
; %bb.487:
	s_and_not1_b32 vcc_lo, exec_lo, s6
	s_cbranch_vccnz .LBB114_489
; %bb.488:
	scratch_load_b32 v106, v7, off
	ds_load_b32 v107, v1
	s_wait_loadcnt_dscnt 0x0
	v_mul_f32_e32 v106, v106, v107
	s_cbranch_execz .LBB114_490
	s_branch .LBB114_491
.LBB114_489:
                                        ; implicit-def: $vgpr106
.LBB114_490:
	ds_load_b32 v106, v1
.LBB114_491:
	s_and_saveexec_b32 s7, s0
	s_cbranch_execz .LBB114_495
; %bb.492:
	v_add_nc_u32_e32 v107, -1, v0
	s_movk_i32 s8, 0xd4
	s_mov_b32 s0, 0
.LBB114_493:                            ; =>This Inner Loop Header: Depth=1
	scratch_load_b32 v108, off, s4
	v_dual_mov_b32 v109, s8 :: v_dual_add_nc_u32 v107, -1, v107
	s_add_co_i32 s8, s8, 4
	s_wait_xcnt 0x0
	s_add_co_i32 s4, s4, 4
	ds_load_b32 v109, v109
	v_cmp_eq_u32_e32 vcc_lo, 0, v107
	s_or_b32 s0, vcc_lo, s0
	s_wait_loadcnt_dscnt 0x0
	v_fmac_f32_e32 v106, v108, v109
	s_and_not1_b32 exec_lo, exec_lo, s0
	s_cbranch_execnz .LBB114_493
; %bb.494:
	s_or_b32 exec_lo, exec_lo, s0
.LBB114_495:
	s_delay_alu instid0(SALU_CYCLE_1)
	s_or_b32 exec_lo, exec_lo, s7
	v_mov_b32_e32 v107, 0
	ds_load_b32 v107, v107
	s_wait_dscnt 0x0
	v_mul_f32_e32 v106, v106, v107
	scratch_store_b32 off, v106, off
.LBB114_496:
	s_wait_xcnt 0x0
	s_or_b32 exec_lo, exec_lo, s1
.LBB114_497:
	v_lshl_add_u64 v[152:153], v[8:9], 2, s[2:3]
	v_lshl_add_u64 v[150:151], v[10:11], 2, s[2:3]
	;; [unrolled: 1-line block ×49, first 2 shown]
	s_and_b32 vcc_lo, exec_lo, s5
	s_cbranch_vccz .LBB114_989
; %bb.498:
	scratch_load_b32 v58, off, off offset:4
	v_cmp_eq_u32_e64 s0, 0, v0
	s_wait_loadcnt 0x0
	ds_store_b32 v1, v58
	s_wait_storecnt_dscnt 0x0
	s_barrier_signal -1
	s_barrier_wait -1
	s_wait_xcnt 0x0
	s_and_saveexec_b32 s1, s0
	s_cbranch_execz .LBB114_504
; %bb.499:
	s_and_b32 vcc_lo, exec_lo, s6
	s_cbranch_vccz .LBB114_501
; %bb.500:
	scratch_load_b32 v58, v7, off
	ds_load_b32 v59, v1
	s_wait_loadcnt_dscnt 0x0
	v_mul_f32_e32 v58, v58, v59
	s_cbranch_execz .LBB114_502
	s_branch .LBB114_503
.LBB114_501:
                                        ; implicit-def: $vgpr58
.LBB114_502:
	ds_load_b32 v58, v1
.LBB114_503:
	v_mov_b32_e32 v59, 0
	ds_load_b32 v59, v59 offset:4
	s_wait_dscnt 0x0
	v_mul_f32_e32 v58, v58, v59
	scratch_store_b32 off, v58, off offset:4
.LBB114_504:
	s_wait_xcnt 0x0
	s_or_b32 exec_lo, exec_lo, s1
	scratch_load_b32 v59, off, off offset:8
	v_cndmask_b32_e64 v58, 0, 1, s6
	s_mov_b32 s1, exec_lo
	s_wait_loadcnt 0x0
	ds_store_b32 v1, v59
	s_wait_storecnt_dscnt 0x0
	s_barrier_signal -1
	s_barrier_wait -1
	s_wait_xcnt 0x0
	v_cmpx_gt_u32_e32 2, v0
	s_cbranch_execz .LBB114_510
; %bb.505:
	s_and_not1_b32 vcc_lo, exec_lo, s6
	s_cbranch_vccnz .LBB114_507
; %bb.506:
	scratch_load_b32 v59, v7, off
	ds_load_b32 v60, v1
	s_wait_loadcnt_dscnt 0x0
	v_mul_f32_e32 v59, v59, v60
	s_cbranch_execz .LBB114_508
	s_branch .LBB114_509
.LBB114_507:
                                        ; implicit-def: $vgpr59
.LBB114_508:
	ds_load_b32 v59, v1
.LBB114_509:
	scratch_load_b32 v62, off, off offset:4
	v_mov_b32_e32 v60, 0
	ds_load_2addr_b32 v[60:61], v60 offset0:2 offset1:53
	s_wait_loadcnt_dscnt 0x0
	v_fma_f32 v61, v62, v61, v59
	s_delay_alu instid0(VALU_DEP_1) | instskip(NEXT) | instid1(VALU_DEP_1)
	v_cndmask_b32_e64 v59, v59, v61, s0
	v_mul_f32_e32 v59, v59, v60
	scratch_store_b32 off, v59, off offset:8
.LBB114_510:
	s_wait_xcnt 0x0
	s_or_b32 exec_lo, exec_lo, s1
	scratch_load_b32 v59, off, off offset:12
	s_mov_b32 s1, exec_lo
	s_wait_loadcnt 0x0
	ds_store_b32 v1, v59
	s_wait_storecnt_dscnt 0x0
	s_barrier_signal -1
	s_barrier_wait -1
	s_wait_xcnt 0x0
	v_cmpx_gt_u32_e32 3, v0
	s_cbranch_execz .LBB114_518
; %bb.511:
	v_cmp_ne_u32_e32 vcc_lo, 1, v58
	s_cbranch_vccnz .LBB114_513
; %bb.512:
	scratch_load_b32 v59, v7, off
	ds_load_b32 v60, v1
	s_wait_loadcnt_dscnt 0x0
	v_mul_f32_e32 v59, v59, v60
	s_cbranch_execz .LBB114_514
	s_branch .LBB114_515
.LBB114_513:
                                        ; implicit-def: $vgpr59
.LBB114_514:
	ds_load_b32 v59, v1
.LBB114_515:
	s_mov_b32 s2, exec_lo
	v_cmpx_ne_u32_e32 2, v0
	s_cbranch_execz .LBB114_517
; %bb.516:
	scratch_load_b32 v60, v7, off offset:4
	scratch_load_b32 v61, off, off offset:8
	ds_load_b32 v62, v1 offset:4
	v_mov_b32_e32 v63, 0
	ds_load_b32 v63, v63 offset:216
	s_wait_loadcnt_dscnt 0x101
	v_fmac_f32_e32 v59, v60, v62
	s_wait_loadcnt_dscnt 0x0
	s_delay_alu instid0(VALU_DEP_1) | instskip(NEXT) | instid1(VALU_DEP_1)
	v_fma_f32 v60, v61, v63, v59
	v_cndmask_b32_e64 v59, v59, v60, s0
.LBB114_517:
	s_or_b32 exec_lo, exec_lo, s2
	v_mov_b32_e32 v60, 0
	ds_load_b32 v60, v60 offset:12
	s_wait_dscnt 0x0
	v_mul_f32_e32 v59, v59, v60
	scratch_store_b32 off, v59, off offset:12
.LBB114_518:
	s_wait_xcnt 0x0
	s_or_b32 exec_lo, exec_lo, s1
	scratch_load_b32 v59, off, off offset:16
	s_mov_b32 s0, exec_lo
	s_wait_loadcnt 0x0
	ds_store_b32 v1, v59
	s_wait_storecnt_dscnt 0x0
	s_barrier_signal -1
	s_barrier_wait -1
	s_wait_xcnt 0x0
	v_cmpx_gt_u32_e32 4, v0
	s_cbranch_execz .LBB114_528
; %bb.519:
	v_cmp_ne_u32_e32 vcc_lo, 1, v58
	s_cbranch_vccnz .LBB114_521
; %bb.520:
	scratch_load_b32 v59, v7, off
	ds_load_b32 v60, v1
	s_wait_loadcnt_dscnt 0x0
	v_mul_f32_e32 v59, v59, v60
	s_cbranch_execz .LBB114_522
	s_branch .LBB114_523
.LBB114_521:
                                        ; implicit-def: $vgpr59
.LBB114_522:
	ds_load_b32 v59, v1
.LBB114_523:
	s_mov_b32 s1, exec_lo
	v_cmpx_ne_u32_e32 3, v0
	s_cbranch_execz .LBB114_527
; %bb.524:
	v_add_nc_u32_e32 v60, 0xd4, v6
	v_add3_u32 v61, 0, v6, 4
	v_mov_b32_e32 v62, v0
	s_mov_b32 s2, 0
.LBB114_525:                            ; =>This Inner Loop Header: Depth=1
	scratch_load_b32 v63, v61, off
	ds_load_b32 v64, v60
	v_dual_add_nc_u32 v62, 1, v62 :: v_dual_add_nc_u32 v60, 4, v60
	s_wait_xcnt 0x0
	v_add_nc_u32_e32 v61, 4, v61
	s_delay_alu instid0(VALU_DEP_2)
	v_cmp_lt_u32_e32 vcc_lo, 2, v62
	s_or_b32 s2, vcc_lo, s2
	s_wait_loadcnt_dscnt 0x0
	v_fmac_f32_e32 v59, v63, v64
	s_and_not1_b32 exec_lo, exec_lo, s2
	s_cbranch_execnz .LBB114_525
; %bb.526:
	s_or_b32 exec_lo, exec_lo, s2
.LBB114_527:
	s_delay_alu instid0(SALU_CYCLE_1)
	s_or_b32 exec_lo, exec_lo, s1
	v_mov_b32_e32 v60, 0
	ds_load_b32 v60, v60 offset:16
	s_wait_dscnt 0x0
	v_mul_f32_e32 v59, v59, v60
	scratch_store_b32 off, v59, off offset:16
.LBB114_528:
	s_wait_xcnt 0x0
	s_or_b32 exec_lo, exec_lo, s0
	scratch_load_b32 v59, off, off offset:20
	s_mov_b32 s0, exec_lo
	s_wait_loadcnt 0x0
	ds_store_b32 v1, v59
	s_wait_storecnt_dscnt 0x0
	s_barrier_signal -1
	s_barrier_wait -1
	s_wait_xcnt 0x0
	v_cmpx_gt_u32_e32 5, v0
	s_cbranch_execz .LBB114_538
; %bb.529:
	v_cmp_ne_u32_e32 vcc_lo, 1, v58
	s_cbranch_vccnz .LBB114_531
; %bb.530:
	scratch_load_b32 v59, v7, off
	ds_load_b32 v60, v1
	s_wait_loadcnt_dscnt 0x0
	v_mul_f32_e32 v59, v59, v60
	s_cbranch_execz .LBB114_532
	s_branch .LBB114_533
.LBB114_531:
                                        ; implicit-def: $vgpr59
.LBB114_532:
	ds_load_b32 v59, v1
.LBB114_533:
	s_mov_b32 s1, exec_lo
	v_cmpx_ne_u32_e32 4, v0
	s_cbranch_execz .LBB114_537
; %bb.534:
	v_add_nc_u32_e32 v60, 0xd4, v6
	v_add3_u32 v61, 0, v6, 4
	v_mov_b32_e32 v62, v0
	s_mov_b32 s2, 0
.LBB114_535:                            ; =>This Inner Loop Header: Depth=1
	scratch_load_b32 v63, v61, off
	ds_load_b32 v64, v60
	v_dual_add_nc_u32 v62, 1, v62 :: v_dual_add_nc_u32 v60, 4, v60
	s_wait_xcnt 0x0
	v_add_nc_u32_e32 v61, 4, v61
	s_delay_alu instid0(VALU_DEP_2)
	v_cmp_lt_u32_e32 vcc_lo, 3, v62
	s_or_b32 s2, vcc_lo, s2
	s_wait_loadcnt_dscnt 0x0
	v_fmac_f32_e32 v59, v63, v64
	s_and_not1_b32 exec_lo, exec_lo, s2
	s_cbranch_execnz .LBB114_535
; %bb.536:
	s_or_b32 exec_lo, exec_lo, s2
.LBB114_537:
	s_delay_alu instid0(SALU_CYCLE_1)
	s_or_b32 exec_lo, exec_lo, s1
	v_mov_b32_e32 v60, 0
	ds_load_b32 v60, v60 offset:20
	s_wait_dscnt 0x0
	v_mul_f32_e32 v59, v59, v60
	scratch_store_b32 off, v59, off offset:20
.LBB114_538:
	;; [unrolled: 59-line block ×45, first 2 shown]
	s_wait_xcnt 0x0
	s_or_b32 exec_lo, exec_lo, s0
	scratch_load_b32 v59, off, off offset:196
	v_cmp_gt_u32_e64 s0, 49, v0
	s_wait_loadcnt 0x0
	ds_store_b32 v1, v59
	s_wait_storecnt_dscnt 0x0
	s_barrier_signal -1
	s_barrier_wait -1
	s_wait_xcnt 0x0
	s_and_saveexec_b32 s1, s0
	s_cbranch_execz .LBB114_978
; %bb.969:
	v_cmp_ne_u32_e32 vcc_lo, 1, v58
	s_cbranch_vccnz .LBB114_971
; %bb.970:
	scratch_load_b32 v59, v7, off
	ds_load_b32 v60, v1
	s_wait_loadcnt_dscnt 0x0
	v_mul_f32_e32 v59, v59, v60
	s_cbranch_execz .LBB114_972
	s_branch .LBB114_973
.LBB114_971:
                                        ; implicit-def: $vgpr59
.LBB114_972:
	ds_load_b32 v59, v1
.LBB114_973:
	s_mov_b32 s2, exec_lo
	v_cmpx_ne_u32_e32 48, v0
	s_cbranch_execz .LBB114_977
; %bb.974:
	v_add_nc_u32_e32 v60, 0xd4, v6
	v_add3_u32 v61, 0, v6, 4
	v_mov_b32_e32 v62, v0
	s_mov_b32 s3, 0
.LBB114_975:                            ; =>This Inner Loop Header: Depth=1
	scratch_load_b32 v63, v61, off
	ds_load_b32 v64, v60
	v_dual_add_nc_u32 v62, 1, v62 :: v_dual_add_nc_u32 v60, 4, v60
	s_wait_xcnt 0x0
	v_add_nc_u32_e32 v61, 4, v61
	s_delay_alu instid0(VALU_DEP_2)
	v_cmp_lt_u32_e32 vcc_lo, 47, v62
	s_or_b32 s3, vcc_lo, s3
	s_wait_loadcnt_dscnt 0x0
	v_fmac_f32_e32 v59, v63, v64
	s_and_not1_b32 exec_lo, exec_lo, s3
	s_cbranch_execnz .LBB114_975
; %bb.976:
	s_or_b32 exec_lo, exec_lo, s3
.LBB114_977:
	s_delay_alu instid0(SALU_CYCLE_1)
	s_or_b32 exec_lo, exec_lo, s2
	v_mov_b32_e32 v60, 0
	ds_load_b32 v60, v60 offset:196
	s_wait_dscnt 0x0
	v_mul_f32_e32 v59, v59, v60
	scratch_store_b32 off, v59, off offset:196
.LBB114_978:
	s_wait_xcnt 0x0
	s_or_b32 exec_lo, exec_lo, s1
	scratch_load_b32 v59, off, off offset:200
	s_mov_b32 s1, exec_lo
	s_wait_loadcnt 0x0
	ds_store_b32 v1, v59
	s_wait_storecnt_dscnt 0x0
	s_barrier_signal -1
	s_barrier_wait -1
	s_wait_xcnt 0x0
	v_cmpx_ne_u32_e32 50, v0
	s_cbranch_execz .LBB114_988
; %bb.979:
	v_cmp_ne_u32_e32 vcc_lo, 1, v58
	s_cbranch_vccnz .LBB114_981
; %bb.980:
	scratch_load_b32 v7, v7, off
	ds_load_b32 v58, v1
	s_wait_loadcnt_dscnt 0x0
	v_mul_f32_e32 v7, v7, v58
	s_cbranch_execz .LBB114_982
	s_branch .LBB114_983
.LBB114_981:
                                        ; implicit-def: $vgpr7
.LBB114_982:
	ds_load_b32 v7, v1
.LBB114_983:
	s_and_saveexec_b32 s2, s0
	s_cbranch_execz .LBB114_987
; %bb.984:
	v_add_nc_u32_e32 v1, 0xd4, v6
	v_add3_u32 v6, 0, v6, 4
	s_mov_b32 s0, 0
.LBB114_985:                            ; =>This Inner Loop Header: Depth=1
	scratch_load_b32 v58, v6, off
	ds_load_b32 v59, v1
	v_dual_add_nc_u32 v0, 1, v0 :: v_dual_add_nc_u32 v1, 4, v1
	s_wait_xcnt 0x0
	v_add_nc_u32_e32 v6, 4, v6
	s_delay_alu instid0(VALU_DEP_2)
	v_cmp_lt_u32_e32 vcc_lo, 48, v0
	s_or_b32 s0, vcc_lo, s0
	s_wait_loadcnt_dscnt 0x0
	v_fmac_f32_e32 v7, v58, v59
	s_and_not1_b32 exec_lo, exec_lo, s0
	s_cbranch_execnz .LBB114_985
; %bb.986:
	s_or_b32 exec_lo, exec_lo, s0
.LBB114_987:
	s_delay_alu instid0(SALU_CYCLE_1)
	s_or_b32 exec_lo, exec_lo, s2
	v_mov_b32_e32 v0, 0
	ds_load_b32 v0, v0 offset:200
	s_wait_dscnt 0x0
	v_mul_f32_e32 v0, v7, v0
	scratch_store_b32 off, v0, off offset:200
.LBB114_988:
	s_wait_xcnt 0x0
	s_or_b32 exec_lo, exec_lo, s1
.LBB114_989:
	scratch_load_b32 v0, off, off
	s_wait_loadcnt 0x0
	flat_store_b32 v[2:3], v0
	scratch_load_b32 v0, off, off offset:4
	s_wait_loadcnt 0x0
	flat_store_b32 v[4:5], v0
	scratch_load_b32 v0, off, off offset:8
	;; [unrolled: 3-line block ×50, first 2 shown]
	s_wait_loadcnt 0x0
	flat_store_b32 v[8:9], v0
.LBB114_990:
	s_sendmsg sendmsg(MSG_DEALLOC_VGPRS)
	s_endpgm
	.section	.rodata,"a",@progbits
	.p2align	6, 0x0
	.amdhsa_kernel _ZN9rocsolver6v33100L18trti2_kernel_smallILi51EfPKPfEEv13rocblas_fill_17rocblas_diagonal_T1_iil
		.amdhsa_group_segment_fixed_size 412
		.amdhsa_private_segment_fixed_size 208
		.amdhsa_kernarg_size 32
		.amdhsa_user_sgpr_count 2
		.amdhsa_user_sgpr_dispatch_ptr 0
		.amdhsa_user_sgpr_queue_ptr 0
		.amdhsa_user_sgpr_kernarg_segment_ptr 1
		.amdhsa_user_sgpr_dispatch_id 0
		.amdhsa_user_sgpr_kernarg_preload_length 0
		.amdhsa_user_sgpr_kernarg_preload_offset 0
		.amdhsa_user_sgpr_private_segment_size 0
		.amdhsa_wavefront_size32 1
		.amdhsa_uses_dynamic_stack 0
		.amdhsa_enable_private_segment 1
		.amdhsa_system_sgpr_workgroup_id_x 1
		.amdhsa_system_sgpr_workgroup_id_y 0
		.amdhsa_system_sgpr_workgroup_id_z 0
		.amdhsa_system_sgpr_workgroup_info 0
		.amdhsa_system_vgpr_workitem_id 0
		.amdhsa_next_free_vgpr 154
		.amdhsa_next_free_sgpr 57
		.amdhsa_named_barrier_count 0
		.amdhsa_reserve_vcc 1
		.amdhsa_float_round_mode_32 0
		.amdhsa_float_round_mode_16_64 0
		.amdhsa_float_denorm_mode_32 3
		.amdhsa_float_denorm_mode_16_64 3
		.amdhsa_fp16_overflow 0
		.amdhsa_memory_ordered 1
		.amdhsa_forward_progress 1
		.amdhsa_inst_pref_size 231
		.amdhsa_round_robin_scheduling 0
		.amdhsa_exception_fp_ieee_invalid_op 0
		.amdhsa_exception_fp_denorm_src 0
		.amdhsa_exception_fp_ieee_div_zero 0
		.amdhsa_exception_fp_ieee_overflow 0
		.amdhsa_exception_fp_ieee_underflow 0
		.amdhsa_exception_fp_ieee_inexact 0
		.amdhsa_exception_int_div_zero 0
	.end_amdhsa_kernel
	.section	.text._ZN9rocsolver6v33100L18trti2_kernel_smallILi51EfPKPfEEv13rocblas_fill_17rocblas_diagonal_T1_iil,"axG",@progbits,_ZN9rocsolver6v33100L18trti2_kernel_smallILi51EfPKPfEEv13rocblas_fill_17rocblas_diagonal_T1_iil,comdat
.Lfunc_end114:
	.size	_ZN9rocsolver6v33100L18trti2_kernel_smallILi51EfPKPfEEv13rocblas_fill_17rocblas_diagonal_T1_iil, .Lfunc_end114-_ZN9rocsolver6v33100L18trti2_kernel_smallILi51EfPKPfEEv13rocblas_fill_17rocblas_diagonal_T1_iil
                                        ; -- End function
	.set _ZN9rocsolver6v33100L18trti2_kernel_smallILi51EfPKPfEEv13rocblas_fill_17rocblas_diagonal_T1_iil.num_vgpr, 154
	.set _ZN9rocsolver6v33100L18trti2_kernel_smallILi51EfPKPfEEv13rocblas_fill_17rocblas_diagonal_T1_iil.num_agpr, 0
	.set _ZN9rocsolver6v33100L18trti2_kernel_smallILi51EfPKPfEEv13rocblas_fill_17rocblas_diagonal_T1_iil.numbered_sgpr, 57
	.set _ZN9rocsolver6v33100L18trti2_kernel_smallILi51EfPKPfEEv13rocblas_fill_17rocblas_diagonal_T1_iil.num_named_barrier, 0
	.set _ZN9rocsolver6v33100L18trti2_kernel_smallILi51EfPKPfEEv13rocblas_fill_17rocblas_diagonal_T1_iil.private_seg_size, 208
	.set _ZN9rocsolver6v33100L18trti2_kernel_smallILi51EfPKPfEEv13rocblas_fill_17rocblas_diagonal_T1_iil.uses_vcc, 1
	.set _ZN9rocsolver6v33100L18trti2_kernel_smallILi51EfPKPfEEv13rocblas_fill_17rocblas_diagonal_T1_iil.uses_flat_scratch, 0
	.set _ZN9rocsolver6v33100L18trti2_kernel_smallILi51EfPKPfEEv13rocblas_fill_17rocblas_diagonal_T1_iil.has_dyn_sized_stack, 0
	.set _ZN9rocsolver6v33100L18trti2_kernel_smallILi51EfPKPfEEv13rocblas_fill_17rocblas_diagonal_T1_iil.has_recursion, 0
	.set _ZN9rocsolver6v33100L18trti2_kernel_smallILi51EfPKPfEEv13rocblas_fill_17rocblas_diagonal_T1_iil.has_indirect_call, 0
	.section	.AMDGPU.csdata,"",@progbits
; Kernel info:
; codeLenInByte = 29472
; TotalNumSgprs: 59
; NumVgprs: 154
; ScratchSize: 208
; MemoryBound: 0
; FloatMode: 240
; IeeeMode: 1
; LDSByteSize: 412 bytes/workgroup (compile time only)
; SGPRBlocks: 0
; VGPRBlocks: 9
; NumSGPRsForWavesPerEU: 59
; NumVGPRsForWavesPerEU: 154
; NamedBarCnt: 0
; Occupancy: 6
; WaveLimiterHint : 1
; COMPUTE_PGM_RSRC2:SCRATCH_EN: 1
; COMPUTE_PGM_RSRC2:USER_SGPR: 2
; COMPUTE_PGM_RSRC2:TRAP_HANDLER: 0
; COMPUTE_PGM_RSRC2:TGID_X_EN: 1
; COMPUTE_PGM_RSRC2:TGID_Y_EN: 0
; COMPUTE_PGM_RSRC2:TGID_Z_EN: 0
; COMPUTE_PGM_RSRC2:TIDIG_COMP_CNT: 0
	.section	.text._ZN9rocsolver6v33100L18trti2_kernel_smallILi52EfPKPfEEv13rocblas_fill_17rocblas_diagonal_T1_iil,"axG",@progbits,_ZN9rocsolver6v33100L18trti2_kernel_smallILi52EfPKPfEEv13rocblas_fill_17rocblas_diagonal_T1_iil,comdat
	.globl	_ZN9rocsolver6v33100L18trti2_kernel_smallILi52EfPKPfEEv13rocblas_fill_17rocblas_diagonal_T1_iil ; -- Begin function _ZN9rocsolver6v33100L18trti2_kernel_smallILi52EfPKPfEEv13rocblas_fill_17rocblas_diagonal_T1_iil
	.p2align	8
	.type	_ZN9rocsolver6v33100L18trti2_kernel_smallILi52EfPKPfEEv13rocblas_fill_17rocblas_diagonal_T1_iil,@function
_ZN9rocsolver6v33100L18trti2_kernel_smallILi52EfPKPfEEv13rocblas_fill_17rocblas_diagonal_T1_iil: ; @_ZN9rocsolver6v33100L18trti2_kernel_smallILi52EfPKPfEEv13rocblas_fill_17rocblas_diagonal_T1_iil
; %bb.0:
	s_mov_b32 s2, exec_lo
	v_cmpx_gt_u32_e32 52, v0
	s_cbranch_execz .LBB115_1010
; %bb.1:
	s_clause 0x1
	s_load_b64 s[2:3], s[0:1], 0x10
	s_load_b128 s[4:7], s[0:1], 0x0
	s_wait_xcnt 0x0
	s_bfe_u32 s0, ttmp6, 0x4000c
	s_and_b32 s1, ttmp6, 15
	s_add_co_i32 s0, s0, 1
	s_getreg_b32 s8, hwreg(HW_REG_IB_STS2, 6, 4)
	s_mul_i32 s0, ttmp9, s0
	v_dual_mov_b32 v7, 0 :: v_dual_lshlrev_b32 v6, 2, v0
	s_add_co_i32 s0, s1, s0
	v_mov_b32_e32 v108, -1.0
	s_wait_kmcnt 0x0
	s_ashr_i32 s1, s2, 31
	s_cmp_eq_u32 s8, 0
	v_add3_u32 v8, s3, s3, v0
	s_cselect_b32 s8, ttmp9, s0
	s_mov_b32 s0, s2
	s_ashr_i32 s9, s8, 31
	s_lshl_b64 s[0:1], s[0:1], 2
	s_lshl_b64 s[8:9], s[8:9], 3
	v_add_nc_u32_e32 v10, s3, v8
	s_add_nc_u64 s[6:7], s[6:7], s[8:9]
	s_load_b64 s[6:7], s[6:7], 0x0
	s_delay_alu instid0(VALU_DEP_1) | instskip(NEXT) | instid1(VALU_DEP_1)
	v_add_nc_u32_e32 v12, s3, v10
	v_add_nc_u32_e32 v14, s3, v12
	s_delay_alu instid0(VALU_DEP_1) | instskip(NEXT) | instid1(VALU_DEP_1)
	v_add_nc_u32_e32 v16, s3, v14
	v_dual_ashrrev_i32 v11, 31, v10 :: v_dual_add_nc_u32 v18, s3, v16
	v_ashrrev_i32_e32 v13, 31, v12
	s_wait_kmcnt 0x0
	s_add_nc_u64 s[6:7], s[6:7], s[0:1]
	s_mov_b32 s0, s3
	flat_load_b32 v1, v0, s[6:7] scale_offset
	v_add_nc_u64_e32 v[2:3], s[6:7], v[6:7]
	s_ashr_i32 s1, s3, 31
	v_dual_add_nc_u32 v20, s3, v18 :: v_dual_ashrrev_i32 v9, 31, v8
	v_ashrrev_i32_e32 v15, 31, v14
	v_ashrrev_i32_e32 v19, 31, v18
	s_cmp_lg_u32 s5, 0x84
	s_delay_alu instid0(VALU_DEP_4) | instskip(SKIP_2) | instid1(VALU_DEP_1)
	v_lshl_add_u64 v[4:5], s[0:1], 2, v[2:3]
	v_add_nc_u32_e32 v22, s3, v20
	s_movk_i32 s1, 0x84
	v_add_nc_u32_e32 v24, s3, v22
	s_delay_alu instid0(VALU_DEP_1) | instskip(NEXT) | instid1(VALU_DEP_1)
	v_add_nc_u32_e32 v26, s3, v24
	v_dual_add_nc_u32 v28, s3, v26 :: v_dual_ashrrev_i32 v17, 31, v16
	s_delay_alu instid0(VALU_DEP_1) | instskip(NEXT) | instid1(VALU_DEP_1)
	v_dual_ashrrev_i32 v23, 31, v22 :: v_dual_add_nc_u32 v30, s3, v28
	v_dual_ashrrev_i32 v25, 31, v24 :: v_dual_ashrrev_i32 v31, 31, v30
	v_dual_add_nc_u32 v32, s3, v30 :: v_dual_ashrrev_i32 v21, 31, v20
	s_delay_alu instid0(VALU_DEP_1) | instskip(NEXT) | instid1(VALU_DEP_1)
	v_dual_ashrrev_i32 v27, 31, v26 :: v_dual_add_nc_u32 v34, s3, v32
	v_add_nc_u32_e32 v36, s3, v34
	s_delay_alu instid0(VALU_DEP_1) | instskip(NEXT) | instid1(VALU_DEP_1)
	v_add_nc_u32_e32 v38, s3, v36
	v_dual_add_nc_u32 v40, s3, v38 :: v_dual_ashrrev_i32 v29, 31, v28
	s_delay_alu instid0(VALU_DEP_1) | instskip(NEXT) | instid1(VALU_DEP_1)
	v_dual_ashrrev_i32 v35, 31, v34 :: v_dual_add_nc_u32 v42, s3, v40
	v_dual_ashrrev_i32 v37, 31, v36 :: v_dual_ashrrev_i32 v43, 31, v42
	v_dual_add_nc_u32 v44, s3, v42 :: v_dual_ashrrev_i32 v33, 31, v32
	s_delay_alu instid0(VALU_DEP_1) | instskip(NEXT) | instid1(VALU_DEP_1)
	v_dual_ashrrev_i32 v39, 31, v38 :: v_dual_add_nc_u32 v46, s3, v44
	;; [unrolled: 10-line block ×6, first 2 shown]
	v_add_nc_u32_e32 v96, s3, v94
	s_delay_alu instid0(VALU_DEP_1) | instskip(NEXT) | instid1(VALU_DEP_1)
	v_add_nc_u32_e32 v98, s3, v96
	v_dual_add_nc_u32 v100, s3, v98 :: v_dual_ashrrev_i32 v89, 31, v88
	s_delay_alu instid0(VALU_DEP_1) | instskip(NEXT) | instid1(VALU_DEP_1)
	v_dual_ashrrev_i32 v95, 31, v94 :: v_dual_add_nc_u32 v102, s3, v100
	v_dual_ashrrev_i32 v97, 31, v96 :: v_dual_ashrrev_i32 v103, 31, v102
	v_dual_add_nc_u32 v104, s3, v102 :: v_dual_ashrrev_i32 v93, 31, v92
	s_delay_alu instid0(VALU_DEP_1)
	v_dual_ashrrev_i32 v99, 31, v98 :: v_dual_add_nc_u32 v106, s3, v104
	v_ashrrev_i32_e32 v101, 31, v100
	v_ashrrev_i32_e32 v105, 31, v104
	s_cselect_b32 s3, -1, 0
	s_cmp_eq_u32 s5, 0x84
	v_ashrrev_i32_e32 v107, 31, v106
	s_wait_loadcnt_dscnt 0x0
	scratch_store_b32 off, v1, off
	flat_load_b32 v1, v[4:5]
	s_wait_loadcnt_dscnt 0x0
	scratch_store_b32 off, v1, off offset:4
	flat_load_b32 v1, v8, s[6:7] scale_offset
	s_wait_loadcnt_dscnt 0x0
	scratch_store_b32 off, v1, off offset:8
	flat_load_b32 v1, v10, s[6:7] scale_offset
	;; [unrolled: 3-line block ×50, first 2 shown]
	s_wait_loadcnt_dscnt 0x0
	scratch_store_b32 off, v1, off offset:204
	s_cbranch_scc1 .LBB115_3
; %bb.2:
	scratch_load_b32 v1, v0, off scale_offset
	s_wait_loadcnt 0x0
	v_div_scale_f32 v7, null, v1, v1, 1.0
	s_delay_alu instid0(VALU_DEP_1) | instskip(SKIP_1) | instid1(TRANS32_DEP_1)
	v_rcp_f32_e32 v108, v7
	v_nop
	v_fma_f32 v109, -v7, v108, 1.0
	s_delay_alu instid0(VALU_DEP_1) | instskip(SKIP_1) | instid1(VALU_DEP_1)
	v_fmac_f32_e32 v108, v109, v108
	v_div_scale_f32 v109, vcc_lo, 1.0, v1, 1.0
	v_mul_f32_e32 v110, v109, v108
	s_delay_alu instid0(VALU_DEP_1) | instskip(NEXT) | instid1(VALU_DEP_1)
	v_fma_f32 v111, -v7, v110, v109
	v_fmac_f32_e32 v110, v111, v108
	s_delay_alu instid0(VALU_DEP_1) | instskip(NEXT) | instid1(VALU_DEP_1)
	v_fma_f32 v7, -v7, v110, v109
	v_div_fmas_f32 v7, v7, v108, v110
	s_delay_alu instid0(VALU_DEP_1) | instskip(NEXT) | instid1(VALU_DEP_1)
	v_div_fixup_f32 v1, v7, v1, 1.0
	v_xor_b32_e32 v108, 0x80000000, v1
	scratch_store_b32 v0, v1, off scale_offset
.LBB115_3:
	s_wait_xcnt 0x0
	v_add_nc_u32_e32 v1, 0xd0, v6
	v_mov_b32_e32 v7, v6
	s_cmp_eq_u32 s4, 0x79
	s_mov_b32 s2, -1
	ds_store_b32 v6, v108
	s_cbranch_scc1 .LBB115_507
; %bb.4:
	scratch_load_b32 v108, off, off offset:200
	v_cmp_eq_u32_e64 s0, 51, v0
	s_movk_i32 s21, 0x44
	s_movk_i32 s22, 0x48
	;; [unrolled: 1-line block ×32, first 2 shown]
	s_wait_loadcnt 0x0
	ds_store_b32 v1, v108
	s_wait_storecnt_dscnt 0x0
	s_barrier_signal -1
	s_barrier_wait -1
	s_wait_xcnt 0x0
	s_and_saveexec_b32 s2, s0
	s_cbranch_execz .LBB115_10
; %bb.5:
	s_and_b32 vcc_lo, exec_lo, s3
	s_cbranch_vccz .LBB115_7
; %bb.6:
	scratch_load_b32 v108, v7, off
	ds_load_b32 v109, v1
	s_wait_loadcnt_dscnt 0x0
	v_mul_f32_e32 v108, v108, v109
	s_cbranch_execz .LBB115_8
	s_branch .LBB115_9
.LBB115_7:
                                        ; implicit-def: $vgpr108
.LBB115_8:
	ds_load_b32 v108, v1
.LBB115_9:
	v_mov_b32_e32 v109, 0
	ds_load_b32 v109, v109 offset:200
	s_wait_dscnt 0x0
	v_mul_f32_e32 v108, v108, v109
	scratch_store_b32 off, v108, off offset:200
.LBB115_10:
	s_wait_xcnt 0x0
	s_or_b32 exec_lo, exec_lo, s2
	scratch_load_b32 v108, off, off offset:196
	s_mov_b32 s38, s1
	v_cmp_lt_u32_e64 s1, 49, v0
	s_or_b32 s4, 0, 4
	s_or_b32 s5, 0, 8
	;; [unrolled: 1-line block ×3, first 2 shown]
	s_mov_b32 s2, 16
	s_mov_b32 s9, 20
	;; [unrolled: 1-line block ×13, first 2 shown]
	s_wait_loadcnt 0x0
	ds_store_b32 v1, v108
	s_wait_storecnt_dscnt 0x0
	s_barrier_signal -1
	s_barrier_wait -1
	s_wait_xcnt 0x0
	s_and_saveexec_b32 s55, s1
	s_cbranch_execz .LBB115_16
; %bb.11:
	s_and_not1_b32 vcc_lo, exec_lo, s3
	s_cbranch_vccnz .LBB115_13
; %bb.12:
	scratch_load_b32 v108, v7, off
	ds_load_b32 v109, v1
	s_wait_loadcnt_dscnt 0x0
	v_mul_f32_e32 v108, v108, v109
	s_cbranch_execz .LBB115_14
	s_branch .LBB115_15
.LBB115_13:
                                        ; implicit-def: $vgpr108
.LBB115_14:
	ds_load_b32 v108, v1
.LBB115_15:
	scratch_load_b32 v109, off, off offset:200
	v_mov_b32_e32 v110, 0
	ds_load_2addr_b32 v[110:111], v110 offset0:49 offset1:102
	s_wait_loadcnt_dscnt 0x0
	v_fma_f32 v109, v109, v111, v108
	s_delay_alu instid0(VALU_DEP_1) | instskip(NEXT) | instid1(VALU_DEP_1)
	v_cndmask_b32_e64 v108, v108, v109, s0
	v_mul_f32_e32 v108, v108, v110
	scratch_store_b32 off, v108, off offset:196
.LBB115_16:
	s_wait_xcnt 0x0
	s_or_b32 exec_lo, exec_lo, s55
	scratch_load_b32 v108, off, off offset:192
	v_cmp_lt_u32_e64 s0, 48, v0
	s_wait_loadcnt 0x0
	ds_store_b32 v1, v108
	s_wait_storecnt_dscnt 0x0
	s_barrier_signal -1
	s_barrier_wait -1
	s_wait_xcnt 0x0
	s_and_saveexec_b32 s55, s0
	s_cbranch_execz .LBB115_26
; %bb.17:
	s_and_not1_b32 vcc_lo, exec_lo, s3
	s_cbranch_vccnz .LBB115_19
; %bb.18:
	scratch_load_b32 v108, v7, off
	ds_load_b32 v109, v1
	s_wait_loadcnt_dscnt 0x0
	v_mul_f32_e32 v108, v108, v109
	s_cbranch_execz .LBB115_20
	s_branch .LBB115_21
.LBB115_19:
                                        ; implicit-def: $vgpr108
.LBB115_20:
	ds_load_b32 v108, v1
.LBB115_21:
	s_and_saveexec_b32 s56, s1
	s_cbranch_execz .LBB115_25
; %bb.22:
	v_subrev_nc_u32_e32 v109, 49, v0
	s_movk_i32 s57, 0x194
	s_mov_b32 s1, 0
.LBB115_23:                             ; =>This Inner Loop Header: Depth=1
	scratch_load_b32 v110, off, s54
	v_dual_mov_b32 v111, s57 :: v_dual_add_nc_u32 v109, -1, v109
	s_add_co_i32 s57, s57, 4
	s_wait_xcnt 0x0
	s_add_co_i32 s54, s54, 4
	ds_load_b32 v111, v111
	v_cmp_eq_u32_e32 vcc_lo, 0, v109
	s_or_b32 s1, vcc_lo, s1
	s_wait_loadcnt_dscnt 0x0
	v_fmac_f32_e32 v108, v110, v111
	s_and_not1_b32 exec_lo, exec_lo, s1
	s_cbranch_execnz .LBB115_23
; %bb.24:
	s_or_b32 exec_lo, exec_lo, s1
.LBB115_25:
	s_delay_alu instid0(SALU_CYCLE_1)
	s_or_b32 exec_lo, exec_lo, s56
	v_mov_b32_e32 v109, 0
	ds_load_b32 v109, v109 offset:192
	s_wait_dscnt 0x0
	v_mul_f32_e32 v108, v108, v109
	scratch_store_b32 off, v108, off offset:192
.LBB115_26:
	s_wait_xcnt 0x0
	s_or_b32 exec_lo, exec_lo, s55
	scratch_load_b32 v108, off, off offset:188
	v_cmp_lt_u32_e64 s1, 47, v0
	s_wait_loadcnt 0x0
	ds_store_b32 v1, v108
	s_wait_storecnt_dscnt 0x0
	s_barrier_signal -1
	s_barrier_wait -1
	s_wait_xcnt 0x0
	s_and_saveexec_b32 s54, s1
	s_cbranch_execz .LBB115_36
; %bb.27:
	s_and_not1_b32 vcc_lo, exec_lo, s3
	s_cbranch_vccnz .LBB115_29
; %bb.28:
	scratch_load_b32 v108, v7, off
	ds_load_b32 v109, v1
	s_wait_loadcnt_dscnt 0x0
	v_mul_f32_e32 v108, v108, v109
	s_cbranch_execz .LBB115_30
	s_branch .LBB115_31
.LBB115_29:
                                        ; implicit-def: $vgpr108
.LBB115_30:
	ds_load_b32 v108, v1
.LBB115_31:
	s_and_saveexec_b32 s55, s0
	s_cbranch_execz .LBB115_35
; %bb.32:
	v_subrev_nc_u32_e32 v109, 48, v0
	s_movk_i32 s56, 0x190
	s_mov_b32 s0, 0
.LBB115_33:                             ; =>This Inner Loop Header: Depth=1
	scratch_load_b32 v110, off, s53
	v_dual_mov_b32 v111, s56 :: v_dual_add_nc_u32 v109, -1, v109
	s_add_co_i32 s56, s56, 4
	s_wait_xcnt 0x0
	s_add_co_i32 s53, s53, 4
	ds_load_b32 v111, v111
	v_cmp_eq_u32_e32 vcc_lo, 0, v109
	s_or_b32 s0, vcc_lo, s0
	s_wait_loadcnt_dscnt 0x0
	v_fmac_f32_e32 v108, v110, v111
	s_and_not1_b32 exec_lo, exec_lo, s0
	s_cbranch_execnz .LBB115_33
; %bb.34:
	s_or_b32 exec_lo, exec_lo, s0
.LBB115_35:
	s_delay_alu instid0(SALU_CYCLE_1)
	s_or_b32 exec_lo, exec_lo, s55
	v_mov_b32_e32 v109, 0
	ds_load_b32 v109, v109 offset:188
	s_wait_dscnt 0x0
	v_mul_f32_e32 v108, v108, v109
	scratch_store_b32 off, v108, off offset:188
.LBB115_36:
	;; [unrolled: 57-line block ×8, first 2 shown]
	s_wait_xcnt 0x0
	s_or_b32 exec_lo, exec_lo, s48
	scratch_load_b32 v108, off, off offset:160
	v_cmp_lt_u32_e64 s0, 40, v0
	s_wait_loadcnt 0x0
	ds_store_b32 v1, v108
	s_wait_storecnt_dscnt 0x0
	s_barrier_signal -1
	s_barrier_wait -1
	s_wait_xcnt 0x0
	s_and_saveexec_b32 s47, s0
	s_cbranch_execz .LBB115_106
; %bb.97:
	s_and_not1_b32 vcc_lo, exec_lo, s3
	s_cbranch_vccnz .LBB115_99
; %bb.98:
	scratch_load_b32 v108, v7, off
	ds_load_b32 v109, v1
	s_wait_loadcnt_dscnt 0x0
	v_mul_f32_e32 v108, v108, v109
	s_cbranch_execz .LBB115_100
	s_branch .LBB115_101
.LBB115_99:
                                        ; implicit-def: $vgpr108
.LBB115_100:
	ds_load_b32 v108, v1
.LBB115_101:
	s_and_saveexec_b32 s48, s1
	s_cbranch_execz .LBB115_105
; %bb.102:
	v_subrev_nc_u32_e32 v109, 41, v0
	s_movk_i32 s49, 0x174
	s_mov_b32 s1, 0
.LBB115_103:                            ; =>This Inner Loop Header: Depth=1
	scratch_load_b32 v110, off, s46
	v_dual_mov_b32 v111, s49 :: v_dual_add_nc_u32 v109, -1, v109
	s_add_co_i32 s49, s49, 4
	s_wait_xcnt 0x0
	s_add_co_i32 s46, s46, 4
	ds_load_b32 v111, v111
	v_cmp_eq_u32_e32 vcc_lo, 0, v109
	s_or_b32 s1, vcc_lo, s1
	s_wait_loadcnt_dscnt 0x0
	v_fmac_f32_e32 v108, v110, v111
	s_and_not1_b32 exec_lo, exec_lo, s1
	s_cbranch_execnz .LBB115_103
; %bb.104:
	s_or_b32 exec_lo, exec_lo, s1
.LBB115_105:
	s_delay_alu instid0(SALU_CYCLE_1)
	s_or_b32 exec_lo, exec_lo, s48
	v_mov_b32_e32 v109, 0
	ds_load_b32 v109, v109 offset:160
	s_wait_dscnt 0x0
	v_mul_f32_e32 v108, v108, v109
	scratch_store_b32 off, v108, off offset:160
.LBB115_106:
	s_wait_xcnt 0x0
	s_or_b32 exec_lo, exec_lo, s47
	scratch_load_b32 v108, off, off offset:156
	v_cmp_lt_u32_e64 s1, 39, v0
	s_wait_loadcnt 0x0
	ds_store_b32 v1, v108
	s_wait_storecnt_dscnt 0x0
	s_barrier_signal -1
	s_barrier_wait -1
	s_wait_xcnt 0x0
	s_and_saveexec_b32 s46, s1
	s_cbranch_execz .LBB115_116
; %bb.107:
	s_and_not1_b32 vcc_lo, exec_lo, s3
	s_cbranch_vccnz .LBB115_109
; %bb.108:
	scratch_load_b32 v108, v7, off
	ds_load_b32 v109, v1
	s_wait_loadcnt_dscnt 0x0
	v_mul_f32_e32 v108, v108, v109
	s_cbranch_execz .LBB115_110
	s_branch .LBB115_111
.LBB115_109:
                                        ; implicit-def: $vgpr108
.LBB115_110:
	ds_load_b32 v108, v1
.LBB115_111:
	s_and_saveexec_b32 s47, s0
	s_cbranch_execz .LBB115_115
; %bb.112:
	v_subrev_nc_u32_e32 v109, 40, v0
	s_movk_i32 s48, 0x170
	s_mov_b32 s0, 0
.LBB115_113:                            ; =>This Inner Loop Header: Depth=1
	scratch_load_b32 v110, off, s45
	v_dual_mov_b32 v111, s48 :: v_dual_add_nc_u32 v109, -1, v109
	s_add_co_i32 s48, s48, 4
	s_wait_xcnt 0x0
	s_add_co_i32 s45, s45, 4
	ds_load_b32 v111, v111
	v_cmp_eq_u32_e32 vcc_lo, 0, v109
	s_or_b32 s0, vcc_lo, s0
	s_wait_loadcnt_dscnt 0x0
	v_fmac_f32_e32 v108, v110, v111
	s_and_not1_b32 exec_lo, exec_lo, s0
	s_cbranch_execnz .LBB115_113
; %bb.114:
	s_or_b32 exec_lo, exec_lo, s0
.LBB115_115:
	s_delay_alu instid0(SALU_CYCLE_1)
	s_or_b32 exec_lo, exec_lo, s47
	v_mov_b32_e32 v109, 0
	ds_load_b32 v109, v109 offset:156
	s_wait_dscnt 0x0
	v_mul_f32_e32 v108, v108, v109
	scratch_store_b32 off, v108, off offset:156
.LBB115_116:
	;; [unrolled: 57-line block ×25, first 2 shown]
	s_wait_xcnt 0x0
	s_or_b32 exec_lo, exec_lo, s22
	scratch_load_b32 v108, off, off offset:60
	v_cmp_lt_u32_e64 s1, 15, v0
	s_wait_loadcnt 0x0
	ds_store_b32 v1, v108
	s_wait_storecnt_dscnt 0x0
	s_barrier_signal -1
	s_barrier_wait -1
	s_wait_xcnt 0x0
	s_and_saveexec_b32 s21, s1
	s_cbranch_execz .LBB115_356
; %bb.347:
	s_and_not1_b32 vcc_lo, exec_lo, s3
	s_cbranch_vccnz .LBB115_349
; %bb.348:
	scratch_load_b32 v108, v7, off
	ds_load_b32 v109, v1
	s_wait_loadcnt_dscnt 0x0
	v_mul_f32_e32 v108, v108, v109
	s_cbranch_execz .LBB115_350
	s_branch .LBB115_351
.LBB115_349:
                                        ; implicit-def: $vgpr108
.LBB115_350:
	ds_load_b32 v108, v1
.LBB115_351:
	s_and_saveexec_b32 s22, s0
	s_cbranch_execz .LBB115_355
; %bb.352:
	v_add_nc_u32_e32 v109, -16, v0
	s_movk_i32 s23, 0x110
	s_mov_b32 s0, 0
.LBB115_353:                            ; =>This Inner Loop Header: Depth=1
	scratch_load_b32 v110, off, s20
	v_dual_mov_b32 v111, s23 :: v_dual_add_nc_u32 v109, -1, v109
	s_add_co_i32 s23, s23, 4
	s_wait_xcnt 0x0
	s_add_co_i32 s20, s20, 4
	ds_load_b32 v111, v111
	v_cmp_eq_u32_e32 vcc_lo, 0, v109
	s_or_b32 s0, vcc_lo, s0
	s_wait_loadcnt_dscnt 0x0
	v_fmac_f32_e32 v108, v110, v111
	s_and_not1_b32 exec_lo, exec_lo, s0
	s_cbranch_execnz .LBB115_353
; %bb.354:
	s_or_b32 exec_lo, exec_lo, s0
.LBB115_355:
	s_delay_alu instid0(SALU_CYCLE_1)
	s_or_b32 exec_lo, exec_lo, s22
	v_mov_b32_e32 v109, 0
	ds_load_b32 v109, v109 offset:60
	s_wait_dscnt 0x0
	v_mul_f32_e32 v108, v108, v109
	scratch_store_b32 off, v108, off offset:60
.LBB115_356:
	s_wait_xcnt 0x0
	s_or_b32 exec_lo, exec_lo, s21
	scratch_load_b32 v108, off, off offset:56
	v_cmp_lt_u32_e64 s0, 14, v0
	s_wait_loadcnt 0x0
	ds_store_b32 v1, v108
	s_wait_storecnt_dscnt 0x0
	s_barrier_signal -1
	s_barrier_wait -1
	s_wait_xcnt 0x0
	s_and_saveexec_b32 s20, s0
	s_cbranch_execz .LBB115_366
; %bb.357:
	s_and_not1_b32 vcc_lo, exec_lo, s3
	s_cbranch_vccnz .LBB115_359
; %bb.358:
	scratch_load_b32 v108, v7, off
	ds_load_b32 v109, v1
	s_wait_loadcnt_dscnt 0x0
	v_mul_f32_e32 v108, v108, v109
	s_cbranch_execz .LBB115_360
	s_branch .LBB115_361
.LBB115_359:
                                        ; implicit-def: $vgpr108
.LBB115_360:
	ds_load_b32 v108, v1
.LBB115_361:
	s_and_saveexec_b32 s21, s1
	s_cbranch_execz .LBB115_365
; %bb.362:
	v_add_nc_u32_e32 v109, -15, v0
	s_movk_i32 s22, 0x10c
	s_mov_b32 s1, 0
.LBB115_363:                            ; =>This Inner Loop Header: Depth=1
	scratch_load_b32 v110, off, s19
	v_dual_mov_b32 v111, s22 :: v_dual_add_nc_u32 v109, -1, v109
	s_add_co_i32 s22, s22, 4
	s_wait_xcnt 0x0
	s_add_co_i32 s19, s19, 4
	ds_load_b32 v111, v111
	v_cmp_eq_u32_e32 vcc_lo, 0, v109
	s_or_b32 s1, vcc_lo, s1
	s_wait_loadcnt_dscnt 0x0
	v_fmac_f32_e32 v108, v110, v111
	s_and_not1_b32 exec_lo, exec_lo, s1
	s_cbranch_execnz .LBB115_363
; %bb.364:
	s_or_b32 exec_lo, exec_lo, s1
.LBB115_365:
	s_delay_alu instid0(SALU_CYCLE_1)
	s_or_b32 exec_lo, exec_lo, s21
	v_mov_b32_e32 v109, 0
	ds_load_b32 v109, v109 offset:56
	s_wait_dscnt 0x0
	v_mul_f32_e32 v108, v108, v109
	scratch_store_b32 off, v108, off offset:56
.LBB115_366:
	;; [unrolled: 57-line block ×15, first 2 shown]
	s_wait_xcnt 0x0
	s_or_b32 exec_lo, exec_lo, s1
	scratch_load_b32 v108, off, off
	s_mov_b32 s2, 0
	s_mov_b32 s1, exec_lo
	s_wait_loadcnt 0x0
	ds_store_b32 v1, v108
	s_wait_storecnt_dscnt 0x0
	s_barrier_signal -1
	s_barrier_wait -1
	s_wait_xcnt 0x0
	v_cmpx_ne_u32_e32 0, v0
	s_cbranch_execz .LBB115_506
; %bb.497:
	s_and_not1_b32 vcc_lo, exec_lo, s3
	s_cbranch_vccnz .LBB115_499
; %bb.498:
	scratch_load_b32 v108, v7, off
	ds_load_b32 v109, v1
	s_wait_loadcnt_dscnt 0x0
	v_mul_f32_e32 v108, v108, v109
	s_cbranch_execz .LBB115_500
	s_branch .LBB115_501
.LBB115_499:
                                        ; implicit-def: $vgpr108
.LBB115_500:
	ds_load_b32 v108, v1
.LBB115_501:
	s_and_saveexec_b32 s5, s0
	s_cbranch_execz .LBB115_505
; %bb.502:
	v_add_nc_u32_e32 v109, -1, v0
	s_movk_i32 s8, 0xd4
	s_mov_b32 s0, 0
.LBB115_503:                            ; =>This Inner Loop Header: Depth=1
	scratch_load_b32 v110, off, s4
	v_dual_mov_b32 v111, s8 :: v_dual_add_nc_u32 v109, -1, v109
	s_add_co_i32 s8, s8, 4
	s_wait_xcnt 0x0
	s_add_co_i32 s4, s4, 4
	ds_load_b32 v111, v111
	v_cmp_eq_u32_e32 vcc_lo, 0, v109
	s_or_b32 s0, vcc_lo, s0
	s_wait_loadcnt_dscnt 0x0
	v_fmac_f32_e32 v108, v110, v111
	s_and_not1_b32 exec_lo, exec_lo, s0
	s_cbranch_execnz .LBB115_503
; %bb.504:
	s_or_b32 exec_lo, exec_lo, s0
.LBB115_505:
	s_delay_alu instid0(SALU_CYCLE_1)
	s_or_b32 exec_lo, exec_lo, s5
	v_mov_b32_e32 v109, 0
	ds_load_b32 v109, v109
	s_wait_dscnt 0x0
	v_mul_f32_e32 v108, v108, v109
	scratch_store_b32 off, v108, off
.LBB115_506:
	s_wait_xcnt 0x0
	s_or_b32 exec_lo, exec_lo, s1
.LBB115_507:
	v_lshl_add_u64 v[156:157], v[8:9], 2, s[6:7]
	v_lshl_add_u64 v[154:155], v[10:11], 2, s[6:7]
	;; [unrolled: 1-line block ×50, first 2 shown]
	s_and_b32 vcc_lo, exec_lo, s2
	s_cbranch_vccz .LBB115_1009
; %bb.508:
	scratch_load_b32 v58, off, off offset:4
	v_cmp_eq_u32_e64 s0, 0, v0
	s_wait_loadcnt 0x0
	ds_store_b32 v1, v58
	s_wait_storecnt_dscnt 0x0
	s_barrier_signal -1
	s_barrier_wait -1
	s_wait_xcnt 0x0
	s_and_saveexec_b32 s1, s0
	s_cbranch_execz .LBB115_514
; %bb.509:
	s_and_b32 vcc_lo, exec_lo, s3
	s_cbranch_vccz .LBB115_511
; %bb.510:
	scratch_load_b32 v58, v7, off
	ds_load_b32 v59, v1
	s_wait_loadcnt_dscnt 0x0
	v_mul_f32_e32 v58, v58, v59
	s_cbranch_execz .LBB115_512
	s_branch .LBB115_513
.LBB115_511:
                                        ; implicit-def: $vgpr58
.LBB115_512:
	ds_load_b32 v58, v1
.LBB115_513:
	v_mov_b32_e32 v59, 0
	ds_load_b32 v59, v59 offset:4
	s_wait_dscnt 0x0
	v_mul_f32_e32 v58, v58, v59
	scratch_store_b32 off, v58, off offset:4
.LBB115_514:
	s_wait_xcnt 0x0
	s_or_b32 exec_lo, exec_lo, s1
	scratch_load_b32 v59, off, off offset:8
	v_cndmask_b32_e64 v58, 0, 1, s3
	s_mov_b32 s1, exec_lo
	s_wait_loadcnt 0x0
	ds_store_b32 v1, v59
	s_wait_storecnt_dscnt 0x0
	s_barrier_signal -1
	s_barrier_wait -1
	s_wait_xcnt 0x0
	v_cmpx_gt_u32_e32 2, v0
	s_cbranch_execz .LBB115_520
; %bb.515:
	s_and_not1_b32 vcc_lo, exec_lo, s3
	s_cbranch_vccnz .LBB115_517
; %bb.516:
	scratch_load_b32 v59, v7, off
	ds_load_b32 v60, v1
	s_wait_loadcnt_dscnt 0x0
	v_mul_f32_e32 v59, v59, v60
	s_cbranch_execz .LBB115_518
	s_branch .LBB115_519
.LBB115_517:
                                        ; implicit-def: $vgpr59
.LBB115_518:
	ds_load_b32 v59, v1
.LBB115_519:
	scratch_load_b32 v62, off, off offset:4
	v_mov_b32_e32 v60, 0
	ds_load_2addr_b32 v[60:61], v60 offset0:2 offset1:53
	s_wait_loadcnt_dscnt 0x0
	v_fma_f32 v61, v62, v61, v59
	s_delay_alu instid0(VALU_DEP_1) | instskip(NEXT) | instid1(VALU_DEP_1)
	v_cndmask_b32_e64 v59, v59, v61, s0
	v_mul_f32_e32 v59, v59, v60
	scratch_store_b32 off, v59, off offset:8
.LBB115_520:
	s_wait_xcnt 0x0
	s_or_b32 exec_lo, exec_lo, s1
	scratch_load_b32 v59, off, off offset:12
	s_mov_b32 s1, exec_lo
	s_wait_loadcnt 0x0
	ds_store_b32 v1, v59
	s_wait_storecnt_dscnt 0x0
	s_barrier_signal -1
	s_barrier_wait -1
	s_wait_xcnt 0x0
	v_cmpx_gt_u32_e32 3, v0
	s_cbranch_execz .LBB115_528
; %bb.521:
	v_cmp_ne_u32_e32 vcc_lo, 1, v58
	s_cbranch_vccnz .LBB115_523
; %bb.522:
	scratch_load_b32 v59, v7, off
	ds_load_b32 v60, v1
	s_wait_loadcnt_dscnt 0x0
	v_mul_f32_e32 v59, v59, v60
	s_cbranch_execz .LBB115_524
	s_branch .LBB115_525
.LBB115_523:
                                        ; implicit-def: $vgpr59
.LBB115_524:
	ds_load_b32 v59, v1
.LBB115_525:
	s_mov_b32 s2, exec_lo
	v_cmpx_ne_u32_e32 2, v0
	s_cbranch_execz .LBB115_527
; %bb.526:
	scratch_load_b32 v60, v7, off offset:4
	scratch_load_b32 v61, off, off offset:8
	ds_load_b32 v62, v1 offset:4
	v_mov_b32_e32 v63, 0
	ds_load_b32 v63, v63 offset:216
	s_wait_loadcnt_dscnt 0x101
	v_fmac_f32_e32 v59, v60, v62
	s_wait_loadcnt_dscnt 0x0
	s_delay_alu instid0(VALU_DEP_1) | instskip(NEXT) | instid1(VALU_DEP_1)
	v_fma_f32 v60, v61, v63, v59
	v_cndmask_b32_e64 v59, v59, v60, s0
.LBB115_527:
	s_or_b32 exec_lo, exec_lo, s2
	v_mov_b32_e32 v60, 0
	ds_load_b32 v60, v60 offset:12
	s_wait_dscnt 0x0
	v_mul_f32_e32 v59, v59, v60
	scratch_store_b32 off, v59, off offset:12
.LBB115_528:
	s_wait_xcnt 0x0
	s_or_b32 exec_lo, exec_lo, s1
	scratch_load_b32 v59, off, off offset:16
	s_mov_b32 s0, exec_lo
	s_wait_loadcnt 0x0
	ds_store_b32 v1, v59
	s_wait_storecnt_dscnt 0x0
	s_barrier_signal -1
	s_barrier_wait -1
	s_wait_xcnt 0x0
	v_cmpx_gt_u32_e32 4, v0
	s_cbranch_execz .LBB115_538
; %bb.529:
	v_cmp_ne_u32_e32 vcc_lo, 1, v58
	s_cbranch_vccnz .LBB115_531
; %bb.530:
	scratch_load_b32 v59, v7, off
	ds_load_b32 v60, v1
	s_wait_loadcnt_dscnt 0x0
	v_mul_f32_e32 v59, v59, v60
	s_cbranch_execz .LBB115_532
	s_branch .LBB115_533
.LBB115_531:
                                        ; implicit-def: $vgpr59
.LBB115_532:
	ds_load_b32 v59, v1
.LBB115_533:
	s_mov_b32 s1, exec_lo
	v_cmpx_ne_u32_e32 3, v0
	s_cbranch_execz .LBB115_537
; %bb.534:
	v_add_nc_u32_e32 v60, 0xd4, v6
	v_add3_u32 v61, 0, v6, 4
	v_mov_b32_e32 v62, v0
	s_mov_b32 s2, 0
.LBB115_535:                            ; =>This Inner Loop Header: Depth=1
	scratch_load_b32 v63, v61, off
	ds_load_b32 v64, v60
	v_dual_add_nc_u32 v62, 1, v62 :: v_dual_add_nc_u32 v60, 4, v60
	s_wait_xcnt 0x0
	v_add_nc_u32_e32 v61, 4, v61
	s_delay_alu instid0(VALU_DEP_2)
	v_cmp_lt_u32_e32 vcc_lo, 2, v62
	s_or_b32 s2, vcc_lo, s2
	s_wait_loadcnt_dscnt 0x0
	v_fmac_f32_e32 v59, v63, v64
	s_and_not1_b32 exec_lo, exec_lo, s2
	s_cbranch_execnz .LBB115_535
; %bb.536:
	s_or_b32 exec_lo, exec_lo, s2
.LBB115_537:
	s_delay_alu instid0(SALU_CYCLE_1)
	s_or_b32 exec_lo, exec_lo, s1
	v_mov_b32_e32 v60, 0
	ds_load_b32 v60, v60 offset:16
	s_wait_dscnt 0x0
	v_mul_f32_e32 v59, v59, v60
	scratch_store_b32 off, v59, off offset:16
.LBB115_538:
	s_wait_xcnt 0x0
	s_or_b32 exec_lo, exec_lo, s0
	scratch_load_b32 v59, off, off offset:20
	s_mov_b32 s0, exec_lo
	s_wait_loadcnt 0x0
	ds_store_b32 v1, v59
	s_wait_storecnt_dscnt 0x0
	s_barrier_signal -1
	s_barrier_wait -1
	s_wait_xcnt 0x0
	v_cmpx_gt_u32_e32 5, v0
	s_cbranch_execz .LBB115_548
; %bb.539:
	v_cmp_ne_u32_e32 vcc_lo, 1, v58
	s_cbranch_vccnz .LBB115_541
; %bb.540:
	scratch_load_b32 v59, v7, off
	ds_load_b32 v60, v1
	s_wait_loadcnt_dscnt 0x0
	v_mul_f32_e32 v59, v59, v60
	s_cbranch_execz .LBB115_542
	s_branch .LBB115_543
.LBB115_541:
                                        ; implicit-def: $vgpr59
.LBB115_542:
	ds_load_b32 v59, v1
.LBB115_543:
	s_mov_b32 s1, exec_lo
	v_cmpx_ne_u32_e32 4, v0
	s_cbranch_execz .LBB115_547
; %bb.544:
	v_add_nc_u32_e32 v60, 0xd4, v6
	v_add3_u32 v61, 0, v6, 4
	v_mov_b32_e32 v62, v0
	s_mov_b32 s2, 0
.LBB115_545:                            ; =>This Inner Loop Header: Depth=1
	scratch_load_b32 v63, v61, off
	ds_load_b32 v64, v60
	v_dual_add_nc_u32 v62, 1, v62 :: v_dual_add_nc_u32 v60, 4, v60
	s_wait_xcnt 0x0
	v_add_nc_u32_e32 v61, 4, v61
	s_delay_alu instid0(VALU_DEP_2)
	v_cmp_lt_u32_e32 vcc_lo, 3, v62
	s_or_b32 s2, vcc_lo, s2
	s_wait_loadcnt_dscnt 0x0
	v_fmac_f32_e32 v59, v63, v64
	s_and_not1_b32 exec_lo, exec_lo, s2
	s_cbranch_execnz .LBB115_545
; %bb.546:
	s_or_b32 exec_lo, exec_lo, s2
.LBB115_547:
	s_delay_alu instid0(SALU_CYCLE_1)
	s_or_b32 exec_lo, exec_lo, s1
	v_mov_b32_e32 v60, 0
	ds_load_b32 v60, v60 offset:20
	s_wait_dscnt 0x0
	v_mul_f32_e32 v59, v59, v60
	scratch_store_b32 off, v59, off offset:20
.LBB115_548:
	;; [unrolled: 59-line block ×46, first 2 shown]
	s_wait_xcnt 0x0
	s_or_b32 exec_lo, exec_lo, s0
	scratch_load_b32 v59, off, off offset:200
	v_cmp_gt_u32_e64 s0, 50, v0
	s_wait_loadcnt 0x0
	ds_store_b32 v1, v59
	s_wait_storecnt_dscnt 0x0
	s_barrier_signal -1
	s_barrier_wait -1
	s_wait_xcnt 0x0
	s_and_saveexec_b32 s1, s0
	s_cbranch_execz .LBB115_998
; %bb.989:
	v_cmp_ne_u32_e32 vcc_lo, 1, v58
	s_cbranch_vccnz .LBB115_991
; %bb.990:
	scratch_load_b32 v59, v7, off
	ds_load_b32 v60, v1
	s_wait_loadcnt_dscnt 0x0
	v_mul_f32_e32 v59, v59, v60
	s_cbranch_execz .LBB115_992
	s_branch .LBB115_993
.LBB115_991:
                                        ; implicit-def: $vgpr59
.LBB115_992:
	ds_load_b32 v59, v1
.LBB115_993:
	s_mov_b32 s2, exec_lo
	v_cmpx_ne_u32_e32 49, v0
	s_cbranch_execz .LBB115_997
; %bb.994:
	v_add_nc_u32_e32 v60, 0xd4, v6
	v_add3_u32 v61, 0, v6, 4
	v_mov_b32_e32 v62, v0
	s_mov_b32 s3, 0
.LBB115_995:                            ; =>This Inner Loop Header: Depth=1
	scratch_load_b32 v63, v61, off
	ds_load_b32 v64, v60
	v_dual_add_nc_u32 v62, 1, v62 :: v_dual_add_nc_u32 v60, 4, v60
	s_wait_xcnt 0x0
	v_add_nc_u32_e32 v61, 4, v61
	s_delay_alu instid0(VALU_DEP_2)
	v_cmp_lt_u32_e32 vcc_lo, 48, v62
	s_or_b32 s3, vcc_lo, s3
	s_wait_loadcnt_dscnt 0x0
	v_fmac_f32_e32 v59, v63, v64
	s_and_not1_b32 exec_lo, exec_lo, s3
	s_cbranch_execnz .LBB115_995
; %bb.996:
	s_or_b32 exec_lo, exec_lo, s3
.LBB115_997:
	s_delay_alu instid0(SALU_CYCLE_1)
	s_or_b32 exec_lo, exec_lo, s2
	v_mov_b32_e32 v60, 0
	ds_load_b32 v60, v60 offset:200
	s_wait_dscnt 0x0
	v_mul_f32_e32 v59, v59, v60
	scratch_store_b32 off, v59, off offset:200
.LBB115_998:
	s_wait_xcnt 0x0
	s_or_b32 exec_lo, exec_lo, s1
	scratch_load_b32 v59, off, off offset:204
	s_mov_b32 s1, exec_lo
	s_wait_loadcnt 0x0
	ds_store_b32 v1, v59
	s_wait_storecnt_dscnt 0x0
	s_barrier_signal -1
	s_barrier_wait -1
	s_wait_xcnt 0x0
	v_cmpx_ne_u32_e32 51, v0
	s_cbranch_execz .LBB115_1008
; %bb.999:
	v_cmp_ne_u32_e32 vcc_lo, 1, v58
	s_cbranch_vccnz .LBB115_1001
; %bb.1000:
	scratch_load_b32 v7, v7, off
	ds_load_b32 v58, v1
	s_wait_loadcnt_dscnt 0x0
	v_mul_f32_e32 v7, v7, v58
	s_cbranch_execz .LBB115_1002
	s_branch .LBB115_1003
.LBB115_1001:
                                        ; implicit-def: $vgpr7
.LBB115_1002:
	ds_load_b32 v7, v1
.LBB115_1003:
	s_and_saveexec_b32 s2, s0
	s_cbranch_execz .LBB115_1007
; %bb.1004:
	v_add_nc_u32_e32 v1, 0xd4, v6
	v_add3_u32 v6, 0, v6, 4
	s_mov_b32 s0, 0
.LBB115_1005:                           ; =>This Inner Loop Header: Depth=1
	scratch_load_b32 v58, v6, off
	ds_load_b32 v59, v1
	v_dual_add_nc_u32 v0, 1, v0 :: v_dual_add_nc_u32 v1, 4, v1
	s_wait_xcnt 0x0
	v_add_nc_u32_e32 v6, 4, v6
	s_delay_alu instid0(VALU_DEP_2)
	v_cmp_lt_u32_e32 vcc_lo, 49, v0
	s_or_b32 s0, vcc_lo, s0
	s_wait_loadcnt_dscnt 0x0
	v_fmac_f32_e32 v7, v58, v59
	s_and_not1_b32 exec_lo, exec_lo, s0
	s_cbranch_execnz .LBB115_1005
; %bb.1006:
	s_or_b32 exec_lo, exec_lo, s0
.LBB115_1007:
	s_delay_alu instid0(SALU_CYCLE_1)
	s_or_b32 exec_lo, exec_lo, s2
	v_mov_b32_e32 v0, 0
	ds_load_b32 v0, v0 offset:204
	s_wait_dscnt 0x0
	v_mul_f32_e32 v0, v7, v0
	scratch_store_b32 off, v0, off offset:204
.LBB115_1008:
	s_wait_xcnt 0x0
	s_or_b32 exec_lo, exec_lo, s1
.LBB115_1009:
	scratch_load_b32 v0, off, off
	s_wait_loadcnt 0x0
	flat_store_b32 v[2:3], v0
	scratch_load_b32 v0, off, off offset:4
	s_wait_loadcnt 0x0
	flat_store_b32 v[4:5], v0
	scratch_load_b32 v0, off, off offset:8
	;; [unrolled: 3-line block ×51, first 2 shown]
	s_wait_loadcnt 0x0
	flat_store_b32 v[8:9], v0
.LBB115_1010:
	s_sendmsg sendmsg(MSG_DEALLOC_VGPRS)
	s_endpgm
	.section	.rodata,"a",@progbits
	.p2align	6, 0x0
	.amdhsa_kernel _ZN9rocsolver6v33100L18trti2_kernel_smallILi52EfPKPfEEv13rocblas_fill_17rocblas_diagonal_T1_iil
		.amdhsa_group_segment_fixed_size 416
		.amdhsa_private_segment_fixed_size 224
		.amdhsa_kernarg_size 32
		.amdhsa_user_sgpr_count 2
		.amdhsa_user_sgpr_dispatch_ptr 0
		.amdhsa_user_sgpr_queue_ptr 0
		.amdhsa_user_sgpr_kernarg_segment_ptr 1
		.amdhsa_user_sgpr_dispatch_id 0
		.amdhsa_user_sgpr_kernarg_preload_length 0
		.amdhsa_user_sgpr_kernarg_preload_offset 0
		.amdhsa_user_sgpr_private_segment_size 0
		.amdhsa_wavefront_size32 1
		.amdhsa_uses_dynamic_stack 0
		.amdhsa_enable_private_segment 1
		.amdhsa_system_sgpr_workgroup_id_x 1
		.amdhsa_system_sgpr_workgroup_id_y 0
		.amdhsa_system_sgpr_workgroup_id_z 0
		.amdhsa_system_sgpr_workgroup_info 0
		.amdhsa_system_vgpr_workitem_id 0
		.amdhsa_next_free_vgpr 158
		.amdhsa_next_free_sgpr 58
		.amdhsa_named_barrier_count 0
		.amdhsa_reserve_vcc 1
		.amdhsa_float_round_mode_32 0
		.amdhsa_float_round_mode_16_64 0
		.amdhsa_float_denorm_mode_32 3
		.amdhsa_float_denorm_mode_16_64 3
		.amdhsa_fp16_overflow 0
		.amdhsa_memory_ordered 1
		.amdhsa_forward_progress 1
		.amdhsa_inst_pref_size 235
		.amdhsa_round_robin_scheduling 0
		.amdhsa_exception_fp_ieee_invalid_op 0
		.amdhsa_exception_fp_denorm_src 0
		.amdhsa_exception_fp_ieee_div_zero 0
		.amdhsa_exception_fp_ieee_overflow 0
		.amdhsa_exception_fp_ieee_underflow 0
		.amdhsa_exception_fp_ieee_inexact 0
		.amdhsa_exception_int_div_zero 0
	.end_amdhsa_kernel
	.section	.text._ZN9rocsolver6v33100L18trti2_kernel_smallILi52EfPKPfEEv13rocblas_fill_17rocblas_diagonal_T1_iil,"axG",@progbits,_ZN9rocsolver6v33100L18trti2_kernel_smallILi52EfPKPfEEv13rocblas_fill_17rocblas_diagonal_T1_iil,comdat
.Lfunc_end115:
	.size	_ZN9rocsolver6v33100L18trti2_kernel_smallILi52EfPKPfEEv13rocblas_fill_17rocblas_diagonal_T1_iil, .Lfunc_end115-_ZN9rocsolver6v33100L18trti2_kernel_smallILi52EfPKPfEEv13rocblas_fill_17rocblas_diagonal_T1_iil
                                        ; -- End function
	.set _ZN9rocsolver6v33100L18trti2_kernel_smallILi52EfPKPfEEv13rocblas_fill_17rocblas_diagonal_T1_iil.num_vgpr, 158
	.set _ZN9rocsolver6v33100L18trti2_kernel_smallILi52EfPKPfEEv13rocblas_fill_17rocblas_diagonal_T1_iil.num_agpr, 0
	.set _ZN9rocsolver6v33100L18trti2_kernel_smallILi52EfPKPfEEv13rocblas_fill_17rocblas_diagonal_T1_iil.numbered_sgpr, 58
	.set _ZN9rocsolver6v33100L18trti2_kernel_smallILi52EfPKPfEEv13rocblas_fill_17rocblas_diagonal_T1_iil.num_named_barrier, 0
	.set _ZN9rocsolver6v33100L18trti2_kernel_smallILi52EfPKPfEEv13rocblas_fill_17rocblas_diagonal_T1_iil.private_seg_size, 224
	.set _ZN9rocsolver6v33100L18trti2_kernel_smallILi52EfPKPfEEv13rocblas_fill_17rocblas_diagonal_T1_iil.uses_vcc, 1
	.set _ZN9rocsolver6v33100L18trti2_kernel_smallILi52EfPKPfEEv13rocblas_fill_17rocblas_diagonal_T1_iil.uses_flat_scratch, 0
	.set _ZN9rocsolver6v33100L18trti2_kernel_smallILi52EfPKPfEEv13rocblas_fill_17rocblas_diagonal_T1_iil.has_dyn_sized_stack, 0
	.set _ZN9rocsolver6v33100L18trti2_kernel_smallILi52EfPKPfEEv13rocblas_fill_17rocblas_diagonal_T1_iil.has_recursion, 0
	.set _ZN9rocsolver6v33100L18trti2_kernel_smallILi52EfPKPfEEv13rocblas_fill_17rocblas_diagonal_T1_iil.has_indirect_call, 0
	.section	.AMDGPU.csdata,"",@progbits
; Kernel info:
; codeLenInByte = 30044
; TotalNumSgprs: 60
; NumVgprs: 158
; ScratchSize: 224
; MemoryBound: 0
; FloatMode: 240
; IeeeMode: 1
; LDSByteSize: 416 bytes/workgroup (compile time only)
; SGPRBlocks: 0
; VGPRBlocks: 9
; NumSGPRsForWavesPerEU: 60
; NumVGPRsForWavesPerEU: 158
; NamedBarCnt: 0
; Occupancy: 6
; WaveLimiterHint : 1
; COMPUTE_PGM_RSRC2:SCRATCH_EN: 1
; COMPUTE_PGM_RSRC2:USER_SGPR: 2
; COMPUTE_PGM_RSRC2:TRAP_HANDLER: 0
; COMPUTE_PGM_RSRC2:TGID_X_EN: 1
; COMPUTE_PGM_RSRC2:TGID_Y_EN: 0
; COMPUTE_PGM_RSRC2:TGID_Z_EN: 0
; COMPUTE_PGM_RSRC2:TIDIG_COMP_CNT: 0
	.section	.text._ZN9rocsolver6v33100L18trti2_kernel_smallILi53EfPKPfEEv13rocblas_fill_17rocblas_diagonal_T1_iil,"axG",@progbits,_ZN9rocsolver6v33100L18trti2_kernel_smallILi53EfPKPfEEv13rocblas_fill_17rocblas_diagonal_T1_iil,comdat
	.globl	_ZN9rocsolver6v33100L18trti2_kernel_smallILi53EfPKPfEEv13rocblas_fill_17rocblas_diagonal_T1_iil ; -- Begin function _ZN9rocsolver6v33100L18trti2_kernel_smallILi53EfPKPfEEv13rocblas_fill_17rocblas_diagonal_T1_iil
	.p2align	8
	.type	_ZN9rocsolver6v33100L18trti2_kernel_smallILi53EfPKPfEEv13rocblas_fill_17rocblas_diagonal_T1_iil,@function
_ZN9rocsolver6v33100L18trti2_kernel_smallILi53EfPKPfEEv13rocblas_fill_17rocblas_diagonal_T1_iil: ; @_ZN9rocsolver6v33100L18trti2_kernel_smallILi53EfPKPfEEv13rocblas_fill_17rocblas_diagonal_T1_iil
; %bb.0:
	s_mov_b32 s2, exec_lo
	v_cmpx_gt_u32_e32 53, v0
	s_cbranch_execz .LBB116_1030
; %bb.1:
	s_clause 0x1
	s_load_b64 s[8:9], s[0:1], 0x10
	s_load_b128 s[4:7], s[0:1], 0x0
	s_wait_xcnt 0x0
	s_bfe_u32 s0, ttmp6, 0x4000c
	s_and_b32 s1, ttmp6, 15
	s_add_co_i32 s0, s0, 1
	s_getreg_b32 s2, hwreg(HW_REG_IB_STS2, 6, 4)
	s_mul_i32 s0, ttmp9, s0
	v_dual_mov_b32 v7, 0 :: v_dual_lshlrev_b32 v6, 2, v0
	s_add_co_i32 s0, s1, s0
	v_mov_b32_e32 v110, -1.0
	s_wait_kmcnt 0x0
	s_ashr_i32 s1, s8, 31
	s_cmp_eq_u32 s2, 0
	v_add3_u32 v8, s9, s9, v0
	s_cselect_b32 s2, ttmp9, s0
	s_mov_b32 s0, s8
	s_ashr_i32 s3, s2, 31
	s_lshl_b64 s[0:1], s[0:1], 2
	s_lshl_b64 s[2:3], s[2:3], 3
	v_add_nc_u32_e32 v10, s9, v8
	s_add_nc_u64 s[2:3], s[6:7], s[2:3]
	v_ashrrev_i32_e32 v9, 31, v8
	s_load_b64 s[2:3], s[2:3], 0x0
	s_delay_alu instid0(VALU_DEP_2) | instskip(NEXT) | instid1(VALU_DEP_1)
	v_add_nc_u32_e32 v12, s9, v10
	v_add_nc_u32_e32 v14, s9, v12
	s_delay_alu instid0(VALU_DEP_1) | instskip(NEXT) | instid1(VALU_DEP_1)
	v_add_nc_u32_e32 v16, s9, v14
	v_dual_ashrrev_i32 v11, 31, v10 :: v_dual_add_nc_u32 v18, s9, v16
	v_ashrrev_i32_e32 v17, 31, v16
	s_wait_kmcnt 0x0
	s_add_nc_u64 s[2:3], s[2:3], s[0:1]
	s_mov_b32 s0, s9
	flat_load_b32 v1, v0, s[2:3] scale_offset
	v_add_nc_u64_e32 v[2:3], s[2:3], v[6:7]
	s_ashr_i32 s1, s9, 31
	v_dual_add_nc_u32 v20, s9, v18 :: v_dual_ashrrev_i32 v13, 31, v12
	v_ashrrev_i32_e32 v15, 31, v14
	v_ashrrev_i32_e32 v19, 31, v18
	s_cmp_lg_u32 s5, 0x84
	s_delay_alu instid0(VALU_DEP_4) | instskip(SKIP_4) | instid1(VALU_DEP_1)
	v_lshl_add_u64 v[4:5], s[0:1], 2, v[2:3]
	v_add_nc_u32_e32 v22, s9, v20
	s_cselect_b32 s6, -1, 0
	s_cmp_eq_u32 s5, 0x84
	s_movk_i32 s1, 0x84
	v_add_nc_u32_e32 v24, s9, v22
	s_delay_alu instid0(VALU_DEP_1) | instskip(NEXT) | instid1(VALU_DEP_1)
	v_add_nc_u32_e32 v26, s9, v24
	v_dual_add_nc_u32 v28, s9, v26 :: v_dual_ashrrev_i32 v21, 31, v20
	s_delay_alu instid0(VALU_DEP_1) | instskip(NEXT) | instid1(VALU_DEP_1)
	v_dual_ashrrev_i32 v23, 31, v22 :: v_dual_add_nc_u32 v30, s9, v28
	v_dual_ashrrev_i32 v29, 31, v28 :: v_dual_ashrrev_i32 v31, 31, v30
	v_dual_add_nc_u32 v32, s9, v30 :: v_dual_ashrrev_i32 v25, 31, v24
	s_delay_alu instid0(VALU_DEP_1) | instskip(NEXT) | instid1(VALU_DEP_1)
	v_dual_ashrrev_i32 v27, 31, v26 :: v_dual_add_nc_u32 v34, s9, v32
	v_add_nc_u32_e32 v36, s9, v34
	s_delay_alu instid0(VALU_DEP_1) | instskip(NEXT) | instid1(VALU_DEP_1)
	v_add_nc_u32_e32 v38, s9, v36
	v_dual_add_nc_u32 v40, s9, v38 :: v_dual_ashrrev_i32 v33, 31, v32
	s_delay_alu instid0(VALU_DEP_1) | instskip(NEXT) | instid1(VALU_DEP_1)
	v_dual_ashrrev_i32 v35, 31, v34 :: v_dual_add_nc_u32 v42, s9, v40
	v_dual_ashrrev_i32 v41, 31, v40 :: v_dual_ashrrev_i32 v43, 31, v42
	v_dual_add_nc_u32 v44, s9, v42 :: v_dual_ashrrev_i32 v37, 31, v36
	s_delay_alu instid0(VALU_DEP_1) | instskip(NEXT) | instid1(VALU_DEP_1)
	v_dual_ashrrev_i32 v39, 31, v38 :: v_dual_add_nc_u32 v46, s9, v44
	;; [unrolled: 10-line block ×7, first 2 shown]
	v_dual_ashrrev_i32 v105, 31, v104 :: v_dual_ashrrev_i32 v107, 31, v106
	v_add_nc_u32_e32 v108, s9, v106
	s_delay_alu instid0(VALU_DEP_1)
	v_ashrrev_i32_e32 v109, 31, v108
	s_wait_loadcnt_dscnt 0x0
	scratch_store_b32 off, v1, off
	flat_load_b32 v1, v[4:5]
	s_wait_loadcnt_dscnt 0x0
	scratch_store_b32 off, v1, off offset:4
	flat_load_b32 v1, v8, s[2:3] scale_offset
	s_wait_loadcnt_dscnt 0x0
	scratch_store_b32 off, v1, off offset:8
	flat_load_b32 v1, v10, s[2:3] scale_offset
	;; [unrolled: 3-line block ×51, first 2 shown]
	s_wait_loadcnt_dscnt 0x0
	scratch_store_b32 off, v1, off offset:208
	s_cbranch_scc1 .LBB116_3
; %bb.2:
	scratch_load_b32 v1, v0, off scale_offset
	s_wait_loadcnt 0x0
	v_div_scale_f32 v7, null, v1, v1, 1.0
	s_delay_alu instid0(VALU_DEP_1) | instskip(SKIP_1) | instid1(TRANS32_DEP_1)
	v_rcp_f32_e32 v110, v7
	v_nop
	v_fma_f32 v111, -v7, v110, 1.0
	s_delay_alu instid0(VALU_DEP_1) | instskip(SKIP_1) | instid1(VALU_DEP_1)
	v_fmac_f32_e32 v110, v111, v110
	v_div_scale_f32 v111, vcc_lo, 1.0, v1, 1.0
	v_mul_f32_e32 v112, v111, v110
	s_delay_alu instid0(VALU_DEP_1) | instskip(NEXT) | instid1(VALU_DEP_1)
	v_fma_f32 v113, -v7, v112, v111
	v_fmac_f32_e32 v112, v113, v110
	s_delay_alu instid0(VALU_DEP_1) | instskip(NEXT) | instid1(VALU_DEP_1)
	v_fma_f32 v7, -v7, v112, v111
	v_div_fmas_f32 v7, v7, v110, v112
	s_delay_alu instid0(VALU_DEP_1) | instskip(NEXT) | instid1(VALU_DEP_1)
	v_div_fixup_f32 v1, v7, v1, 1.0
	v_xor_b32_e32 v110, 0x80000000, v1
	scratch_store_b32 v0, v1, off scale_offset
.LBB116_3:
	s_wait_xcnt 0x0
	v_add_nc_u32_e32 v1, 0xe0, v6
	v_mov_b32_e32 v7, v6
	s_cmp_eq_u32 s4, 0x79
	s_mov_b32 s5, -1
	ds_store_b32 v6, v110
	s_cbranch_scc1 .LBB116_517
; %bb.4:
	scratch_load_b32 v110, off, off offset:204
	v_cmp_eq_u32_e64 s0, 52, v0
	s_movk_i32 s21, 0x44
	s_movk_i32 s22, 0x48
	;; [unrolled: 1-line block ×33, first 2 shown]
	s_wait_loadcnt 0x0
	ds_store_b32 v1, v110
	s_wait_storecnt_dscnt 0x0
	s_barrier_signal -1
	s_barrier_wait -1
	s_wait_xcnt 0x0
	s_and_saveexec_b32 s4, s0
	s_cbranch_execz .LBB116_10
; %bb.5:
	s_and_b32 vcc_lo, exec_lo, s6
	s_cbranch_vccz .LBB116_7
; %bb.6:
	scratch_load_b32 v110, v7, off
	ds_load_b32 v111, v1
	s_wait_loadcnt_dscnt 0x0
	v_mul_f32_e32 v110, v110, v111
	s_cbranch_execz .LBB116_8
	s_branch .LBB116_9
.LBB116_7:
                                        ; implicit-def: $vgpr110
	s_and_not1_b32 vcc_lo, exec_lo, s5
	s_cbranch_vccnz .LBB116_9
.LBB116_8:
	ds_load_b32 v110, v1
.LBB116_9:
	v_mov_b32_e32 v111, 0
	ds_load_b32 v111, v111 offset:204
	s_wait_dscnt 0x0
	v_mul_f32_e32 v110, v110, v111
	scratch_store_b32 off, v110, off offset:204
.LBB116_10:
	s_wait_xcnt 0x0
	s_or_b32 exec_lo, exec_lo, s4
	scratch_load_b32 v110, off, off offset:200
	s_mov_b32 s38, s1
	v_cmp_lt_u32_e64 s1, 50, v0
	s_or_b32 s4, 0, 4
	s_or_b32 s5, 0, 8
	;; [unrolled: 1-line block ×3, first 2 shown]
	s_mov_b32 s8, 16
	s_mov_b32 s9, 20
	;; [unrolled: 1-line block ×13, first 2 shown]
	s_wait_loadcnt 0x0
	ds_store_b32 v1, v110
	s_wait_storecnt_dscnt 0x0
	s_barrier_signal -1
	s_barrier_wait -1
	s_wait_xcnt 0x0
	s_and_saveexec_b32 s56, s1
	s_cbranch_execz .LBB116_16
; %bb.11:
	s_and_not1_b32 vcc_lo, exec_lo, s6
	s_cbranch_vccnz .LBB116_13
; %bb.12:
	scratch_load_b32 v110, v7, off
	ds_load_b32 v111, v1
	s_wait_loadcnt_dscnt 0x0
	v_mul_f32_e32 v110, v110, v111
	s_cbranch_execz .LBB116_14
	s_branch .LBB116_15
.LBB116_13:
                                        ; implicit-def: $vgpr110
.LBB116_14:
	ds_load_b32 v110, v1
.LBB116_15:
	scratch_load_b32 v111, off, off offset:204
	v_mov_b32_e32 v112, 0
	ds_load_2addr_b32 v[112:113], v112 offset0:50 offset1:107
	s_wait_loadcnt_dscnt 0x0
	v_fma_f32 v111, v111, v113, v110
	s_delay_alu instid0(VALU_DEP_1) | instskip(NEXT) | instid1(VALU_DEP_1)
	v_cndmask_b32_e64 v110, v110, v111, s0
	v_mul_f32_e32 v110, v110, v112
	scratch_store_b32 off, v110, off offset:200
.LBB116_16:
	s_wait_xcnt 0x0
	s_or_b32 exec_lo, exec_lo, s56
	scratch_load_b32 v110, off, off offset:196
	v_cmp_lt_u32_e64 s0, 49, v0
	s_wait_loadcnt 0x0
	ds_store_b32 v1, v110
	s_wait_storecnt_dscnt 0x0
	s_barrier_signal -1
	s_barrier_wait -1
	s_wait_xcnt 0x0
	s_and_saveexec_b32 s56, s0
	s_cbranch_execz .LBB116_26
; %bb.17:
	s_and_not1_b32 vcc_lo, exec_lo, s6
	s_cbranch_vccnz .LBB116_19
; %bb.18:
	scratch_load_b32 v110, v7, off
	ds_load_b32 v111, v1
	s_wait_loadcnt_dscnt 0x0
	v_mul_f32_e32 v110, v110, v111
	s_cbranch_execz .LBB116_20
	s_branch .LBB116_21
.LBB116_19:
                                        ; implicit-def: $vgpr110
.LBB116_20:
	ds_load_b32 v110, v1
.LBB116_21:
	s_and_saveexec_b32 s57, s1
	s_cbranch_execz .LBB116_25
; %bb.22:
	v_subrev_nc_u32_e32 v111, 50, v0
	s_movk_i32 s58, 0x1a8
	s_mov_b32 s1, 0
.LBB116_23:                             ; =>This Inner Loop Header: Depth=1
	scratch_load_b32 v112, off, s55
	v_dual_mov_b32 v113, s58 :: v_dual_add_nc_u32 v111, -1, v111
	s_add_co_i32 s58, s58, 4
	s_wait_xcnt 0x0
	s_add_co_i32 s55, s55, 4
	ds_load_b32 v113, v113
	v_cmp_eq_u32_e32 vcc_lo, 0, v111
	s_or_b32 s1, vcc_lo, s1
	s_wait_loadcnt_dscnt 0x0
	v_fmac_f32_e32 v110, v112, v113
	s_and_not1_b32 exec_lo, exec_lo, s1
	s_cbranch_execnz .LBB116_23
; %bb.24:
	s_or_b32 exec_lo, exec_lo, s1
.LBB116_25:
	s_delay_alu instid0(SALU_CYCLE_1)
	s_or_b32 exec_lo, exec_lo, s57
	v_mov_b32_e32 v111, 0
	ds_load_b32 v111, v111 offset:196
	s_wait_dscnt 0x0
	v_mul_f32_e32 v110, v110, v111
	scratch_store_b32 off, v110, off offset:196
.LBB116_26:
	s_wait_xcnt 0x0
	s_or_b32 exec_lo, exec_lo, s56
	scratch_load_b32 v110, off, off offset:192
	v_cmp_lt_u32_e64 s1, 48, v0
	s_wait_loadcnt 0x0
	ds_store_b32 v1, v110
	s_wait_storecnt_dscnt 0x0
	s_barrier_signal -1
	s_barrier_wait -1
	s_wait_xcnt 0x0
	s_and_saveexec_b32 s55, s1
	s_cbranch_execz .LBB116_36
; %bb.27:
	s_and_not1_b32 vcc_lo, exec_lo, s6
	s_cbranch_vccnz .LBB116_29
; %bb.28:
	scratch_load_b32 v110, v7, off
	ds_load_b32 v111, v1
	s_wait_loadcnt_dscnt 0x0
	v_mul_f32_e32 v110, v110, v111
	s_cbranch_execz .LBB116_30
	s_branch .LBB116_31
.LBB116_29:
                                        ; implicit-def: $vgpr110
.LBB116_30:
	ds_load_b32 v110, v1
.LBB116_31:
	s_and_saveexec_b32 s56, s0
	s_cbranch_execz .LBB116_35
; %bb.32:
	v_subrev_nc_u32_e32 v111, 49, v0
	s_movk_i32 s57, 0x1a4
	s_mov_b32 s0, 0
.LBB116_33:                             ; =>This Inner Loop Header: Depth=1
	scratch_load_b32 v112, off, s54
	v_dual_mov_b32 v113, s57 :: v_dual_add_nc_u32 v111, -1, v111
	s_add_co_i32 s57, s57, 4
	s_wait_xcnt 0x0
	s_add_co_i32 s54, s54, 4
	ds_load_b32 v113, v113
	v_cmp_eq_u32_e32 vcc_lo, 0, v111
	s_or_b32 s0, vcc_lo, s0
	s_wait_loadcnt_dscnt 0x0
	v_fmac_f32_e32 v110, v112, v113
	s_and_not1_b32 exec_lo, exec_lo, s0
	s_cbranch_execnz .LBB116_33
; %bb.34:
	s_or_b32 exec_lo, exec_lo, s0
.LBB116_35:
	s_delay_alu instid0(SALU_CYCLE_1)
	s_or_b32 exec_lo, exec_lo, s56
	v_mov_b32_e32 v111, 0
	ds_load_b32 v111, v111 offset:192
	s_wait_dscnt 0x0
	v_mul_f32_e32 v110, v110, v111
	scratch_store_b32 off, v110, off offset:192
.LBB116_36:
	;; [unrolled: 57-line block ×8, first 2 shown]
	s_wait_xcnt 0x0
	s_or_b32 exec_lo, exec_lo, s49
	scratch_load_b32 v110, off, off offset:164
	v_cmp_lt_u32_e64 s0, 41, v0
	s_wait_loadcnt 0x0
	ds_store_b32 v1, v110
	s_wait_storecnt_dscnt 0x0
	s_barrier_signal -1
	s_barrier_wait -1
	s_wait_xcnt 0x0
	s_and_saveexec_b32 s48, s0
	s_cbranch_execz .LBB116_106
; %bb.97:
	s_and_not1_b32 vcc_lo, exec_lo, s6
	s_cbranch_vccnz .LBB116_99
; %bb.98:
	scratch_load_b32 v110, v7, off
	ds_load_b32 v111, v1
	s_wait_loadcnt_dscnt 0x0
	v_mul_f32_e32 v110, v110, v111
	s_cbranch_execz .LBB116_100
	s_branch .LBB116_101
.LBB116_99:
                                        ; implicit-def: $vgpr110
.LBB116_100:
	ds_load_b32 v110, v1
.LBB116_101:
	s_and_saveexec_b32 s49, s1
	s_cbranch_execz .LBB116_105
; %bb.102:
	v_subrev_nc_u32_e32 v111, 42, v0
	s_movk_i32 s50, 0x188
	s_mov_b32 s1, 0
.LBB116_103:                            ; =>This Inner Loop Header: Depth=1
	scratch_load_b32 v112, off, s47
	v_dual_mov_b32 v113, s50 :: v_dual_add_nc_u32 v111, -1, v111
	s_add_co_i32 s50, s50, 4
	s_wait_xcnt 0x0
	s_add_co_i32 s47, s47, 4
	ds_load_b32 v113, v113
	v_cmp_eq_u32_e32 vcc_lo, 0, v111
	s_or_b32 s1, vcc_lo, s1
	s_wait_loadcnt_dscnt 0x0
	v_fmac_f32_e32 v110, v112, v113
	s_and_not1_b32 exec_lo, exec_lo, s1
	s_cbranch_execnz .LBB116_103
; %bb.104:
	s_or_b32 exec_lo, exec_lo, s1
.LBB116_105:
	s_delay_alu instid0(SALU_CYCLE_1)
	s_or_b32 exec_lo, exec_lo, s49
	v_mov_b32_e32 v111, 0
	ds_load_b32 v111, v111 offset:164
	s_wait_dscnt 0x0
	v_mul_f32_e32 v110, v110, v111
	scratch_store_b32 off, v110, off offset:164
.LBB116_106:
	s_wait_xcnt 0x0
	s_or_b32 exec_lo, exec_lo, s48
	scratch_load_b32 v110, off, off offset:160
	v_cmp_lt_u32_e64 s1, 40, v0
	s_wait_loadcnt 0x0
	ds_store_b32 v1, v110
	s_wait_storecnt_dscnt 0x0
	s_barrier_signal -1
	s_barrier_wait -1
	s_wait_xcnt 0x0
	s_and_saveexec_b32 s47, s1
	s_cbranch_execz .LBB116_116
; %bb.107:
	s_and_not1_b32 vcc_lo, exec_lo, s6
	s_cbranch_vccnz .LBB116_109
; %bb.108:
	scratch_load_b32 v110, v7, off
	ds_load_b32 v111, v1
	s_wait_loadcnt_dscnt 0x0
	v_mul_f32_e32 v110, v110, v111
	s_cbranch_execz .LBB116_110
	s_branch .LBB116_111
.LBB116_109:
                                        ; implicit-def: $vgpr110
.LBB116_110:
	ds_load_b32 v110, v1
.LBB116_111:
	s_and_saveexec_b32 s48, s0
	s_cbranch_execz .LBB116_115
; %bb.112:
	v_subrev_nc_u32_e32 v111, 41, v0
	s_movk_i32 s49, 0x184
	s_mov_b32 s0, 0
.LBB116_113:                            ; =>This Inner Loop Header: Depth=1
	scratch_load_b32 v112, off, s46
	v_dual_mov_b32 v113, s49 :: v_dual_add_nc_u32 v111, -1, v111
	s_add_co_i32 s49, s49, 4
	s_wait_xcnt 0x0
	s_add_co_i32 s46, s46, 4
	ds_load_b32 v113, v113
	v_cmp_eq_u32_e32 vcc_lo, 0, v111
	s_or_b32 s0, vcc_lo, s0
	s_wait_loadcnt_dscnt 0x0
	v_fmac_f32_e32 v110, v112, v113
	s_and_not1_b32 exec_lo, exec_lo, s0
	s_cbranch_execnz .LBB116_113
; %bb.114:
	s_or_b32 exec_lo, exec_lo, s0
.LBB116_115:
	s_delay_alu instid0(SALU_CYCLE_1)
	s_or_b32 exec_lo, exec_lo, s48
	v_mov_b32_e32 v111, 0
	ds_load_b32 v111, v111 offset:160
	s_wait_dscnt 0x0
	v_mul_f32_e32 v110, v110, v111
	scratch_store_b32 off, v110, off offset:160
.LBB116_116:
	;; [unrolled: 57-line block ×26, first 2 shown]
	s_wait_xcnt 0x0
	s_or_b32 exec_lo, exec_lo, s22
	scratch_load_b32 v110, off, off offset:60
	v_cmp_lt_u32_e64 s0, 15, v0
	s_wait_loadcnt 0x0
	ds_store_b32 v1, v110
	s_wait_storecnt_dscnt 0x0
	s_barrier_signal -1
	s_barrier_wait -1
	s_wait_xcnt 0x0
	s_and_saveexec_b32 s21, s0
	s_cbranch_execz .LBB116_366
; %bb.357:
	s_and_not1_b32 vcc_lo, exec_lo, s6
	s_cbranch_vccnz .LBB116_359
; %bb.358:
	scratch_load_b32 v110, v7, off
	ds_load_b32 v111, v1
	s_wait_loadcnt_dscnt 0x0
	v_mul_f32_e32 v110, v110, v111
	s_cbranch_execz .LBB116_360
	s_branch .LBB116_361
.LBB116_359:
                                        ; implicit-def: $vgpr110
.LBB116_360:
	ds_load_b32 v110, v1
.LBB116_361:
	s_and_saveexec_b32 s22, s1
	s_cbranch_execz .LBB116_365
; %bb.362:
	v_add_nc_u32_e32 v111, -16, v0
	s_movk_i32 s23, 0x120
	s_mov_b32 s1, 0
.LBB116_363:                            ; =>This Inner Loop Header: Depth=1
	scratch_load_b32 v112, off, s20
	v_dual_mov_b32 v113, s23 :: v_dual_add_nc_u32 v111, -1, v111
	s_add_co_i32 s23, s23, 4
	s_wait_xcnt 0x0
	s_add_co_i32 s20, s20, 4
	ds_load_b32 v113, v113
	v_cmp_eq_u32_e32 vcc_lo, 0, v111
	s_or_b32 s1, vcc_lo, s1
	s_wait_loadcnt_dscnt 0x0
	v_fmac_f32_e32 v110, v112, v113
	s_and_not1_b32 exec_lo, exec_lo, s1
	s_cbranch_execnz .LBB116_363
; %bb.364:
	s_or_b32 exec_lo, exec_lo, s1
.LBB116_365:
	s_delay_alu instid0(SALU_CYCLE_1)
	s_or_b32 exec_lo, exec_lo, s22
	v_mov_b32_e32 v111, 0
	ds_load_b32 v111, v111 offset:60
	s_wait_dscnt 0x0
	v_mul_f32_e32 v110, v110, v111
	scratch_store_b32 off, v110, off offset:60
.LBB116_366:
	s_wait_xcnt 0x0
	s_or_b32 exec_lo, exec_lo, s21
	scratch_load_b32 v110, off, off offset:56
	v_cmp_lt_u32_e64 s1, 14, v0
	s_wait_loadcnt 0x0
	ds_store_b32 v1, v110
	s_wait_storecnt_dscnt 0x0
	s_barrier_signal -1
	s_barrier_wait -1
	s_wait_xcnt 0x0
	s_and_saveexec_b32 s20, s1
	s_cbranch_execz .LBB116_376
; %bb.367:
	s_and_not1_b32 vcc_lo, exec_lo, s6
	s_cbranch_vccnz .LBB116_369
; %bb.368:
	scratch_load_b32 v110, v7, off
	ds_load_b32 v111, v1
	s_wait_loadcnt_dscnt 0x0
	v_mul_f32_e32 v110, v110, v111
	s_cbranch_execz .LBB116_370
	s_branch .LBB116_371
.LBB116_369:
                                        ; implicit-def: $vgpr110
.LBB116_370:
	ds_load_b32 v110, v1
.LBB116_371:
	s_and_saveexec_b32 s21, s0
	s_cbranch_execz .LBB116_375
; %bb.372:
	v_add_nc_u32_e32 v111, -15, v0
	s_movk_i32 s22, 0x11c
	s_mov_b32 s0, 0
.LBB116_373:                            ; =>This Inner Loop Header: Depth=1
	scratch_load_b32 v112, off, s19
	v_dual_mov_b32 v113, s22 :: v_dual_add_nc_u32 v111, -1, v111
	s_add_co_i32 s22, s22, 4
	s_wait_xcnt 0x0
	s_add_co_i32 s19, s19, 4
	ds_load_b32 v113, v113
	v_cmp_eq_u32_e32 vcc_lo, 0, v111
	s_or_b32 s0, vcc_lo, s0
	s_wait_loadcnt_dscnt 0x0
	v_fmac_f32_e32 v110, v112, v113
	s_and_not1_b32 exec_lo, exec_lo, s0
	s_cbranch_execnz .LBB116_373
; %bb.374:
	s_or_b32 exec_lo, exec_lo, s0
.LBB116_375:
	s_delay_alu instid0(SALU_CYCLE_1)
	s_or_b32 exec_lo, exec_lo, s21
	v_mov_b32_e32 v111, 0
	ds_load_b32 v111, v111 offset:56
	s_wait_dscnt 0x0
	v_mul_f32_e32 v110, v110, v111
	scratch_store_b32 off, v110, off offset:56
.LBB116_376:
	;; [unrolled: 57-line block ×15, first 2 shown]
	s_wait_xcnt 0x0
	s_or_b32 exec_lo, exec_lo, s7
	scratch_load_b32 v110, off, off
	s_mov_b32 s5, 0
	s_mov_b32 s1, exec_lo
	s_wait_loadcnt 0x0
	ds_store_b32 v1, v110
	s_wait_storecnt_dscnt 0x0
	s_barrier_signal -1
	s_barrier_wait -1
	s_wait_xcnt 0x0
	v_cmpx_ne_u32_e32 0, v0
	s_cbranch_execz .LBB116_516
; %bb.507:
	s_and_not1_b32 vcc_lo, exec_lo, s6
	s_cbranch_vccnz .LBB116_509
; %bb.508:
	scratch_load_b32 v110, v7, off
	ds_load_b32 v111, v1
	s_wait_loadcnt_dscnt 0x0
	v_mul_f32_e32 v110, v110, v111
	s_cbranch_execz .LBB116_510
	s_branch .LBB116_511
.LBB116_509:
                                        ; implicit-def: $vgpr110
.LBB116_510:
	ds_load_b32 v110, v1
.LBB116_511:
	s_and_saveexec_b32 s7, s0
	s_cbranch_execz .LBB116_515
; %bb.512:
	v_add_nc_u32_e32 v111, -1, v0
	s_movk_i32 s8, 0xe4
	s_mov_b32 s0, 0
.LBB116_513:                            ; =>This Inner Loop Header: Depth=1
	scratch_load_b32 v112, off, s4
	v_dual_mov_b32 v113, s8 :: v_dual_add_nc_u32 v111, -1, v111
	s_add_co_i32 s8, s8, 4
	s_wait_xcnt 0x0
	s_add_co_i32 s4, s4, 4
	ds_load_b32 v113, v113
	v_cmp_eq_u32_e32 vcc_lo, 0, v111
	s_or_b32 s0, vcc_lo, s0
	s_wait_loadcnt_dscnt 0x0
	v_fmac_f32_e32 v110, v112, v113
	s_and_not1_b32 exec_lo, exec_lo, s0
	s_cbranch_execnz .LBB116_513
; %bb.514:
	s_or_b32 exec_lo, exec_lo, s0
.LBB116_515:
	s_delay_alu instid0(SALU_CYCLE_1)
	s_or_b32 exec_lo, exec_lo, s7
	v_mov_b32_e32 v111, 0
	ds_load_b32 v111, v111
	s_wait_dscnt 0x0
	v_mul_f32_e32 v110, v110, v111
	scratch_store_b32 off, v110, off
.LBB116_516:
	s_wait_xcnt 0x0
	s_or_b32 exec_lo, exec_lo, s1
.LBB116_517:
	v_lshl_add_u64 v[158:159], v[8:9], 2, s[2:3]
	v_lshl_add_u64 v[156:157], v[10:11], 2, s[2:3]
	;; [unrolled: 1-line block ×51, first 2 shown]
	s_and_b32 vcc_lo, exec_lo, s5
	s_cbranch_vccz .LBB116_1029
; %bb.518:
	scratch_load_b32 v60, off, off offset:4
	v_cmp_eq_u32_e64 s0, 0, v0
	s_wait_loadcnt 0x0
	ds_store_b32 v1, v60
	s_wait_storecnt_dscnt 0x0
	s_barrier_signal -1
	s_barrier_wait -1
	s_wait_xcnt 0x0
	s_and_saveexec_b32 s1, s0
	s_cbranch_execz .LBB116_524
; %bb.519:
	s_and_b32 vcc_lo, exec_lo, s6
	s_cbranch_vccz .LBB116_521
; %bb.520:
	scratch_load_b32 v60, v7, off
	ds_load_b32 v61, v1
	s_wait_loadcnt_dscnt 0x0
	v_mul_f32_e32 v60, v60, v61
	s_cbranch_execz .LBB116_522
	s_branch .LBB116_523
.LBB116_521:
                                        ; implicit-def: $vgpr60
.LBB116_522:
	ds_load_b32 v60, v1
.LBB116_523:
	v_mov_b32_e32 v61, 0
	ds_load_b32 v61, v61 offset:4
	s_wait_dscnt 0x0
	v_mul_f32_e32 v60, v60, v61
	scratch_store_b32 off, v60, off offset:4
.LBB116_524:
	s_wait_xcnt 0x0
	s_or_b32 exec_lo, exec_lo, s1
	scratch_load_b32 v61, off, off offset:8
	v_cndmask_b32_e64 v60, 0, 1, s6
	s_mov_b32 s1, exec_lo
	s_wait_loadcnt 0x0
	ds_store_b32 v1, v61
	s_wait_storecnt_dscnt 0x0
	s_barrier_signal -1
	s_barrier_wait -1
	s_wait_xcnt 0x0
	v_cmpx_gt_u32_e32 2, v0
	s_cbranch_execz .LBB116_530
; %bb.525:
	s_and_not1_b32 vcc_lo, exec_lo, s6
	s_cbranch_vccnz .LBB116_527
; %bb.526:
	scratch_load_b32 v61, v7, off
	ds_load_b32 v62, v1
	s_wait_loadcnt_dscnt 0x0
	v_mul_f32_e32 v61, v61, v62
	s_cbranch_execz .LBB116_528
	s_branch .LBB116_529
.LBB116_527:
                                        ; implicit-def: $vgpr61
.LBB116_528:
	ds_load_b32 v61, v1
.LBB116_529:
	scratch_load_b32 v64, off, off offset:4
	v_mov_b32_e32 v62, 0
	ds_load_2addr_b32 v[62:63], v62 offset0:2 offset1:57
	s_wait_loadcnt_dscnt 0x0
	v_fma_f32 v63, v64, v63, v61
	s_delay_alu instid0(VALU_DEP_1) | instskip(NEXT) | instid1(VALU_DEP_1)
	v_cndmask_b32_e64 v61, v61, v63, s0
	v_mul_f32_e32 v61, v61, v62
	scratch_store_b32 off, v61, off offset:8
.LBB116_530:
	s_wait_xcnt 0x0
	s_or_b32 exec_lo, exec_lo, s1
	scratch_load_b32 v61, off, off offset:12
	s_mov_b32 s1, exec_lo
	s_wait_loadcnt 0x0
	ds_store_b32 v1, v61
	s_wait_storecnt_dscnt 0x0
	s_barrier_signal -1
	s_barrier_wait -1
	s_wait_xcnt 0x0
	v_cmpx_gt_u32_e32 3, v0
	s_cbranch_execz .LBB116_538
; %bb.531:
	v_cmp_ne_u32_e32 vcc_lo, 1, v60
	s_cbranch_vccnz .LBB116_533
; %bb.532:
	scratch_load_b32 v61, v7, off
	ds_load_b32 v62, v1
	s_wait_loadcnt_dscnt 0x0
	v_mul_f32_e32 v61, v61, v62
	s_cbranch_execz .LBB116_534
	s_branch .LBB116_535
.LBB116_533:
                                        ; implicit-def: $vgpr61
.LBB116_534:
	ds_load_b32 v61, v1
.LBB116_535:
	s_mov_b32 s2, exec_lo
	v_cmpx_ne_u32_e32 2, v0
	s_cbranch_execz .LBB116_537
; %bb.536:
	scratch_load_b32 v62, v7, off offset:4
	scratch_load_b32 v63, off, off offset:8
	ds_load_b32 v64, v1 offset:4
	v_mov_b32_e32 v65, 0
	ds_load_b32 v65, v65 offset:232
	s_wait_loadcnt_dscnt 0x101
	v_fmac_f32_e32 v61, v62, v64
	s_wait_loadcnt_dscnt 0x0
	s_delay_alu instid0(VALU_DEP_1) | instskip(NEXT) | instid1(VALU_DEP_1)
	v_fma_f32 v62, v63, v65, v61
	v_cndmask_b32_e64 v61, v61, v62, s0
.LBB116_537:
	s_or_b32 exec_lo, exec_lo, s2
	v_mov_b32_e32 v62, 0
	ds_load_b32 v62, v62 offset:12
	s_wait_dscnt 0x0
	v_mul_f32_e32 v61, v61, v62
	scratch_store_b32 off, v61, off offset:12
.LBB116_538:
	s_wait_xcnt 0x0
	s_or_b32 exec_lo, exec_lo, s1
	scratch_load_b32 v61, off, off offset:16
	s_mov_b32 s0, exec_lo
	s_wait_loadcnt 0x0
	ds_store_b32 v1, v61
	s_wait_storecnt_dscnt 0x0
	s_barrier_signal -1
	s_barrier_wait -1
	s_wait_xcnt 0x0
	v_cmpx_gt_u32_e32 4, v0
	s_cbranch_execz .LBB116_548
; %bb.539:
	v_cmp_ne_u32_e32 vcc_lo, 1, v60
	s_cbranch_vccnz .LBB116_541
; %bb.540:
	scratch_load_b32 v61, v7, off
	ds_load_b32 v62, v1
	s_wait_loadcnt_dscnt 0x0
	v_mul_f32_e32 v61, v61, v62
	s_cbranch_execz .LBB116_542
	s_branch .LBB116_543
.LBB116_541:
                                        ; implicit-def: $vgpr61
.LBB116_542:
	ds_load_b32 v61, v1
.LBB116_543:
	s_mov_b32 s1, exec_lo
	v_cmpx_ne_u32_e32 3, v0
	s_cbranch_execz .LBB116_547
; %bb.544:
	v_add_nc_u32_e32 v62, 0xe4, v6
	v_add3_u32 v63, 0, v6, 4
	v_mov_b32_e32 v64, v0
	s_mov_b32 s2, 0
.LBB116_545:                            ; =>This Inner Loop Header: Depth=1
	scratch_load_b32 v65, v63, off
	ds_load_b32 v66, v62
	v_dual_add_nc_u32 v64, 1, v64 :: v_dual_add_nc_u32 v62, 4, v62
	s_wait_xcnt 0x0
	v_add_nc_u32_e32 v63, 4, v63
	s_delay_alu instid0(VALU_DEP_2)
	v_cmp_lt_u32_e32 vcc_lo, 2, v64
	s_or_b32 s2, vcc_lo, s2
	s_wait_loadcnt_dscnt 0x0
	v_fmac_f32_e32 v61, v65, v66
	s_and_not1_b32 exec_lo, exec_lo, s2
	s_cbranch_execnz .LBB116_545
; %bb.546:
	s_or_b32 exec_lo, exec_lo, s2
.LBB116_547:
	s_delay_alu instid0(SALU_CYCLE_1)
	s_or_b32 exec_lo, exec_lo, s1
	v_mov_b32_e32 v62, 0
	ds_load_b32 v62, v62 offset:16
	s_wait_dscnt 0x0
	v_mul_f32_e32 v61, v61, v62
	scratch_store_b32 off, v61, off offset:16
.LBB116_548:
	s_wait_xcnt 0x0
	s_or_b32 exec_lo, exec_lo, s0
	scratch_load_b32 v61, off, off offset:20
	s_mov_b32 s0, exec_lo
	s_wait_loadcnt 0x0
	ds_store_b32 v1, v61
	s_wait_storecnt_dscnt 0x0
	s_barrier_signal -1
	s_barrier_wait -1
	s_wait_xcnt 0x0
	v_cmpx_gt_u32_e32 5, v0
	s_cbranch_execz .LBB116_558
; %bb.549:
	v_cmp_ne_u32_e32 vcc_lo, 1, v60
	s_cbranch_vccnz .LBB116_551
; %bb.550:
	scratch_load_b32 v61, v7, off
	ds_load_b32 v62, v1
	s_wait_loadcnt_dscnt 0x0
	v_mul_f32_e32 v61, v61, v62
	s_cbranch_execz .LBB116_552
	s_branch .LBB116_553
.LBB116_551:
                                        ; implicit-def: $vgpr61
.LBB116_552:
	ds_load_b32 v61, v1
.LBB116_553:
	s_mov_b32 s1, exec_lo
	v_cmpx_ne_u32_e32 4, v0
	s_cbranch_execz .LBB116_557
; %bb.554:
	v_add_nc_u32_e32 v62, 0xe4, v6
	v_add3_u32 v63, 0, v6, 4
	v_mov_b32_e32 v64, v0
	s_mov_b32 s2, 0
.LBB116_555:                            ; =>This Inner Loop Header: Depth=1
	scratch_load_b32 v65, v63, off
	ds_load_b32 v66, v62
	v_dual_add_nc_u32 v64, 1, v64 :: v_dual_add_nc_u32 v62, 4, v62
	s_wait_xcnt 0x0
	v_add_nc_u32_e32 v63, 4, v63
	s_delay_alu instid0(VALU_DEP_2)
	v_cmp_lt_u32_e32 vcc_lo, 3, v64
	s_or_b32 s2, vcc_lo, s2
	s_wait_loadcnt_dscnt 0x0
	v_fmac_f32_e32 v61, v65, v66
	s_and_not1_b32 exec_lo, exec_lo, s2
	s_cbranch_execnz .LBB116_555
; %bb.556:
	s_or_b32 exec_lo, exec_lo, s2
.LBB116_557:
	s_delay_alu instid0(SALU_CYCLE_1)
	s_or_b32 exec_lo, exec_lo, s1
	v_mov_b32_e32 v62, 0
	ds_load_b32 v62, v62 offset:20
	s_wait_dscnt 0x0
	v_mul_f32_e32 v61, v61, v62
	scratch_store_b32 off, v61, off offset:20
.LBB116_558:
	;; [unrolled: 59-line block ×46, first 2 shown]
	s_wait_xcnt 0x0
	s_or_b32 exec_lo, exec_lo, s0
	scratch_load_b32 v61, off, off offset:200
	s_mov_b32 s0, exec_lo
	s_wait_loadcnt 0x0
	ds_store_b32 v1, v61
	s_wait_storecnt_dscnt 0x0
	s_barrier_signal -1
	s_barrier_wait -1
	s_wait_xcnt 0x0
	v_cmpx_gt_u32_e32 50, v0
	s_cbranch_execz .LBB116_1008
; %bb.999:
	v_cmp_ne_u32_e32 vcc_lo, 1, v60
	s_cbranch_vccnz .LBB116_1001
; %bb.1000:
	scratch_load_b32 v61, v7, off
	ds_load_b32 v62, v1
	s_wait_loadcnt_dscnt 0x0
	v_mul_f32_e32 v61, v61, v62
	s_cbranch_execz .LBB116_1002
	s_branch .LBB116_1003
.LBB116_1001:
                                        ; implicit-def: $vgpr61
.LBB116_1002:
	ds_load_b32 v61, v1
.LBB116_1003:
	s_mov_b32 s1, exec_lo
	v_cmpx_ne_u32_e32 49, v0
	s_cbranch_execz .LBB116_1007
; %bb.1004:
	v_add_nc_u32_e32 v62, 0xe4, v6
	v_add3_u32 v63, 0, v6, 4
	v_mov_b32_e32 v64, v0
	s_mov_b32 s2, 0
.LBB116_1005:                           ; =>This Inner Loop Header: Depth=1
	scratch_load_b32 v65, v63, off
	ds_load_b32 v66, v62
	v_dual_add_nc_u32 v64, 1, v64 :: v_dual_add_nc_u32 v62, 4, v62
	s_wait_xcnt 0x0
	v_add_nc_u32_e32 v63, 4, v63
	s_delay_alu instid0(VALU_DEP_2)
	v_cmp_lt_u32_e32 vcc_lo, 48, v64
	s_or_b32 s2, vcc_lo, s2
	s_wait_loadcnt_dscnt 0x0
	v_fmac_f32_e32 v61, v65, v66
	s_and_not1_b32 exec_lo, exec_lo, s2
	s_cbranch_execnz .LBB116_1005
; %bb.1006:
	s_or_b32 exec_lo, exec_lo, s2
.LBB116_1007:
	s_delay_alu instid0(SALU_CYCLE_1)
	s_or_b32 exec_lo, exec_lo, s1
	v_mov_b32_e32 v62, 0
	ds_load_b32 v62, v62 offset:200
	s_wait_dscnt 0x0
	v_mul_f32_e32 v61, v61, v62
	scratch_store_b32 off, v61, off offset:200
.LBB116_1008:
	s_wait_xcnt 0x0
	s_or_b32 exec_lo, exec_lo, s0
	scratch_load_b32 v61, off, off offset:204
	v_cmp_gt_u32_e64 s0, 51, v0
	s_wait_loadcnt 0x0
	ds_store_b32 v1, v61
	s_wait_storecnt_dscnt 0x0
	s_barrier_signal -1
	s_barrier_wait -1
	s_wait_xcnt 0x0
	s_and_saveexec_b32 s1, s0
	s_cbranch_execz .LBB116_1018
; %bb.1009:
	v_cmp_ne_u32_e32 vcc_lo, 1, v60
	s_cbranch_vccnz .LBB116_1011
; %bb.1010:
	scratch_load_b32 v61, v7, off
	ds_load_b32 v62, v1
	s_wait_loadcnt_dscnt 0x0
	v_mul_f32_e32 v61, v61, v62
	s_cbranch_execz .LBB116_1012
	s_branch .LBB116_1013
.LBB116_1011:
                                        ; implicit-def: $vgpr61
.LBB116_1012:
	ds_load_b32 v61, v1
.LBB116_1013:
	s_mov_b32 s2, exec_lo
	v_cmpx_ne_u32_e32 50, v0
	s_cbranch_execz .LBB116_1017
; %bb.1014:
	v_add_nc_u32_e32 v62, 0xe4, v6
	v_add3_u32 v63, 0, v6, 4
	v_mov_b32_e32 v64, v0
	s_mov_b32 s3, 0
.LBB116_1015:                           ; =>This Inner Loop Header: Depth=1
	scratch_load_b32 v65, v63, off
	ds_load_b32 v66, v62
	v_dual_add_nc_u32 v64, 1, v64 :: v_dual_add_nc_u32 v62, 4, v62
	s_wait_xcnt 0x0
	v_add_nc_u32_e32 v63, 4, v63
	s_delay_alu instid0(VALU_DEP_2)
	v_cmp_lt_u32_e32 vcc_lo, 49, v64
	s_or_b32 s3, vcc_lo, s3
	s_wait_loadcnt_dscnt 0x0
	v_fmac_f32_e32 v61, v65, v66
	s_and_not1_b32 exec_lo, exec_lo, s3
	s_cbranch_execnz .LBB116_1015
; %bb.1016:
	s_or_b32 exec_lo, exec_lo, s3
.LBB116_1017:
	s_delay_alu instid0(SALU_CYCLE_1)
	s_or_b32 exec_lo, exec_lo, s2
	v_mov_b32_e32 v62, 0
	ds_load_b32 v62, v62 offset:204
	s_wait_dscnt 0x0
	v_mul_f32_e32 v61, v61, v62
	scratch_store_b32 off, v61, off offset:204
.LBB116_1018:
	s_wait_xcnt 0x0
	s_or_b32 exec_lo, exec_lo, s1
	scratch_load_b32 v61, off, off offset:208
	s_mov_b32 s1, exec_lo
	s_wait_loadcnt 0x0
	ds_store_b32 v1, v61
	s_wait_storecnt_dscnt 0x0
	s_barrier_signal -1
	s_barrier_wait -1
	s_wait_xcnt 0x0
	v_cmpx_ne_u32_e32 52, v0
	s_cbranch_execz .LBB116_1028
; %bb.1019:
	v_cmp_ne_u32_e32 vcc_lo, 1, v60
	s_cbranch_vccnz .LBB116_1021
; %bb.1020:
	scratch_load_b32 v7, v7, off
	ds_load_b32 v60, v1
	s_wait_loadcnt_dscnt 0x0
	v_mul_f32_e32 v7, v7, v60
	s_cbranch_execz .LBB116_1022
	s_branch .LBB116_1023
.LBB116_1021:
                                        ; implicit-def: $vgpr7
.LBB116_1022:
	ds_load_b32 v7, v1
.LBB116_1023:
	s_and_saveexec_b32 s2, s0
	s_cbranch_execz .LBB116_1027
; %bb.1024:
	v_add_nc_u32_e32 v1, 0xe4, v6
	v_add3_u32 v6, 0, v6, 4
	s_mov_b32 s0, 0
.LBB116_1025:                           ; =>This Inner Loop Header: Depth=1
	scratch_load_b32 v60, v6, off
	ds_load_b32 v61, v1
	v_dual_add_nc_u32 v0, 1, v0 :: v_dual_add_nc_u32 v1, 4, v1
	s_wait_xcnt 0x0
	v_add_nc_u32_e32 v6, 4, v6
	s_delay_alu instid0(VALU_DEP_2)
	v_cmp_lt_u32_e32 vcc_lo, 50, v0
	s_or_b32 s0, vcc_lo, s0
	s_wait_loadcnt_dscnt 0x0
	v_fmac_f32_e32 v7, v60, v61
	s_and_not1_b32 exec_lo, exec_lo, s0
	s_cbranch_execnz .LBB116_1025
; %bb.1026:
	s_or_b32 exec_lo, exec_lo, s0
.LBB116_1027:
	s_delay_alu instid0(SALU_CYCLE_1)
	s_or_b32 exec_lo, exec_lo, s2
	v_mov_b32_e32 v0, 0
	ds_load_b32 v0, v0 offset:208
	s_wait_dscnt 0x0
	v_mul_f32_e32 v0, v7, v0
	scratch_store_b32 off, v0, off offset:208
.LBB116_1028:
	s_wait_xcnt 0x0
	s_or_b32 exec_lo, exec_lo, s1
.LBB116_1029:
	scratch_load_b32 v0, off, off
	s_wait_loadcnt 0x0
	flat_store_b32 v[2:3], v0
	scratch_load_b32 v0, off, off offset:4
	s_wait_loadcnt 0x0
	flat_store_b32 v[4:5], v0
	scratch_load_b32 v0, off, off offset:8
	;; [unrolled: 3-line block ×52, first 2 shown]
	s_wait_loadcnt 0x0
	flat_store_b32 v[8:9], v0
.LBB116_1030:
	s_sendmsg sendmsg(MSG_DEALLOC_VGPRS)
	s_endpgm
	.section	.rodata,"a",@progbits
	.p2align	6, 0x0
	.amdhsa_kernel _ZN9rocsolver6v33100L18trti2_kernel_smallILi53EfPKPfEEv13rocblas_fill_17rocblas_diagonal_T1_iil
		.amdhsa_group_segment_fixed_size 436
		.amdhsa_private_segment_fixed_size 224
		.amdhsa_kernarg_size 32
		.amdhsa_user_sgpr_count 2
		.amdhsa_user_sgpr_dispatch_ptr 0
		.amdhsa_user_sgpr_queue_ptr 0
		.amdhsa_user_sgpr_kernarg_segment_ptr 1
		.amdhsa_user_sgpr_dispatch_id 0
		.amdhsa_user_sgpr_kernarg_preload_length 0
		.amdhsa_user_sgpr_kernarg_preload_offset 0
		.amdhsa_user_sgpr_private_segment_size 0
		.amdhsa_wavefront_size32 1
		.amdhsa_uses_dynamic_stack 0
		.amdhsa_enable_private_segment 1
		.amdhsa_system_sgpr_workgroup_id_x 1
		.amdhsa_system_sgpr_workgroup_id_y 0
		.amdhsa_system_sgpr_workgroup_id_z 0
		.amdhsa_system_sgpr_workgroup_info 0
		.amdhsa_system_vgpr_workitem_id 0
		.amdhsa_next_free_vgpr 160
		.amdhsa_next_free_sgpr 59
		.amdhsa_named_barrier_count 0
		.amdhsa_reserve_vcc 1
		.amdhsa_float_round_mode_32 0
		.amdhsa_float_round_mode_16_64 0
		.amdhsa_float_denorm_mode_32 3
		.amdhsa_float_denorm_mode_16_64 3
		.amdhsa_fp16_overflow 0
		.amdhsa_memory_ordered 1
		.amdhsa_forward_progress 1
		.amdhsa_inst_pref_size 240
		.amdhsa_round_robin_scheduling 0
		.amdhsa_exception_fp_ieee_invalid_op 0
		.amdhsa_exception_fp_denorm_src 0
		.amdhsa_exception_fp_ieee_div_zero 0
		.amdhsa_exception_fp_ieee_overflow 0
		.amdhsa_exception_fp_ieee_underflow 0
		.amdhsa_exception_fp_ieee_inexact 0
		.amdhsa_exception_int_div_zero 0
	.end_amdhsa_kernel
	.section	.text._ZN9rocsolver6v33100L18trti2_kernel_smallILi53EfPKPfEEv13rocblas_fill_17rocblas_diagonal_T1_iil,"axG",@progbits,_ZN9rocsolver6v33100L18trti2_kernel_smallILi53EfPKPfEEv13rocblas_fill_17rocblas_diagonal_T1_iil,comdat
.Lfunc_end116:
	.size	_ZN9rocsolver6v33100L18trti2_kernel_smallILi53EfPKPfEEv13rocblas_fill_17rocblas_diagonal_T1_iil, .Lfunc_end116-_ZN9rocsolver6v33100L18trti2_kernel_smallILi53EfPKPfEEv13rocblas_fill_17rocblas_diagonal_T1_iil
                                        ; -- End function
	.set _ZN9rocsolver6v33100L18trti2_kernel_smallILi53EfPKPfEEv13rocblas_fill_17rocblas_diagonal_T1_iil.num_vgpr, 160
	.set _ZN9rocsolver6v33100L18trti2_kernel_smallILi53EfPKPfEEv13rocblas_fill_17rocblas_diagonal_T1_iil.num_agpr, 0
	.set _ZN9rocsolver6v33100L18trti2_kernel_smallILi53EfPKPfEEv13rocblas_fill_17rocblas_diagonal_T1_iil.numbered_sgpr, 59
	.set _ZN9rocsolver6v33100L18trti2_kernel_smallILi53EfPKPfEEv13rocblas_fill_17rocblas_diagonal_T1_iil.num_named_barrier, 0
	.set _ZN9rocsolver6v33100L18trti2_kernel_smallILi53EfPKPfEEv13rocblas_fill_17rocblas_diagonal_T1_iil.private_seg_size, 224
	.set _ZN9rocsolver6v33100L18trti2_kernel_smallILi53EfPKPfEEv13rocblas_fill_17rocblas_diagonal_T1_iil.uses_vcc, 1
	.set _ZN9rocsolver6v33100L18trti2_kernel_smallILi53EfPKPfEEv13rocblas_fill_17rocblas_diagonal_T1_iil.uses_flat_scratch, 0
	.set _ZN9rocsolver6v33100L18trti2_kernel_smallILi53EfPKPfEEv13rocblas_fill_17rocblas_diagonal_T1_iil.has_dyn_sized_stack, 0
	.set _ZN9rocsolver6v33100L18trti2_kernel_smallILi53EfPKPfEEv13rocblas_fill_17rocblas_diagonal_T1_iil.has_recursion, 0
	.set _ZN9rocsolver6v33100L18trti2_kernel_smallILi53EfPKPfEEv13rocblas_fill_17rocblas_diagonal_T1_iil.has_indirect_call, 0
	.section	.AMDGPU.csdata,"",@progbits
; Kernel info:
; codeLenInByte = 30644
; TotalNumSgprs: 61
; NumVgprs: 160
; ScratchSize: 224
; MemoryBound: 0
; FloatMode: 240
; IeeeMode: 1
; LDSByteSize: 436 bytes/workgroup (compile time only)
; SGPRBlocks: 0
; VGPRBlocks: 9
; NumSGPRsForWavesPerEU: 61
; NumVGPRsForWavesPerEU: 160
; NamedBarCnt: 0
; Occupancy: 6
; WaveLimiterHint : 1
; COMPUTE_PGM_RSRC2:SCRATCH_EN: 1
; COMPUTE_PGM_RSRC2:USER_SGPR: 2
; COMPUTE_PGM_RSRC2:TRAP_HANDLER: 0
; COMPUTE_PGM_RSRC2:TGID_X_EN: 1
; COMPUTE_PGM_RSRC2:TGID_Y_EN: 0
; COMPUTE_PGM_RSRC2:TGID_Z_EN: 0
; COMPUTE_PGM_RSRC2:TIDIG_COMP_CNT: 0
	.section	.text._ZN9rocsolver6v33100L18trti2_kernel_smallILi54EfPKPfEEv13rocblas_fill_17rocblas_diagonal_T1_iil,"axG",@progbits,_ZN9rocsolver6v33100L18trti2_kernel_smallILi54EfPKPfEEv13rocblas_fill_17rocblas_diagonal_T1_iil,comdat
	.globl	_ZN9rocsolver6v33100L18trti2_kernel_smallILi54EfPKPfEEv13rocblas_fill_17rocblas_diagonal_T1_iil ; -- Begin function _ZN9rocsolver6v33100L18trti2_kernel_smallILi54EfPKPfEEv13rocblas_fill_17rocblas_diagonal_T1_iil
	.p2align	8
	.type	_ZN9rocsolver6v33100L18trti2_kernel_smallILi54EfPKPfEEv13rocblas_fill_17rocblas_diagonal_T1_iil,@function
_ZN9rocsolver6v33100L18trti2_kernel_smallILi54EfPKPfEEv13rocblas_fill_17rocblas_diagonal_T1_iil: ; @_ZN9rocsolver6v33100L18trti2_kernel_smallILi54EfPKPfEEv13rocblas_fill_17rocblas_diagonal_T1_iil
; %bb.0:
	s_mov_b32 s2, exec_lo
	v_cmpx_gt_u32_e32 54, v0
	s_cbranch_execz .LBB117_1050
; %bb.1:
	s_clause 0x1
	s_load_b64 s[2:3], s[0:1], 0x10
	s_load_b128 s[4:7], s[0:1], 0x0
	s_wait_xcnt 0x0
	s_bfe_u32 s0, ttmp6, 0x4000c
	s_and_b32 s1, ttmp6, 15
	s_add_co_i32 s0, s0, 1
	s_getreg_b32 s8, hwreg(HW_REG_IB_STS2, 6, 4)
	s_mul_i32 s0, ttmp9, s0
	v_dual_mov_b32 v7, 0 :: v_dual_lshlrev_b32 v6, 2, v0
	s_add_co_i32 s0, s1, s0
	v_mov_b32_e32 v112, -1.0
	s_wait_kmcnt 0x0
	s_ashr_i32 s1, s2, 31
	s_cmp_eq_u32 s8, 0
	v_add3_u32 v8, s3, s3, v0
	s_cselect_b32 s8, ttmp9, s0
	s_mov_b32 s0, s2
	s_ashr_i32 s9, s8, 31
	s_lshl_b64 s[0:1], s[0:1], 2
	s_lshl_b64 s[8:9], s[8:9], 3
	v_add_nc_u32_e32 v10, s3, v8
	s_add_nc_u64 s[6:7], s[6:7], s[8:9]
	v_ashrrev_i32_e32 v9, 31, v8
	s_load_b64 s[6:7], s[6:7], 0x0
	s_delay_alu instid0(VALU_DEP_2) | instskip(NEXT) | instid1(VALU_DEP_1)
	v_add_nc_u32_e32 v12, s3, v10
	v_add_nc_u32_e32 v14, s3, v12
	s_delay_alu instid0(VALU_DEP_1) | instskip(NEXT) | instid1(VALU_DEP_1)
	v_add_nc_u32_e32 v16, s3, v14
	v_dual_ashrrev_i32 v11, 31, v10 :: v_dual_add_nc_u32 v18, s3, v16
	v_ashrrev_i32_e32 v13, 31, v12
	s_wait_kmcnt 0x0
	s_add_nc_u64 s[6:7], s[6:7], s[0:1]
	s_mov_b32 s0, s3
	flat_load_b32 v1, v0, s[6:7] scale_offset
	v_add_nc_u64_e32 v[2:3], s[6:7], v[6:7]
	s_ashr_i32 s1, s3, 31
	v_add_nc_u32_e32 v20, s3, v18
	v_ashrrev_i32_e32 v15, 31, v14
	v_ashrrev_i32_e32 v19, 31, v18
	s_cmp_lg_u32 s5, 0x84
	s_delay_alu instid0(VALU_DEP_4) | instskip(SKIP_2) | instid1(VALU_DEP_1)
	v_lshl_add_u64 v[4:5], s[0:1], 2, v[2:3]
	v_add_nc_u32_e32 v22, s3, v20
	s_movk_i32 s1, 0x84
	v_add_nc_u32_e32 v24, s3, v22
	s_delay_alu instid0(VALU_DEP_1) | instskip(NEXT) | instid1(VALU_DEP_1)
	v_add_nc_u32_e32 v26, s3, v24
	v_dual_add_nc_u32 v28, s3, v26 :: v_dual_ashrrev_i32 v17, 31, v16
	s_delay_alu instid0(VALU_DEP_1) | instskip(NEXT) | instid1(VALU_DEP_1)
	v_dual_ashrrev_i32 v23, 31, v22 :: v_dual_add_nc_u32 v30, s3, v28
	v_dual_ashrrev_i32 v25, 31, v24 :: v_dual_ashrrev_i32 v31, 31, v30
	v_dual_add_nc_u32 v32, s3, v30 :: v_dual_ashrrev_i32 v21, 31, v20
	s_delay_alu instid0(VALU_DEP_1) | instskip(NEXT) | instid1(VALU_DEP_1)
	v_dual_ashrrev_i32 v27, 31, v26 :: v_dual_add_nc_u32 v34, s3, v32
	v_add_nc_u32_e32 v36, s3, v34
	s_delay_alu instid0(VALU_DEP_1) | instskip(NEXT) | instid1(VALU_DEP_1)
	v_add_nc_u32_e32 v38, s3, v36
	v_dual_add_nc_u32 v40, s3, v38 :: v_dual_ashrrev_i32 v29, 31, v28
	s_delay_alu instid0(VALU_DEP_1) | instskip(NEXT) | instid1(VALU_DEP_1)
	v_dual_ashrrev_i32 v35, 31, v34 :: v_dual_add_nc_u32 v42, s3, v40
	v_dual_ashrrev_i32 v37, 31, v36 :: v_dual_ashrrev_i32 v43, 31, v42
	v_dual_add_nc_u32 v44, s3, v42 :: v_dual_ashrrev_i32 v33, 31, v32
	s_delay_alu instid0(VALU_DEP_1) | instskip(NEXT) | instid1(VALU_DEP_1)
	v_dual_ashrrev_i32 v39, 31, v38 :: v_dual_add_nc_u32 v46, s3, v44
	;; [unrolled: 10-line block ×7, first 2 shown]
	v_dual_ashrrev_i32 v101, 31, v100 :: v_dual_ashrrev_i32 v107, 31, v106
	v_add_nc_u32_e32 v108, s3, v106
	s_delay_alu instid0(VALU_DEP_1)
	v_add_nc_u32_e32 v110, s3, v108
	v_ashrrev_i32_e32 v105, 31, v104
	v_ashrrev_i32_e32 v109, 31, v108
	s_cselect_b32 s3, -1, 0
	s_cmp_eq_u32 s5, 0x84
	v_ashrrev_i32_e32 v111, 31, v110
	s_wait_loadcnt_dscnt 0x0
	scratch_store_b32 off, v1, off
	flat_load_b32 v1, v[4:5]
	s_wait_loadcnt_dscnt 0x0
	scratch_store_b32 off, v1, off offset:4
	flat_load_b32 v1, v8, s[6:7] scale_offset
	s_wait_loadcnt_dscnt 0x0
	scratch_store_b32 off, v1, off offset:8
	flat_load_b32 v1, v10, s[6:7] scale_offset
	;; [unrolled: 3-line block ×52, first 2 shown]
	s_wait_loadcnt_dscnt 0x0
	scratch_store_b32 off, v1, off offset:212
	s_cbranch_scc1 .LBB117_3
; %bb.2:
	scratch_load_b32 v1, v0, off scale_offset
	s_wait_loadcnt 0x0
	v_div_scale_f32 v7, null, v1, v1, 1.0
	s_delay_alu instid0(VALU_DEP_1) | instskip(SKIP_1) | instid1(TRANS32_DEP_1)
	v_rcp_f32_e32 v112, v7
	v_nop
	v_fma_f32 v113, -v7, v112, 1.0
	s_delay_alu instid0(VALU_DEP_1) | instskip(SKIP_1) | instid1(VALU_DEP_1)
	v_fmac_f32_e32 v112, v113, v112
	v_div_scale_f32 v113, vcc_lo, 1.0, v1, 1.0
	v_mul_f32_e32 v114, v113, v112
	s_delay_alu instid0(VALU_DEP_1) | instskip(NEXT) | instid1(VALU_DEP_1)
	v_fma_f32 v115, -v7, v114, v113
	v_fmac_f32_e32 v114, v115, v112
	s_delay_alu instid0(VALU_DEP_1) | instskip(NEXT) | instid1(VALU_DEP_1)
	v_fma_f32 v7, -v7, v114, v113
	v_div_fmas_f32 v7, v7, v112, v114
	s_delay_alu instid0(VALU_DEP_1) | instskip(NEXT) | instid1(VALU_DEP_1)
	v_div_fixup_f32 v1, v7, v1, 1.0
	v_xor_b32_e32 v112, 0x80000000, v1
	scratch_store_b32 v0, v1, off scale_offset
.LBB117_3:
	s_wait_xcnt 0x0
	v_add_nc_u32_e32 v1, 0xe0, v6
	v_mov_b32_e32 v7, v6
	s_cmp_eq_u32 s4, 0x79
	s_mov_b32 s2, -1
	ds_store_b32 v6, v112
	s_cbranch_scc1 .LBB117_527
; %bb.4:
	scratch_load_b32 v112, off, off offset:208
	v_cmp_eq_u32_e64 s0, 53, v0
	s_movk_i32 s21, 0x44
	s_movk_i32 s22, 0x48
	;; [unrolled: 1-line block ×34, first 2 shown]
	s_wait_loadcnt 0x0
	ds_store_b32 v1, v112
	s_wait_storecnt_dscnt 0x0
	s_barrier_signal -1
	s_barrier_wait -1
	s_wait_xcnt 0x0
	s_and_saveexec_b32 s2, s0
	s_cbranch_execz .LBB117_10
; %bb.5:
	s_and_b32 vcc_lo, exec_lo, s3
	s_cbranch_vccz .LBB117_7
; %bb.6:
	scratch_load_b32 v112, v7, off
	ds_load_b32 v113, v1
	s_wait_loadcnt_dscnt 0x0
	v_mul_f32_e32 v112, v112, v113
	s_cbranch_execz .LBB117_8
	s_branch .LBB117_9
.LBB117_7:
                                        ; implicit-def: $vgpr112
.LBB117_8:
	ds_load_b32 v112, v1
.LBB117_9:
	v_mov_b32_e32 v113, 0
	ds_load_b32 v113, v113 offset:208
	s_wait_dscnt 0x0
	v_mul_f32_e32 v112, v112, v113
	scratch_store_b32 off, v112, off offset:208
.LBB117_10:
	s_wait_xcnt 0x0
	s_or_b32 exec_lo, exec_lo, s2
	scratch_load_b32 v112, off, off offset:204
	s_mov_b32 s38, s1
	v_cmp_lt_u32_e64 s1, 51, v0
	s_or_b32 s4, 0, 4
	s_or_b32 s5, 0, 8
	;; [unrolled: 1-line block ×3, first 2 shown]
	s_mov_b32 s2, 16
	s_mov_b32 s9, 20
	;; [unrolled: 1-line block ×13, first 2 shown]
	s_wait_loadcnt 0x0
	ds_store_b32 v1, v112
	s_wait_storecnt_dscnt 0x0
	s_barrier_signal -1
	s_barrier_wait -1
	s_wait_xcnt 0x0
	s_and_saveexec_b32 s57, s1
	s_cbranch_execz .LBB117_16
; %bb.11:
	s_and_not1_b32 vcc_lo, exec_lo, s3
	s_cbranch_vccnz .LBB117_13
; %bb.12:
	scratch_load_b32 v112, v7, off
	ds_load_b32 v113, v1
	s_wait_loadcnt_dscnt 0x0
	v_mul_f32_e32 v112, v112, v113
	s_cbranch_execz .LBB117_14
	s_branch .LBB117_15
.LBB117_13:
                                        ; implicit-def: $vgpr112
.LBB117_14:
	ds_load_b32 v112, v1
.LBB117_15:
	scratch_load_b32 v113, off, off offset:208
	v_mov_b32_e32 v114, 0
	ds_load_2addr_b32 v[114:115], v114 offset0:51 offset1:108
	s_wait_loadcnt_dscnt 0x0
	v_fma_f32 v113, v113, v115, v112
	s_delay_alu instid0(VALU_DEP_1) | instskip(NEXT) | instid1(VALU_DEP_1)
	v_cndmask_b32_e64 v112, v112, v113, s0
	v_mul_f32_e32 v112, v112, v114
	scratch_store_b32 off, v112, off offset:204
.LBB117_16:
	s_wait_xcnt 0x0
	s_or_b32 exec_lo, exec_lo, s57
	scratch_load_b32 v112, off, off offset:200
	v_cmp_lt_u32_e64 s0, 50, v0
	s_wait_loadcnt 0x0
	ds_store_b32 v1, v112
	s_wait_storecnt_dscnt 0x0
	s_barrier_signal -1
	s_barrier_wait -1
	s_wait_xcnt 0x0
	s_and_saveexec_b32 s57, s0
	s_cbranch_execz .LBB117_26
; %bb.17:
	s_and_not1_b32 vcc_lo, exec_lo, s3
	s_cbranch_vccnz .LBB117_19
; %bb.18:
	scratch_load_b32 v112, v7, off
	ds_load_b32 v113, v1
	s_wait_loadcnt_dscnt 0x0
	v_mul_f32_e32 v112, v112, v113
	s_cbranch_execz .LBB117_20
	s_branch .LBB117_21
.LBB117_19:
                                        ; implicit-def: $vgpr112
.LBB117_20:
	ds_load_b32 v112, v1
.LBB117_21:
	s_and_saveexec_b32 s58, s1
	s_cbranch_execz .LBB117_25
; %bb.22:
	v_subrev_nc_u32_e32 v113, 51, v0
	s_movk_i32 s59, 0x1ac
	s_mov_b32 s1, 0
.LBB117_23:                             ; =>This Inner Loop Header: Depth=1
	scratch_load_b32 v114, off, s56
	v_dual_mov_b32 v115, s59 :: v_dual_add_nc_u32 v113, -1, v113
	s_add_co_i32 s59, s59, 4
	s_wait_xcnt 0x0
	s_add_co_i32 s56, s56, 4
	ds_load_b32 v115, v115
	v_cmp_eq_u32_e32 vcc_lo, 0, v113
	s_or_b32 s1, vcc_lo, s1
	s_wait_loadcnt_dscnt 0x0
	v_fmac_f32_e32 v112, v114, v115
	s_and_not1_b32 exec_lo, exec_lo, s1
	s_cbranch_execnz .LBB117_23
; %bb.24:
	s_or_b32 exec_lo, exec_lo, s1
.LBB117_25:
	s_delay_alu instid0(SALU_CYCLE_1)
	s_or_b32 exec_lo, exec_lo, s58
	v_mov_b32_e32 v113, 0
	ds_load_b32 v113, v113 offset:200
	s_wait_dscnt 0x0
	v_mul_f32_e32 v112, v112, v113
	scratch_store_b32 off, v112, off offset:200
.LBB117_26:
	s_wait_xcnt 0x0
	s_or_b32 exec_lo, exec_lo, s57
	scratch_load_b32 v112, off, off offset:196
	v_cmp_lt_u32_e64 s1, 49, v0
	s_wait_loadcnt 0x0
	ds_store_b32 v1, v112
	s_wait_storecnt_dscnt 0x0
	s_barrier_signal -1
	s_barrier_wait -1
	s_wait_xcnt 0x0
	s_and_saveexec_b32 s56, s1
	s_cbranch_execz .LBB117_36
; %bb.27:
	s_and_not1_b32 vcc_lo, exec_lo, s3
	s_cbranch_vccnz .LBB117_29
; %bb.28:
	scratch_load_b32 v112, v7, off
	ds_load_b32 v113, v1
	s_wait_loadcnt_dscnt 0x0
	v_mul_f32_e32 v112, v112, v113
	s_cbranch_execz .LBB117_30
	s_branch .LBB117_31
.LBB117_29:
                                        ; implicit-def: $vgpr112
.LBB117_30:
	ds_load_b32 v112, v1
.LBB117_31:
	s_and_saveexec_b32 s57, s0
	s_cbranch_execz .LBB117_35
; %bb.32:
	v_subrev_nc_u32_e32 v113, 50, v0
	s_movk_i32 s58, 0x1a8
	s_mov_b32 s0, 0
.LBB117_33:                             ; =>This Inner Loop Header: Depth=1
	scratch_load_b32 v114, off, s55
	v_dual_mov_b32 v115, s58 :: v_dual_add_nc_u32 v113, -1, v113
	s_add_co_i32 s58, s58, 4
	s_wait_xcnt 0x0
	s_add_co_i32 s55, s55, 4
	ds_load_b32 v115, v115
	v_cmp_eq_u32_e32 vcc_lo, 0, v113
	s_or_b32 s0, vcc_lo, s0
	s_wait_loadcnt_dscnt 0x0
	v_fmac_f32_e32 v112, v114, v115
	s_and_not1_b32 exec_lo, exec_lo, s0
	s_cbranch_execnz .LBB117_33
; %bb.34:
	s_or_b32 exec_lo, exec_lo, s0
.LBB117_35:
	s_delay_alu instid0(SALU_CYCLE_1)
	s_or_b32 exec_lo, exec_lo, s57
	v_mov_b32_e32 v113, 0
	ds_load_b32 v113, v113 offset:196
	s_wait_dscnt 0x0
	v_mul_f32_e32 v112, v112, v113
	scratch_store_b32 off, v112, off offset:196
.LBB117_36:
	;; [unrolled: 57-line block ×8, first 2 shown]
	s_wait_xcnt 0x0
	s_or_b32 exec_lo, exec_lo, s50
	scratch_load_b32 v112, off, off offset:168
	v_cmp_lt_u32_e64 s0, 42, v0
	s_wait_loadcnt 0x0
	ds_store_b32 v1, v112
	s_wait_storecnt_dscnt 0x0
	s_barrier_signal -1
	s_barrier_wait -1
	s_wait_xcnt 0x0
	s_and_saveexec_b32 s49, s0
	s_cbranch_execz .LBB117_106
; %bb.97:
	s_and_not1_b32 vcc_lo, exec_lo, s3
	s_cbranch_vccnz .LBB117_99
; %bb.98:
	scratch_load_b32 v112, v7, off
	ds_load_b32 v113, v1
	s_wait_loadcnt_dscnt 0x0
	v_mul_f32_e32 v112, v112, v113
	s_cbranch_execz .LBB117_100
	s_branch .LBB117_101
.LBB117_99:
                                        ; implicit-def: $vgpr112
.LBB117_100:
	ds_load_b32 v112, v1
.LBB117_101:
	s_and_saveexec_b32 s50, s1
	s_cbranch_execz .LBB117_105
; %bb.102:
	v_subrev_nc_u32_e32 v113, 43, v0
	s_movk_i32 s51, 0x18c
	s_mov_b32 s1, 0
.LBB117_103:                            ; =>This Inner Loop Header: Depth=1
	scratch_load_b32 v114, off, s48
	v_dual_mov_b32 v115, s51 :: v_dual_add_nc_u32 v113, -1, v113
	s_add_co_i32 s51, s51, 4
	s_wait_xcnt 0x0
	s_add_co_i32 s48, s48, 4
	ds_load_b32 v115, v115
	v_cmp_eq_u32_e32 vcc_lo, 0, v113
	s_or_b32 s1, vcc_lo, s1
	s_wait_loadcnt_dscnt 0x0
	v_fmac_f32_e32 v112, v114, v115
	s_and_not1_b32 exec_lo, exec_lo, s1
	s_cbranch_execnz .LBB117_103
; %bb.104:
	s_or_b32 exec_lo, exec_lo, s1
.LBB117_105:
	s_delay_alu instid0(SALU_CYCLE_1)
	s_or_b32 exec_lo, exec_lo, s50
	v_mov_b32_e32 v113, 0
	ds_load_b32 v113, v113 offset:168
	s_wait_dscnt 0x0
	v_mul_f32_e32 v112, v112, v113
	scratch_store_b32 off, v112, off offset:168
.LBB117_106:
	s_wait_xcnt 0x0
	s_or_b32 exec_lo, exec_lo, s49
	scratch_load_b32 v112, off, off offset:164
	v_cmp_lt_u32_e64 s1, 41, v0
	s_wait_loadcnt 0x0
	ds_store_b32 v1, v112
	s_wait_storecnt_dscnt 0x0
	s_barrier_signal -1
	s_barrier_wait -1
	s_wait_xcnt 0x0
	s_and_saveexec_b32 s48, s1
	s_cbranch_execz .LBB117_116
; %bb.107:
	s_and_not1_b32 vcc_lo, exec_lo, s3
	s_cbranch_vccnz .LBB117_109
; %bb.108:
	scratch_load_b32 v112, v7, off
	ds_load_b32 v113, v1
	s_wait_loadcnt_dscnt 0x0
	v_mul_f32_e32 v112, v112, v113
	s_cbranch_execz .LBB117_110
	s_branch .LBB117_111
.LBB117_109:
                                        ; implicit-def: $vgpr112
.LBB117_110:
	ds_load_b32 v112, v1
.LBB117_111:
	s_and_saveexec_b32 s49, s0
	s_cbranch_execz .LBB117_115
; %bb.112:
	v_subrev_nc_u32_e32 v113, 42, v0
	s_movk_i32 s50, 0x188
	s_mov_b32 s0, 0
.LBB117_113:                            ; =>This Inner Loop Header: Depth=1
	scratch_load_b32 v114, off, s47
	v_dual_mov_b32 v115, s50 :: v_dual_add_nc_u32 v113, -1, v113
	s_add_co_i32 s50, s50, 4
	s_wait_xcnt 0x0
	s_add_co_i32 s47, s47, 4
	ds_load_b32 v115, v115
	v_cmp_eq_u32_e32 vcc_lo, 0, v113
	s_or_b32 s0, vcc_lo, s0
	s_wait_loadcnt_dscnt 0x0
	v_fmac_f32_e32 v112, v114, v115
	s_and_not1_b32 exec_lo, exec_lo, s0
	s_cbranch_execnz .LBB117_113
; %bb.114:
	s_or_b32 exec_lo, exec_lo, s0
.LBB117_115:
	s_delay_alu instid0(SALU_CYCLE_1)
	s_or_b32 exec_lo, exec_lo, s49
	v_mov_b32_e32 v113, 0
	ds_load_b32 v113, v113 offset:164
	s_wait_dscnt 0x0
	v_mul_f32_e32 v112, v112, v113
	scratch_store_b32 off, v112, off offset:164
.LBB117_116:
	;; [unrolled: 57-line block ×27, first 2 shown]
	s_wait_xcnt 0x0
	s_or_b32 exec_lo, exec_lo, s22
	scratch_load_b32 v112, off, off offset:60
	v_cmp_lt_u32_e64 s1, 15, v0
	s_wait_loadcnt 0x0
	ds_store_b32 v1, v112
	s_wait_storecnt_dscnt 0x0
	s_barrier_signal -1
	s_barrier_wait -1
	s_wait_xcnt 0x0
	s_and_saveexec_b32 s21, s1
	s_cbranch_execz .LBB117_376
; %bb.367:
	s_and_not1_b32 vcc_lo, exec_lo, s3
	s_cbranch_vccnz .LBB117_369
; %bb.368:
	scratch_load_b32 v112, v7, off
	ds_load_b32 v113, v1
	s_wait_loadcnt_dscnt 0x0
	v_mul_f32_e32 v112, v112, v113
	s_cbranch_execz .LBB117_370
	s_branch .LBB117_371
.LBB117_369:
                                        ; implicit-def: $vgpr112
.LBB117_370:
	ds_load_b32 v112, v1
.LBB117_371:
	s_and_saveexec_b32 s22, s0
	s_cbranch_execz .LBB117_375
; %bb.372:
	v_add_nc_u32_e32 v113, -16, v0
	s_movk_i32 s23, 0x120
	s_mov_b32 s0, 0
.LBB117_373:                            ; =>This Inner Loop Header: Depth=1
	scratch_load_b32 v114, off, s20
	v_dual_mov_b32 v115, s23 :: v_dual_add_nc_u32 v113, -1, v113
	s_add_co_i32 s23, s23, 4
	s_wait_xcnt 0x0
	s_add_co_i32 s20, s20, 4
	ds_load_b32 v115, v115
	v_cmp_eq_u32_e32 vcc_lo, 0, v113
	s_or_b32 s0, vcc_lo, s0
	s_wait_loadcnt_dscnt 0x0
	v_fmac_f32_e32 v112, v114, v115
	s_and_not1_b32 exec_lo, exec_lo, s0
	s_cbranch_execnz .LBB117_373
; %bb.374:
	s_or_b32 exec_lo, exec_lo, s0
.LBB117_375:
	s_delay_alu instid0(SALU_CYCLE_1)
	s_or_b32 exec_lo, exec_lo, s22
	v_mov_b32_e32 v113, 0
	ds_load_b32 v113, v113 offset:60
	s_wait_dscnt 0x0
	v_mul_f32_e32 v112, v112, v113
	scratch_store_b32 off, v112, off offset:60
.LBB117_376:
	s_wait_xcnt 0x0
	s_or_b32 exec_lo, exec_lo, s21
	scratch_load_b32 v112, off, off offset:56
	v_cmp_lt_u32_e64 s0, 14, v0
	s_wait_loadcnt 0x0
	ds_store_b32 v1, v112
	s_wait_storecnt_dscnt 0x0
	s_barrier_signal -1
	s_barrier_wait -1
	s_wait_xcnt 0x0
	s_and_saveexec_b32 s20, s0
	s_cbranch_execz .LBB117_386
; %bb.377:
	s_and_not1_b32 vcc_lo, exec_lo, s3
	s_cbranch_vccnz .LBB117_379
; %bb.378:
	scratch_load_b32 v112, v7, off
	ds_load_b32 v113, v1
	s_wait_loadcnt_dscnt 0x0
	v_mul_f32_e32 v112, v112, v113
	s_cbranch_execz .LBB117_380
	s_branch .LBB117_381
.LBB117_379:
                                        ; implicit-def: $vgpr112
.LBB117_380:
	ds_load_b32 v112, v1
.LBB117_381:
	s_and_saveexec_b32 s21, s1
	s_cbranch_execz .LBB117_385
; %bb.382:
	v_add_nc_u32_e32 v113, -15, v0
	s_movk_i32 s22, 0x11c
	s_mov_b32 s1, 0
.LBB117_383:                            ; =>This Inner Loop Header: Depth=1
	scratch_load_b32 v114, off, s19
	v_dual_mov_b32 v115, s22 :: v_dual_add_nc_u32 v113, -1, v113
	s_add_co_i32 s22, s22, 4
	s_wait_xcnt 0x0
	s_add_co_i32 s19, s19, 4
	ds_load_b32 v115, v115
	v_cmp_eq_u32_e32 vcc_lo, 0, v113
	s_or_b32 s1, vcc_lo, s1
	s_wait_loadcnt_dscnt 0x0
	v_fmac_f32_e32 v112, v114, v115
	s_and_not1_b32 exec_lo, exec_lo, s1
	s_cbranch_execnz .LBB117_383
; %bb.384:
	s_or_b32 exec_lo, exec_lo, s1
.LBB117_385:
	s_delay_alu instid0(SALU_CYCLE_1)
	s_or_b32 exec_lo, exec_lo, s21
	v_mov_b32_e32 v113, 0
	ds_load_b32 v113, v113 offset:56
	s_wait_dscnt 0x0
	v_mul_f32_e32 v112, v112, v113
	scratch_store_b32 off, v112, off offset:56
.LBB117_386:
	;; [unrolled: 57-line block ×15, first 2 shown]
	s_wait_xcnt 0x0
	s_or_b32 exec_lo, exec_lo, s1
	scratch_load_b32 v112, off, off
	s_mov_b32 s2, 0
	s_mov_b32 s1, exec_lo
	s_wait_loadcnt 0x0
	ds_store_b32 v1, v112
	s_wait_storecnt_dscnt 0x0
	s_barrier_signal -1
	s_barrier_wait -1
	s_wait_xcnt 0x0
	v_cmpx_ne_u32_e32 0, v0
	s_cbranch_execz .LBB117_526
; %bb.517:
	s_and_not1_b32 vcc_lo, exec_lo, s3
	s_cbranch_vccnz .LBB117_519
; %bb.518:
	scratch_load_b32 v112, v7, off
	ds_load_b32 v113, v1
	s_wait_loadcnt_dscnt 0x0
	v_mul_f32_e32 v112, v112, v113
	s_cbranch_execz .LBB117_520
	s_branch .LBB117_521
.LBB117_519:
                                        ; implicit-def: $vgpr112
.LBB117_520:
	ds_load_b32 v112, v1
.LBB117_521:
	s_and_saveexec_b32 s5, s0
	s_cbranch_execz .LBB117_525
; %bb.522:
	v_add_nc_u32_e32 v113, -1, v0
	s_movk_i32 s8, 0xe4
	s_mov_b32 s0, 0
.LBB117_523:                            ; =>This Inner Loop Header: Depth=1
	scratch_load_b32 v114, off, s4
	v_dual_mov_b32 v115, s8 :: v_dual_add_nc_u32 v113, -1, v113
	s_add_co_i32 s8, s8, 4
	s_wait_xcnt 0x0
	s_add_co_i32 s4, s4, 4
	ds_load_b32 v115, v115
	v_cmp_eq_u32_e32 vcc_lo, 0, v113
	s_or_b32 s0, vcc_lo, s0
	s_wait_loadcnt_dscnt 0x0
	v_fmac_f32_e32 v112, v114, v115
	s_and_not1_b32 exec_lo, exec_lo, s0
	s_cbranch_execnz .LBB117_523
; %bb.524:
	s_or_b32 exec_lo, exec_lo, s0
.LBB117_525:
	s_delay_alu instid0(SALU_CYCLE_1)
	s_or_b32 exec_lo, exec_lo, s5
	v_mov_b32_e32 v113, 0
	ds_load_b32 v113, v113
	s_wait_dscnt 0x0
	v_mul_f32_e32 v112, v112, v113
	scratch_store_b32 off, v112, off
.LBB117_526:
	s_wait_xcnt 0x0
	s_or_b32 exec_lo, exec_lo, s1
.LBB117_527:
	v_lshl_add_u64 v[162:163], v[8:9], 2, s[6:7]
	v_lshl_add_u64 v[160:161], v[10:11], 2, s[6:7]
	;; [unrolled: 1-line block ×52, first 2 shown]
	s_and_b32 vcc_lo, exec_lo, s2
	s_cbranch_vccz .LBB117_1049
; %bb.528:
	scratch_load_b32 v60, off, off offset:4
	v_cmp_eq_u32_e64 s0, 0, v0
	s_wait_loadcnt 0x0
	ds_store_b32 v1, v60
	s_wait_storecnt_dscnt 0x0
	s_barrier_signal -1
	s_barrier_wait -1
	s_wait_xcnt 0x0
	s_and_saveexec_b32 s1, s0
	s_cbranch_execz .LBB117_534
; %bb.529:
	s_and_b32 vcc_lo, exec_lo, s3
	s_cbranch_vccz .LBB117_531
; %bb.530:
	scratch_load_b32 v60, v7, off
	ds_load_b32 v61, v1
	s_wait_loadcnt_dscnt 0x0
	v_mul_f32_e32 v60, v60, v61
	s_cbranch_execz .LBB117_532
	s_branch .LBB117_533
.LBB117_531:
                                        ; implicit-def: $vgpr60
.LBB117_532:
	ds_load_b32 v60, v1
.LBB117_533:
	v_mov_b32_e32 v61, 0
	ds_load_b32 v61, v61 offset:4
	s_wait_dscnt 0x0
	v_mul_f32_e32 v60, v60, v61
	scratch_store_b32 off, v60, off offset:4
.LBB117_534:
	s_wait_xcnt 0x0
	s_or_b32 exec_lo, exec_lo, s1
	scratch_load_b32 v61, off, off offset:8
	v_cndmask_b32_e64 v60, 0, 1, s3
	s_mov_b32 s1, exec_lo
	s_wait_loadcnt 0x0
	ds_store_b32 v1, v61
	s_wait_storecnt_dscnt 0x0
	s_barrier_signal -1
	s_barrier_wait -1
	s_wait_xcnt 0x0
	v_cmpx_gt_u32_e32 2, v0
	s_cbranch_execz .LBB117_540
; %bb.535:
	s_and_not1_b32 vcc_lo, exec_lo, s3
	s_cbranch_vccnz .LBB117_537
; %bb.536:
	scratch_load_b32 v61, v7, off
	ds_load_b32 v62, v1
	s_wait_loadcnt_dscnt 0x0
	v_mul_f32_e32 v61, v61, v62
	s_cbranch_execz .LBB117_538
	s_branch .LBB117_539
.LBB117_537:
                                        ; implicit-def: $vgpr61
.LBB117_538:
	ds_load_b32 v61, v1
.LBB117_539:
	scratch_load_b32 v64, off, off offset:4
	v_mov_b32_e32 v62, 0
	ds_load_2addr_b32 v[62:63], v62 offset0:2 offset1:57
	s_wait_loadcnt_dscnt 0x0
	v_fma_f32 v63, v64, v63, v61
	s_delay_alu instid0(VALU_DEP_1) | instskip(NEXT) | instid1(VALU_DEP_1)
	v_cndmask_b32_e64 v61, v61, v63, s0
	v_mul_f32_e32 v61, v61, v62
	scratch_store_b32 off, v61, off offset:8
.LBB117_540:
	s_wait_xcnt 0x0
	s_or_b32 exec_lo, exec_lo, s1
	scratch_load_b32 v61, off, off offset:12
	s_mov_b32 s1, exec_lo
	s_wait_loadcnt 0x0
	ds_store_b32 v1, v61
	s_wait_storecnt_dscnt 0x0
	s_barrier_signal -1
	s_barrier_wait -1
	s_wait_xcnt 0x0
	v_cmpx_gt_u32_e32 3, v0
	s_cbranch_execz .LBB117_548
; %bb.541:
	v_cmp_ne_u32_e32 vcc_lo, 1, v60
	s_cbranch_vccnz .LBB117_543
; %bb.542:
	scratch_load_b32 v61, v7, off
	ds_load_b32 v62, v1
	s_wait_loadcnt_dscnt 0x0
	v_mul_f32_e32 v61, v61, v62
	s_cbranch_execz .LBB117_544
	s_branch .LBB117_545
.LBB117_543:
                                        ; implicit-def: $vgpr61
.LBB117_544:
	ds_load_b32 v61, v1
.LBB117_545:
	s_mov_b32 s2, exec_lo
	v_cmpx_ne_u32_e32 2, v0
	s_cbranch_execz .LBB117_547
; %bb.546:
	scratch_load_b32 v62, v7, off offset:4
	scratch_load_b32 v63, off, off offset:8
	ds_load_b32 v64, v1 offset:4
	v_mov_b32_e32 v65, 0
	ds_load_b32 v65, v65 offset:232
	s_wait_loadcnt_dscnt 0x101
	v_fmac_f32_e32 v61, v62, v64
	s_wait_loadcnt_dscnt 0x0
	s_delay_alu instid0(VALU_DEP_1) | instskip(NEXT) | instid1(VALU_DEP_1)
	v_fma_f32 v62, v63, v65, v61
	v_cndmask_b32_e64 v61, v61, v62, s0
.LBB117_547:
	s_or_b32 exec_lo, exec_lo, s2
	v_mov_b32_e32 v62, 0
	ds_load_b32 v62, v62 offset:12
	s_wait_dscnt 0x0
	v_mul_f32_e32 v61, v61, v62
	scratch_store_b32 off, v61, off offset:12
.LBB117_548:
	s_wait_xcnt 0x0
	s_or_b32 exec_lo, exec_lo, s1
	scratch_load_b32 v61, off, off offset:16
	s_mov_b32 s0, exec_lo
	s_wait_loadcnt 0x0
	ds_store_b32 v1, v61
	s_wait_storecnt_dscnt 0x0
	s_barrier_signal -1
	s_barrier_wait -1
	s_wait_xcnt 0x0
	v_cmpx_gt_u32_e32 4, v0
	s_cbranch_execz .LBB117_558
; %bb.549:
	v_cmp_ne_u32_e32 vcc_lo, 1, v60
	s_cbranch_vccnz .LBB117_551
; %bb.550:
	scratch_load_b32 v61, v7, off
	ds_load_b32 v62, v1
	s_wait_loadcnt_dscnt 0x0
	v_mul_f32_e32 v61, v61, v62
	s_cbranch_execz .LBB117_552
	s_branch .LBB117_553
.LBB117_551:
                                        ; implicit-def: $vgpr61
.LBB117_552:
	ds_load_b32 v61, v1
.LBB117_553:
	s_mov_b32 s1, exec_lo
	v_cmpx_ne_u32_e32 3, v0
	s_cbranch_execz .LBB117_557
; %bb.554:
	v_add_nc_u32_e32 v62, 0xe4, v6
	v_add3_u32 v63, 0, v6, 4
	v_mov_b32_e32 v64, v0
	s_mov_b32 s2, 0
.LBB117_555:                            ; =>This Inner Loop Header: Depth=1
	scratch_load_b32 v65, v63, off
	ds_load_b32 v66, v62
	v_dual_add_nc_u32 v64, 1, v64 :: v_dual_add_nc_u32 v62, 4, v62
	s_wait_xcnt 0x0
	v_add_nc_u32_e32 v63, 4, v63
	s_delay_alu instid0(VALU_DEP_2)
	v_cmp_lt_u32_e32 vcc_lo, 2, v64
	s_or_b32 s2, vcc_lo, s2
	s_wait_loadcnt_dscnt 0x0
	v_fmac_f32_e32 v61, v65, v66
	s_and_not1_b32 exec_lo, exec_lo, s2
	s_cbranch_execnz .LBB117_555
; %bb.556:
	s_or_b32 exec_lo, exec_lo, s2
.LBB117_557:
	s_delay_alu instid0(SALU_CYCLE_1)
	s_or_b32 exec_lo, exec_lo, s1
	v_mov_b32_e32 v62, 0
	ds_load_b32 v62, v62 offset:16
	s_wait_dscnt 0x0
	v_mul_f32_e32 v61, v61, v62
	scratch_store_b32 off, v61, off offset:16
.LBB117_558:
	s_wait_xcnt 0x0
	s_or_b32 exec_lo, exec_lo, s0
	scratch_load_b32 v61, off, off offset:20
	s_mov_b32 s0, exec_lo
	s_wait_loadcnt 0x0
	ds_store_b32 v1, v61
	s_wait_storecnt_dscnt 0x0
	s_barrier_signal -1
	s_barrier_wait -1
	s_wait_xcnt 0x0
	v_cmpx_gt_u32_e32 5, v0
	s_cbranch_execz .LBB117_568
; %bb.559:
	v_cmp_ne_u32_e32 vcc_lo, 1, v60
	s_cbranch_vccnz .LBB117_561
; %bb.560:
	scratch_load_b32 v61, v7, off
	ds_load_b32 v62, v1
	s_wait_loadcnt_dscnt 0x0
	v_mul_f32_e32 v61, v61, v62
	s_cbranch_execz .LBB117_562
	s_branch .LBB117_563
.LBB117_561:
                                        ; implicit-def: $vgpr61
.LBB117_562:
	ds_load_b32 v61, v1
.LBB117_563:
	s_mov_b32 s1, exec_lo
	v_cmpx_ne_u32_e32 4, v0
	s_cbranch_execz .LBB117_567
; %bb.564:
	v_add_nc_u32_e32 v62, 0xe4, v6
	v_add3_u32 v63, 0, v6, 4
	v_mov_b32_e32 v64, v0
	s_mov_b32 s2, 0
.LBB117_565:                            ; =>This Inner Loop Header: Depth=1
	scratch_load_b32 v65, v63, off
	ds_load_b32 v66, v62
	v_dual_add_nc_u32 v64, 1, v64 :: v_dual_add_nc_u32 v62, 4, v62
	s_wait_xcnt 0x0
	v_add_nc_u32_e32 v63, 4, v63
	s_delay_alu instid0(VALU_DEP_2)
	v_cmp_lt_u32_e32 vcc_lo, 3, v64
	s_or_b32 s2, vcc_lo, s2
	s_wait_loadcnt_dscnt 0x0
	v_fmac_f32_e32 v61, v65, v66
	s_and_not1_b32 exec_lo, exec_lo, s2
	s_cbranch_execnz .LBB117_565
; %bb.566:
	s_or_b32 exec_lo, exec_lo, s2
.LBB117_567:
	s_delay_alu instid0(SALU_CYCLE_1)
	s_or_b32 exec_lo, exec_lo, s1
	v_mov_b32_e32 v62, 0
	ds_load_b32 v62, v62 offset:20
	s_wait_dscnt 0x0
	v_mul_f32_e32 v61, v61, v62
	scratch_store_b32 off, v61, off offset:20
.LBB117_568:
	;; [unrolled: 59-line block ×45, first 2 shown]
	s_wait_xcnt 0x0
	s_or_b32 exec_lo, exec_lo, s0
	scratch_load_b32 v61, off, off offset:196
	s_mov_b32 s0, exec_lo
	s_wait_loadcnt 0x0
	ds_store_b32 v1, v61
	s_wait_storecnt_dscnt 0x0
	s_barrier_signal -1
	s_barrier_wait -1
	s_wait_xcnt 0x0
	v_cmpx_gt_u32_e32 49, v0
	s_cbranch_execz .LBB117_1008
; %bb.999:
	v_cmp_ne_u32_e32 vcc_lo, 1, v60
	s_cbranch_vccnz .LBB117_1001
; %bb.1000:
	scratch_load_b32 v61, v7, off
	ds_load_b32 v62, v1
	s_wait_loadcnt_dscnt 0x0
	v_mul_f32_e32 v61, v61, v62
	s_cbranch_execz .LBB117_1002
	s_branch .LBB117_1003
.LBB117_1001:
                                        ; implicit-def: $vgpr61
.LBB117_1002:
	ds_load_b32 v61, v1
.LBB117_1003:
	s_mov_b32 s1, exec_lo
	v_cmpx_ne_u32_e32 48, v0
	s_cbranch_execz .LBB117_1007
; %bb.1004:
	v_add_nc_u32_e32 v62, 0xe4, v6
	v_add3_u32 v63, 0, v6, 4
	v_mov_b32_e32 v64, v0
	s_mov_b32 s2, 0
.LBB117_1005:                           ; =>This Inner Loop Header: Depth=1
	scratch_load_b32 v65, v63, off
	ds_load_b32 v66, v62
	v_dual_add_nc_u32 v64, 1, v64 :: v_dual_add_nc_u32 v62, 4, v62
	s_wait_xcnt 0x0
	v_add_nc_u32_e32 v63, 4, v63
	s_delay_alu instid0(VALU_DEP_2)
	v_cmp_lt_u32_e32 vcc_lo, 47, v64
	s_or_b32 s2, vcc_lo, s2
	s_wait_loadcnt_dscnt 0x0
	v_fmac_f32_e32 v61, v65, v66
	s_and_not1_b32 exec_lo, exec_lo, s2
	s_cbranch_execnz .LBB117_1005
; %bb.1006:
	s_or_b32 exec_lo, exec_lo, s2
.LBB117_1007:
	s_delay_alu instid0(SALU_CYCLE_1)
	s_or_b32 exec_lo, exec_lo, s1
	v_mov_b32_e32 v62, 0
	ds_load_b32 v62, v62 offset:196
	s_wait_dscnt 0x0
	v_mul_f32_e32 v61, v61, v62
	scratch_store_b32 off, v61, off offset:196
.LBB117_1008:
	s_wait_xcnt 0x0
	s_or_b32 exec_lo, exec_lo, s0
	scratch_load_b32 v61, off, off offset:200
	s_mov_b32 s0, exec_lo
	s_wait_loadcnt 0x0
	ds_store_b32 v1, v61
	s_wait_storecnt_dscnt 0x0
	s_barrier_signal -1
	s_barrier_wait -1
	s_wait_xcnt 0x0
	v_cmpx_gt_u32_e32 50, v0
	s_cbranch_execz .LBB117_1018
; %bb.1009:
	v_cmp_ne_u32_e32 vcc_lo, 1, v60
	s_cbranch_vccnz .LBB117_1011
; %bb.1010:
	scratch_load_b32 v61, v7, off
	ds_load_b32 v62, v1
	s_wait_loadcnt_dscnt 0x0
	v_mul_f32_e32 v61, v61, v62
	s_cbranch_execz .LBB117_1012
	s_branch .LBB117_1013
.LBB117_1011:
                                        ; implicit-def: $vgpr61
.LBB117_1012:
	ds_load_b32 v61, v1
.LBB117_1013:
	s_mov_b32 s1, exec_lo
	v_cmpx_ne_u32_e32 49, v0
	s_cbranch_execz .LBB117_1017
; %bb.1014:
	v_add_nc_u32_e32 v62, 0xe4, v6
	v_add3_u32 v63, 0, v6, 4
	v_mov_b32_e32 v64, v0
	s_mov_b32 s2, 0
.LBB117_1015:                           ; =>This Inner Loop Header: Depth=1
	scratch_load_b32 v65, v63, off
	ds_load_b32 v66, v62
	v_dual_add_nc_u32 v64, 1, v64 :: v_dual_add_nc_u32 v62, 4, v62
	s_wait_xcnt 0x0
	v_add_nc_u32_e32 v63, 4, v63
	s_delay_alu instid0(VALU_DEP_2)
	v_cmp_lt_u32_e32 vcc_lo, 48, v64
	s_or_b32 s2, vcc_lo, s2
	s_wait_loadcnt_dscnt 0x0
	v_fmac_f32_e32 v61, v65, v66
	s_and_not1_b32 exec_lo, exec_lo, s2
	s_cbranch_execnz .LBB117_1015
; %bb.1016:
	s_or_b32 exec_lo, exec_lo, s2
.LBB117_1017:
	s_delay_alu instid0(SALU_CYCLE_1)
	s_or_b32 exec_lo, exec_lo, s1
	v_mov_b32_e32 v62, 0
	ds_load_b32 v62, v62 offset:200
	s_wait_dscnt 0x0
	v_mul_f32_e32 v61, v61, v62
	scratch_store_b32 off, v61, off offset:200
.LBB117_1018:
	;; [unrolled: 59-line block ×3, first 2 shown]
	s_wait_xcnt 0x0
	s_or_b32 exec_lo, exec_lo, s0
	scratch_load_b32 v61, off, off offset:208
	v_cmp_gt_u32_e64 s0, 52, v0
	s_wait_loadcnt 0x0
	ds_store_b32 v1, v61
	s_wait_storecnt_dscnt 0x0
	s_barrier_signal -1
	s_barrier_wait -1
	s_wait_xcnt 0x0
	s_and_saveexec_b32 s1, s0
	s_cbranch_execz .LBB117_1038
; %bb.1029:
	v_cmp_ne_u32_e32 vcc_lo, 1, v60
	s_cbranch_vccnz .LBB117_1031
; %bb.1030:
	scratch_load_b32 v61, v7, off
	ds_load_b32 v62, v1
	s_wait_loadcnt_dscnt 0x0
	v_mul_f32_e32 v61, v61, v62
	s_cbranch_execz .LBB117_1032
	s_branch .LBB117_1033
.LBB117_1031:
                                        ; implicit-def: $vgpr61
.LBB117_1032:
	ds_load_b32 v61, v1
.LBB117_1033:
	s_mov_b32 s2, exec_lo
	v_cmpx_ne_u32_e32 51, v0
	s_cbranch_execz .LBB117_1037
; %bb.1034:
	v_add_nc_u32_e32 v62, 0xe4, v6
	v_add3_u32 v63, 0, v6, 4
	v_mov_b32_e32 v64, v0
	s_mov_b32 s3, 0
.LBB117_1035:                           ; =>This Inner Loop Header: Depth=1
	scratch_load_b32 v65, v63, off
	ds_load_b32 v66, v62
	v_dual_add_nc_u32 v64, 1, v64 :: v_dual_add_nc_u32 v62, 4, v62
	s_wait_xcnt 0x0
	v_add_nc_u32_e32 v63, 4, v63
	s_delay_alu instid0(VALU_DEP_2)
	v_cmp_lt_u32_e32 vcc_lo, 50, v64
	s_or_b32 s3, vcc_lo, s3
	s_wait_loadcnt_dscnt 0x0
	v_fmac_f32_e32 v61, v65, v66
	s_and_not1_b32 exec_lo, exec_lo, s3
	s_cbranch_execnz .LBB117_1035
; %bb.1036:
	s_or_b32 exec_lo, exec_lo, s3
.LBB117_1037:
	s_delay_alu instid0(SALU_CYCLE_1)
	s_or_b32 exec_lo, exec_lo, s2
	v_mov_b32_e32 v62, 0
	ds_load_b32 v62, v62 offset:208
	s_wait_dscnt 0x0
	v_mul_f32_e32 v61, v61, v62
	scratch_store_b32 off, v61, off offset:208
.LBB117_1038:
	s_wait_xcnt 0x0
	s_or_b32 exec_lo, exec_lo, s1
	scratch_load_b32 v61, off, off offset:212
	s_mov_b32 s1, exec_lo
	s_wait_loadcnt 0x0
	ds_store_b32 v1, v61
	s_wait_storecnt_dscnt 0x0
	s_barrier_signal -1
	s_barrier_wait -1
	s_wait_xcnt 0x0
	v_cmpx_ne_u32_e32 53, v0
	s_cbranch_execz .LBB117_1048
; %bb.1039:
	v_cmp_ne_u32_e32 vcc_lo, 1, v60
	s_cbranch_vccnz .LBB117_1041
; %bb.1040:
	scratch_load_b32 v7, v7, off
	ds_load_b32 v60, v1
	s_wait_loadcnt_dscnt 0x0
	v_mul_f32_e32 v7, v7, v60
	s_cbranch_execz .LBB117_1042
	s_branch .LBB117_1043
.LBB117_1041:
                                        ; implicit-def: $vgpr7
.LBB117_1042:
	ds_load_b32 v7, v1
.LBB117_1043:
	s_and_saveexec_b32 s2, s0
	s_cbranch_execz .LBB117_1047
; %bb.1044:
	v_add_nc_u32_e32 v1, 0xe4, v6
	v_add3_u32 v6, 0, v6, 4
	s_mov_b32 s0, 0
.LBB117_1045:                           ; =>This Inner Loop Header: Depth=1
	scratch_load_b32 v60, v6, off
	ds_load_b32 v61, v1
	v_dual_add_nc_u32 v0, 1, v0 :: v_dual_add_nc_u32 v1, 4, v1
	s_wait_xcnt 0x0
	v_add_nc_u32_e32 v6, 4, v6
	s_delay_alu instid0(VALU_DEP_2)
	v_cmp_lt_u32_e32 vcc_lo, 51, v0
	s_or_b32 s0, vcc_lo, s0
	s_wait_loadcnt_dscnt 0x0
	v_fmac_f32_e32 v7, v60, v61
	s_and_not1_b32 exec_lo, exec_lo, s0
	s_cbranch_execnz .LBB117_1045
; %bb.1046:
	s_or_b32 exec_lo, exec_lo, s0
.LBB117_1047:
	s_delay_alu instid0(SALU_CYCLE_1)
	s_or_b32 exec_lo, exec_lo, s2
	v_mov_b32_e32 v0, 0
	ds_load_b32 v0, v0 offset:212
	s_wait_dscnt 0x0
	v_mul_f32_e32 v0, v7, v0
	scratch_store_b32 off, v0, off offset:212
.LBB117_1048:
	s_wait_xcnt 0x0
	s_or_b32 exec_lo, exec_lo, s1
.LBB117_1049:
	scratch_load_b32 v0, off, off
	s_wait_loadcnt 0x0
	flat_store_b32 v[2:3], v0
	scratch_load_b32 v0, off, off offset:4
	s_wait_loadcnt 0x0
	flat_store_b32 v[4:5], v0
	scratch_load_b32 v0, off, off offset:8
	;; [unrolled: 3-line block ×53, first 2 shown]
	s_wait_loadcnt 0x0
	flat_store_b32 v[8:9], v0
.LBB117_1050:
	s_sendmsg sendmsg(MSG_DEALLOC_VGPRS)
	s_endpgm
	.section	.rodata,"a",@progbits
	.p2align	6, 0x0
	.amdhsa_kernel _ZN9rocsolver6v33100L18trti2_kernel_smallILi54EfPKPfEEv13rocblas_fill_17rocblas_diagonal_T1_iil
		.amdhsa_group_segment_fixed_size 440
		.amdhsa_private_segment_fixed_size 224
		.amdhsa_kernarg_size 32
		.amdhsa_user_sgpr_count 2
		.amdhsa_user_sgpr_dispatch_ptr 0
		.amdhsa_user_sgpr_queue_ptr 0
		.amdhsa_user_sgpr_kernarg_segment_ptr 1
		.amdhsa_user_sgpr_dispatch_id 0
		.amdhsa_user_sgpr_kernarg_preload_length 0
		.amdhsa_user_sgpr_kernarg_preload_offset 0
		.amdhsa_user_sgpr_private_segment_size 0
		.amdhsa_wavefront_size32 1
		.amdhsa_uses_dynamic_stack 0
		.amdhsa_enable_private_segment 1
		.amdhsa_system_sgpr_workgroup_id_x 1
		.amdhsa_system_sgpr_workgroup_id_y 0
		.amdhsa_system_sgpr_workgroup_id_z 0
		.amdhsa_system_sgpr_workgroup_info 0
		.amdhsa_system_vgpr_workitem_id 0
		.amdhsa_next_free_vgpr 164
		.amdhsa_next_free_sgpr 60
		.amdhsa_named_barrier_count 0
		.amdhsa_reserve_vcc 1
		.amdhsa_float_round_mode_32 0
		.amdhsa_float_round_mode_16_64 0
		.amdhsa_float_denorm_mode_32 3
		.amdhsa_float_denorm_mode_16_64 3
		.amdhsa_fp16_overflow 0
		.amdhsa_memory_ordered 1
		.amdhsa_forward_progress 1
		.amdhsa_inst_pref_size 244
		.amdhsa_round_robin_scheduling 0
		.amdhsa_exception_fp_ieee_invalid_op 0
		.amdhsa_exception_fp_denorm_src 0
		.amdhsa_exception_fp_ieee_div_zero 0
		.amdhsa_exception_fp_ieee_overflow 0
		.amdhsa_exception_fp_ieee_underflow 0
		.amdhsa_exception_fp_ieee_inexact 0
		.amdhsa_exception_int_div_zero 0
	.end_amdhsa_kernel
	.section	.text._ZN9rocsolver6v33100L18trti2_kernel_smallILi54EfPKPfEEv13rocblas_fill_17rocblas_diagonal_T1_iil,"axG",@progbits,_ZN9rocsolver6v33100L18trti2_kernel_smallILi54EfPKPfEEv13rocblas_fill_17rocblas_diagonal_T1_iil,comdat
.Lfunc_end117:
	.size	_ZN9rocsolver6v33100L18trti2_kernel_smallILi54EfPKPfEEv13rocblas_fill_17rocblas_diagonal_T1_iil, .Lfunc_end117-_ZN9rocsolver6v33100L18trti2_kernel_smallILi54EfPKPfEEv13rocblas_fill_17rocblas_diagonal_T1_iil
                                        ; -- End function
	.set _ZN9rocsolver6v33100L18trti2_kernel_smallILi54EfPKPfEEv13rocblas_fill_17rocblas_diagonal_T1_iil.num_vgpr, 164
	.set _ZN9rocsolver6v33100L18trti2_kernel_smallILi54EfPKPfEEv13rocblas_fill_17rocblas_diagonal_T1_iil.num_agpr, 0
	.set _ZN9rocsolver6v33100L18trti2_kernel_smallILi54EfPKPfEEv13rocblas_fill_17rocblas_diagonal_T1_iil.numbered_sgpr, 60
	.set _ZN9rocsolver6v33100L18trti2_kernel_smallILi54EfPKPfEEv13rocblas_fill_17rocblas_diagonal_T1_iil.num_named_barrier, 0
	.set _ZN9rocsolver6v33100L18trti2_kernel_smallILi54EfPKPfEEv13rocblas_fill_17rocblas_diagonal_T1_iil.private_seg_size, 224
	.set _ZN9rocsolver6v33100L18trti2_kernel_smallILi54EfPKPfEEv13rocblas_fill_17rocblas_diagonal_T1_iil.uses_vcc, 1
	.set _ZN9rocsolver6v33100L18trti2_kernel_smallILi54EfPKPfEEv13rocblas_fill_17rocblas_diagonal_T1_iil.uses_flat_scratch, 0
	.set _ZN9rocsolver6v33100L18trti2_kernel_smallILi54EfPKPfEEv13rocblas_fill_17rocblas_diagonal_T1_iil.has_dyn_sized_stack, 0
	.set _ZN9rocsolver6v33100L18trti2_kernel_smallILi54EfPKPfEEv13rocblas_fill_17rocblas_diagonal_T1_iil.has_recursion, 0
	.set _ZN9rocsolver6v33100L18trti2_kernel_smallILi54EfPKPfEEv13rocblas_fill_17rocblas_diagonal_T1_iil.has_indirect_call, 0
	.section	.AMDGPU.csdata,"",@progbits
; Kernel info:
; codeLenInByte = 31216
; TotalNumSgprs: 62
; NumVgprs: 164
; ScratchSize: 224
; MemoryBound: 0
; FloatMode: 240
; IeeeMode: 1
; LDSByteSize: 440 bytes/workgroup (compile time only)
; SGPRBlocks: 0
; VGPRBlocks: 10
; NumSGPRsForWavesPerEU: 62
; NumVGPRsForWavesPerEU: 164
; NamedBarCnt: 0
; Occupancy: 5
; WaveLimiterHint : 1
; COMPUTE_PGM_RSRC2:SCRATCH_EN: 1
; COMPUTE_PGM_RSRC2:USER_SGPR: 2
; COMPUTE_PGM_RSRC2:TRAP_HANDLER: 0
; COMPUTE_PGM_RSRC2:TGID_X_EN: 1
; COMPUTE_PGM_RSRC2:TGID_Y_EN: 0
; COMPUTE_PGM_RSRC2:TGID_Z_EN: 0
; COMPUTE_PGM_RSRC2:TIDIG_COMP_CNT: 0
	.section	.text._ZN9rocsolver6v33100L18trti2_kernel_smallILi55EfPKPfEEv13rocblas_fill_17rocblas_diagonal_T1_iil,"axG",@progbits,_ZN9rocsolver6v33100L18trti2_kernel_smallILi55EfPKPfEEv13rocblas_fill_17rocblas_diagonal_T1_iil,comdat
	.globl	_ZN9rocsolver6v33100L18trti2_kernel_smallILi55EfPKPfEEv13rocblas_fill_17rocblas_diagonal_T1_iil ; -- Begin function _ZN9rocsolver6v33100L18trti2_kernel_smallILi55EfPKPfEEv13rocblas_fill_17rocblas_diagonal_T1_iil
	.p2align	8
	.type	_ZN9rocsolver6v33100L18trti2_kernel_smallILi55EfPKPfEEv13rocblas_fill_17rocblas_diagonal_T1_iil,@function
_ZN9rocsolver6v33100L18trti2_kernel_smallILi55EfPKPfEEv13rocblas_fill_17rocblas_diagonal_T1_iil: ; @_ZN9rocsolver6v33100L18trti2_kernel_smallILi55EfPKPfEEv13rocblas_fill_17rocblas_diagonal_T1_iil
; %bb.0:
	s_mov_b32 s2, exec_lo
	v_cmpx_gt_u32_e32 55, v0
	s_cbranch_execz .LBB118_1070
; %bb.1:
	s_clause 0x1
	s_load_b64 s[8:9], s[0:1], 0x10
	s_load_b128 s[4:7], s[0:1], 0x0
	s_wait_xcnt 0x0
	s_bfe_u32 s0, ttmp6, 0x4000c
	s_and_b32 s1, ttmp6, 15
	s_add_co_i32 s0, s0, 1
	s_getreg_b32 s2, hwreg(HW_REG_IB_STS2, 6, 4)
	s_mul_i32 s0, ttmp9, s0
	v_dual_mov_b32 v7, 0 :: v_dual_lshlrev_b32 v6, 2, v0
	s_add_co_i32 s0, s1, s0
	v_mov_b32_e32 v114, -1.0
	s_wait_kmcnt 0x0
	s_ashr_i32 s1, s8, 31
	s_cmp_eq_u32 s2, 0
	v_add3_u32 v8, s9, s9, v0
	s_cselect_b32 s2, ttmp9, s0
	s_mov_b32 s0, s8
	s_ashr_i32 s3, s2, 31
	s_lshl_b64 s[0:1], s[0:1], 2
	s_lshl_b64 s[2:3], s[2:3], 3
	v_add_nc_u32_e32 v10, s9, v8
	s_add_nc_u64 s[2:3], s[6:7], s[2:3]
	v_ashrrev_i32_e32 v9, 31, v8
	s_load_b64 s[2:3], s[2:3], 0x0
	s_delay_alu instid0(VALU_DEP_2) | instskip(NEXT) | instid1(VALU_DEP_1)
	v_add_nc_u32_e32 v12, s9, v10
	v_add_nc_u32_e32 v14, s9, v12
	s_delay_alu instid0(VALU_DEP_1) | instskip(NEXT) | instid1(VALU_DEP_1)
	v_add_nc_u32_e32 v16, s9, v14
	v_dual_ashrrev_i32 v11, 31, v10 :: v_dual_add_nc_u32 v18, s9, v16
	v_ashrrev_i32_e32 v17, 31, v16
	s_wait_kmcnt 0x0
	s_add_nc_u64 s[2:3], s[2:3], s[0:1]
	s_mov_b32 s0, s9
	flat_load_b32 v1, v0, s[2:3] scale_offset
	v_add_nc_u64_e32 v[2:3], s[2:3], v[6:7]
	s_ashr_i32 s1, s9, 31
	v_dual_add_nc_u32 v20, s9, v18 :: v_dual_ashrrev_i32 v13, 31, v12
	v_ashrrev_i32_e32 v15, 31, v14
	v_ashrrev_i32_e32 v19, 31, v18
	s_cmp_lg_u32 s5, 0x84
	s_delay_alu instid0(VALU_DEP_4) | instskip(SKIP_4) | instid1(VALU_DEP_1)
	v_lshl_add_u64 v[4:5], s[0:1], 2, v[2:3]
	v_add_nc_u32_e32 v22, s9, v20
	s_cselect_b32 s6, -1, 0
	s_cmp_eq_u32 s5, 0x84
	s_movk_i32 s1, 0x84
	v_add_nc_u32_e32 v24, s9, v22
	s_delay_alu instid0(VALU_DEP_1) | instskip(NEXT) | instid1(VALU_DEP_1)
	v_add_nc_u32_e32 v26, s9, v24
	v_dual_add_nc_u32 v28, s9, v26 :: v_dual_ashrrev_i32 v21, 31, v20
	s_delay_alu instid0(VALU_DEP_1) | instskip(NEXT) | instid1(VALU_DEP_1)
	v_dual_ashrrev_i32 v23, 31, v22 :: v_dual_add_nc_u32 v30, s9, v28
	v_dual_ashrrev_i32 v29, 31, v28 :: v_dual_ashrrev_i32 v31, 31, v30
	v_dual_add_nc_u32 v32, s9, v30 :: v_dual_ashrrev_i32 v25, 31, v24
	s_delay_alu instid0(VALU_DEP_1) | instskip(NEXT) | instid1(VALU_DEP_1)
	v_dual_ashrrev_i32 v27, 31, v26 :: v_dual_add_nc_u32 v34, s9, v32
	v_add_nc_u32_e32 v36, s9, v34
	s_delay_alu instid0(VALU_DEP_1) | instskip(NEXT) | instid1(VALU_DEP_1)
	v_add_nc_u32_e32 v38, s9, v36
	v_dual_add_nc_u32 v40, s9, v38 :: v_dual_ashrrev_i32 v33, 31, v32
	s_delay_alu instid0(VALU_DEP_1) | instskip(NEXT) | instid1(VALU_DEP_1)
	v_dual_ashrrev_i32 v35, 31, v34 :: v_dual_add_nc_u32 v42, s9, v40
	v_dual_ashrrev_i32 v41, 31, v40 :: v_dual_ashrrev_i32 v43, 31, v42
	v_dual_add_nc_u32 v44, s9, v42 :: v_dual_ashrrev_i32 v37, 31, v36
	s_delay_alu instid0(VALU_DEP_1) | instskip(NEXT) | instid1(VALU_DEP_1)
	v_dual_ashrrev_i32 v39, 31, v38 :: v_dual_add_nc_u32 v46, s9, v44
	;; [unrolled: 10-line block ×7, first 2 shown]
	v_add_nc_u32_e32 v108, s9, v106
	s_delay_alu instid0(VALU_DEP_1) | instskip(NEXT) | instid1(VALU_DEP_1)
	v_dual_add_nc_u32 v110, s9, v108 :: v_dual_ashrrev_i32 v109, 31, v108
	v_dual_ashrrev_i32 v111, 31, v110 :: v_dual_add_nc_u32 v112, s9, v110
	v_dual_ashrrev_i32 v105, 31, v104 :: v_dual_ashrrev_i32 v107, 31, v106
	s_delay_alu instid0(VALU_DEP_2)
	v_ashrrev_i32_e32 v113, 31, v112
	s_wait_loadcnt_dscnt 0x0
	scratch_store_b32 off, v1, off
	flat_load_b32 v1, v[4:5]
	s_wait_loadcnt_dscnt 0x0
	scratch_store_b32 off, v1, off offset:4
	flat_load_b32 v1, v8, s[2:3] scale_offset
	s_wait_loadcnt_dscnt 0x0
	scratch_store_b32 off, v1, off offset:8
	flat_load_b32 v1, v10, s[2:3] scale_offset
	;; [unrolled: 3-line block ×53, first 2 shown]
	s_wait_loadcnt_dscnt 0x0
	scratch_store_b32 off, v1, off offset:216
	s_cbranch_scc1 .LBB118_3
; %bb.2:
	scratch_load_b32 v1, v0, off scale_offset
	s_wait_loadcnt 0x0
	v_div_scale_f32 v7, null, v1, v1, 1.0
	s_delay_alu instid0(VALU_DEP_1) | instskip(SKIP_1) | instid1(TRANS32_DEP_1)
	v_rcp_f32_e32 v114, v7
	v_nop
	v_fma_f32 v115, -v7, v114, 1.0
	s_delay_alu instid0(VALU_DEP_1) | instskip(SKIP_1) | instid1(VALU_DEP_1)
	v_fmac_f32_e32 v114, v115, v114
	v_div_scale_f32 v115, vcc_lo, 1.0, v1, 1.0
	v_mul_f32_e32 v116, v115, v114
	s_delay_alu instid0(VALU_DEP_1) | instskip(NEXT) | instid1(VALU_DEP_1)
	v_fma_f32 v117, -v7, v116, v115
	v_fmac_f32_e32 v116, v117, v114
	s_delay_alu instid0(VALU_DEP_1) | instskip(NEXT) | instid1(VALU_DEP_1)
	v_fma_f32 v7, -v7, v116, v115
	v_div_fmas_f32 v7, v7, v114, v116
	s_delay_alu instid0(VALU_DEP_1) | instskip(NEXT) | instid1(VALU_DEP_1)
	v_div_fixup_f32 v1, v7, v1, 1.0
	v_xor_b32_e32 v114, 0x80000000, v1
	scratch_store_b32 v0, v1, off scale_offset
.LBB118_3:
	s_wait_xcnt 0x0
	v_add_nc_u32_e32 v1, 0xe0, v6
	v_mov_b32_e32 v7, v6
	s_cmp_eq_u32 s4, 0x79
	s_mov_b32 s5, -1
	ds_store_b32 v6, v114
	s_cbranch_scc1 .LBB118_537
; %bb.4:
	scratch_load_b32 v114, off, off offset:212
	v_cmp_eq_u32_e64 s0, 54, v0
	s_movk_i32 s21, 0x44
	s_movk_i32 s22, 0x48
	;; [unrolled: 1-line block ×35, first 2 shown]
	s_wait_loadcnt 0x0
	ds_store_b32 v1, v114
	s_wait_storecnt_dscnt 0x0
	s_barrier_signal -1
	s_barrier_wait -1
	s_wait_xcnt 0x0
	s_and_saveexec_b32 s4, s0
	s_cbranch_execz .LBB118_10
; %bb.5:
	s_and_b32 vcc_lo, exec_lo, s6
	s_cbranch_vccz .LBB118_7
; %bb.6:
	scratch_load_b32 v114, v7, off
	ds_load_b32 v115, v1
	s_wait_loadcnt_dscnt 0x0
	v_mul_f32_e32 v114, v114, v115
	s_cbranch_execz .LBB118_8
	s_branch .LBB118_9
.LBB118_7:
                                        ; implicit-def: $vgpr114
	s_and_not1_b32 vcc_lo, exec_lo, s5
	s_cbranch_vccnz .LBB118_9
.LBB118_8:
	ds_load_b32 v114, v1
.LBB118_9:
	v_mov_b32_e32 v115, 0
	ds_load_b32 v115, v115 offset:212
	s_wait_dscnt 0x0
	v_mul_f32_e32 v114, v114, v115
	scratch_store_b32 off, v114, off offset:212
.LBB118_10:
	s_wait_xcnt 0x0
	s_or_b32 exec_lo, exec_lo, s4
	scratch_load_b32 v114, off, off offset:208
	s_mov_b32 s38, s1
	v_cmp_lt_u32_e64 s1, 52, v0
	s_or_b32 s4, 0, 4
	s_or_b32 s5, 0, 8
	;; [unrolled: 1-line block ×3, first 2 shown]
	s_mov_b32 s8, 16
	s_mov_b32 s9, 20
	s_mov_b32 s10, 24
	s_mov_b32 s11, 28
	s_mov_b32 s12, 32
	s_mov_b32 s13, 36
	s_mov_b32 s14, 40
	s_mov_b32 s15, 44
	s_mov_b32 s16, 48
	s_mov_b32 s17, 52
	s_mov_b32 s18, 56
	s_mov_b32 s19, 60
	s_mov_b32 s20, 64
	s_wait_loadcnt 0x0
	ds_store_b32 v1, v114
	s_wait_storecnt_dscnt 0x0
	s_barrier_signal -1
	s_barrier_wait -1
	s_wait_xcnt 0x0
	s_and_saveexec_b32 s58, s1
	s_cbranch_execz .LBB118_16
; %bb.11:
	s_and_not1_b32 vcc_lo, exec_lo, s6
	s_cbranch_vccnz .LBB118_13
; %bb.12:
	scratch_load_b32 v114, v7, off
	ds_load_b32 v115, v1
	s_wait_loadcnt_dscnt 0x0
	v_mul_f32_e32 v114, v114, v115
	s_cbranch_execz .LBB118_14
	s_branch .LBB118_15
.LBB118_13:
                                        ; implicit-def: $vgpr114
.LBB118_14:
	ds_load_b32 v114, v1
.LBB118_15:
	scratch_load_b32 v115, off, off offset:212
	v_mov_b32_e32 v116, 0
	ds_load_2addr_b32 v[116:117], v116 offset0:52 offset1:109
	s_wait_loadcnt_dscnt 0x0
	v_fma_f32 v115, v115, v117, v114
	s_delay_alu instid0(VALU_DEP_1) | instskip(NEXT) | instid1(VALU_DEP_1)
	v_cndmask_b32_e64 v114, v114, v115, s0
	v_mul_f32_e32 v114, v114, v116
	scratch_store_b32 off, v114, off offset:208
.LBB118_16:
	s_wait_xcnt 0x0
	s_or_b32 exec_lo, exec_lo, s58
	scratch_load_b32 v114, off, off offset:204
	v_cmp_lt_u32_e64 s0, 51, v0
	s_wait_loadcnt 0x0
	ds_store_b32 v1, v114
	s_wait_storecnt_dscnt 0x0
	s_barrier_signal -1
	s_barrier_wait -1
	s_wait_xcnt 0x0
	s_and_saveexec_b32 s58, s0
	s_cbranch_execz .LBB118_26
; %bb.17:
	s_and_not1_b32 vcc_lo, exec_lo, s6
	s_cbranch_vccnz .LBB118_19
; %bb.18:
	scratch_load_b32 v114, v7, off
	ds_load_b32 v115, v1
	s_wait_loadcnt_dscnt 0x0
	v_mul_f32_e32 v114, v114, v115
	s_cbranch_execz .LBB118_20
	s_branch .LBB118_21
.LBB118_19:
                                        ; implicit-def: $vgpr114
.LBB118_20:
	ds_load_b32 v114, v1
.LBB118_21:
	s_and_saveexec_b32 s59, s1
	s_cbranch_execz .LBB118_25
; %bb.22:
	v_subrev_nc_u32_e32 v115, 52, v0
	s_movk_i32 s60, 0x1b0
	s_mov_b32 s1, 0
.LBB118_23:                             ; =>This Inner Loop Header: Depth=1
	scratch_load_b32 v116, off, s57
	v_dual_mov_b32 v117, s60 :: v_dual_add_nc_u32 v115, -1, v115
	s_add_co_i32 s60, s60, 4
	s_wait_xcnt 0x0
	s_add_co_i32 s57, s57, 4
	ds_load_b32 v117, v117
	v_cmp_eq_u32_e32 vcc_lo, 0, v115
	s_or_b32 s1, vcc_lo, s1
	s_wait_loadcnt_dscnt 0x0
	v_fmac_f32_e32 v114, v116, v117
	s_and_not1_b32 exec_lo, exec_lo, s1
	s_cbranch_execnz .LBB118_23
; %bb.24:
	s_or_b32 exec_lo, exec_lo, s1
.LBB118_25:
	s_delay_alu instid0(SALU_CYCLE_1)
	s_or_b32 exec_lo, exec_lo, s59
	v_mov_b32_e32 v115, 0
	ds_load_b32 v115, v115 offset:204
	s_wait_dscnt 0x0
	v_mul_f32_e32 v114, v114, v115
	scratch_store_b32 off, v114, off offset:204
.LBB118_26:
	s_wait_xcnt 0x0
	s_or_b32 exec_lo, exec_lo, s58
	scratch_load_b32 v114, off, off offset:200
	v_cmp_lt_u32_e64 s1, 50, v0
	s_wait_loadcnt 0x0
	ds_store_b32 v1, v114
	s_wait_storecnt_dscnt 0x0
	s_barrier_signal -1
	s_barrier_wait -1
	s_wait_xcnt 0x0
	s_and_saveexec_b32 s57, s1
	s_cbranch_execz .LBB118_36
; %bb.27:
	s_and_not1_b32 vcc_lo, exec_lo, s6
	s_cbranch_vccnz .LBB118_29
; %bb.28:
	scratch_load_b32 v114, v7, off
	ds_load_b32 v115, v1
	s_wait_loadcnt_dscnt 0x0
	v_mul_f32_e32 v114, v114, v115
	s_cbranch_execz .LBB118_30
	s_branch .LBB118_31
.LBB118_29:
                                        ; implicit-def: $vgpr114
.LBB118_30:
	ds_load_b32 v114, v1
.LBB118_31:
	s_and_saveexec_b32 s58, s0
	s_cbranch_execz .LBB118_35
; %bb.32:
	v_subrev_nc_u32_e32 v115, 51, v0
	s_movk_i32 s59, 0x1ac
	s_mov_b32 s0, 0
.LBB118_33:                             ; =>This Inner Loop Header: Depth=1
	scratch_load_b32 v116, off, s56
	v_dual_mov_b32 v117, s59 :: v_dual_add_nc_u32 v115, -1, v115
	s_add_co_i32 s59, s59, 4
	s_wait_xcnt 0x0
	s_add_co_i32 s56, s56, 4
	ds_load_b32 v117, v117
	v_cmp_eq_u32_e32 vcc_lo, 0, v115
	s_or_b32 s0, vcc_lo, s0
	s_wait_loadcnt_dscnt 0x0
	v_fmac_f32_e32 v114, v116, v117
	s_and_not1_b32 exec_lo, exec_lo, s0
	s_cbranch_execnz .LBB118_33
; %bb.34:
	s_or_b32 exec_lo, exec_lo, s0
.LBB118_35:
	s_delay_alu instid0(SALU_CYCLE_1)
	s_or_b32 exec_lo, exec_lo, s58
	v_mov_b32_e32 v115, 0
	ds_load_b32 v115, v115 offset:200
	s_wait_dscnt 0x0
	v_mul_f32_e32 v114, v114, v115
	scratch_store_b32 off, v114, off offset:200
.LBB118_36:
	;; [unrolled: 57-line block ×8, first 2 shown]
	s_wait_xcnt 0x0
	s_or_b32 exec_lo, exec_lo, s51
	scratch_load_b32 v114, off, off offset:172
	v_cmp_lt_u32_e64 s0, 43, v0
	s_wait_loadcnt 0x0
	ds_store_b32 v1, v114
	s_wait_storecnt_dscnt 0x0
	s_barrier_signal -1
	s_barrier_wait -1
	s_wait_xcnt 0x0
	s_and_saveexec_b32 s50, s0
	s_cbranch_execz .LBB118_106
; %bb.97:
	s_and_not1_b32 vcc_lo, exec_lo, s6
	s_cbranch_vccnz .LBB118_99
; %bb.98:
	scratch_load_b32 v114, v7, off
	ds_load_b32 v115, v1
	s_wait_loadcnt_dscnt 0x0
	v_mul_f32_e32 v114, v114, v115
	s_cbranch_execz .LBB118_100
	s_branch .LBB118_101
.LBB118_99:
                                        ; implicit-def: $vgpr114
.LBB118_100:
	ds_load_b32 v114, v1
.LBB118_101:
	s_and_saveexec_b32 s51, s1
	s_cbranch_execz .LBB118_105
; %bb.102:
	v_subrev_nc_u32_e32 v115, 44, v0
	s_movk_i32 s52, 0x190
	s_mov_b32 s1, 0
.LBB118_103:                            ; =>This Inner Loop Header: Depth=1
	scratch_load_b32 v116, off, s49
	v_dual_mov_b32 v117, s52 :: v_dual_add_nc_u32 v115, -1, v115
	s_add_co_i32 s52, s52, 4
	s_wait_xcnt 0x0
	s_add_co_i32 s49, s49, 4
	ds_load_b32 v117, v117
	v_cmp_eq_u32_e32 vcc_lo, 0, v115
	s_or_b32 s1, vcc_lo, s1
	s_wait_loadcnt_dscnt 0x0
	v_fmac_f32_e32 v114, v116, v117
	s_and_not1_b32 exec_lo, exec_lo, s1
	s_cbranch_execnz .LBB118_103
; %bb.104:
	s_or_b32 exec_lo, exec_lo, s1
.LBB118_105:
	s_delay_alu instid0(SALU_CYCLE_1)
	s_or_b32 exec_lo, exec_lo, s51
	v_mov_b32_e32 v115, 0
	ds_load_b32 v115, v115 offset:172
	s_wait_dscnt 0x0
	v_mul_f32_e32 v114, v114, v115
	scratch_store_b32 off, v114, off offset:172
.LBB118_106:
	s_wait_xcnt 0x0
	s_or_b32 exec_lo, exec_lo, s50
	scratch_load_b32 v114, off, off offset:168
	v_cmp_lt_u32_e64 s1, 42, v0
	s_wait_loadcnt 0x0
	ds_store_b32 v1, v114
	s_wait_storecnt_dscnt 0x0
	s_barrier_signal -1
	s_barrier_wait -1
	s_wait_xcnt 0x0
	s_and_saveexec_b32 s49, s1
	s_cbranch_execz .LBB118_116
; %bb.107:
	s_and_not1_b32 vcc_lo, exec_lo, s6
	s_cbranch_vccnz .LBB118_109
; %bb.108:
	scratch_load_b32 v114, v7, off
	ds_load_b32 v115, v1
	s_wait_loadcnt_dscnt 0x0
	v_mul_f32_e32 v114, v114, v115
	s_cbranch_execz .LBB118_110
	s_branch .LBB118_111
.LBB118_109:
                                        ; implicit-def: $vgpr114
.LBB118_110:
	ds_load_b32 v114, v1
.LBB118_111:
	s_and_saveexec_b32 s50, s0
	s_cbranch_execz .LBB118_115
; %bb.112:
	v_subrev_nc_u32_e32 v115, 43, v0
	s_movk_i32 s51, 0x18c
	s_mov_b32 s0, 0
.LBB118_113:                            ; =>This Inner Loop Header: Depth=1
	scratch_load_b32 v116, off, s48
	v_dual_mov_b32 v117, s51 :: v_dual_add_nc_u32 v115, -1, v115
	s_add_co_i32 s51, s51, 4
	s_wait_xcnt 0x0
	s_add_co_i32 s48, s48, 4
	ds_load_b32 v117, v117
	v_cmp_eq_u32_e32 vcc_lo, 0, v115
	s_or_b32 s0, vcc_lo, s0
	s_wait_loadcnt_dscnt 0x0
	v_fmac_f32_e32 v114, v116, v117
	s_and_not1_b32 exec_lo, exec_lo, s0
	s_cbranch_execnz .LBB118_113
; %bb.114:
	s_or_b32 exec_lo, exec_lo, s0
.LBB118_115:
	s_delay_alu instid0(SALU_CYCLE_1)
	s_or_b32 exec_lo, exec_lo, s50
	v_mov_b32_e32 v115, 0
	ds_load_b32 v115, v115 offset:168
	s_wait_dscnt 0x0
	v_mul_f32_e32 v114, v114, v115
	scratch_store_b32 off, v114, off offset:168
.LBB118_116:
	;; [unrolled: 57-line block ×28, first 2 shown]
	s_wait_xcnt 0x0
	s_or_b32 exec_lo, exec_lo, s22
	scratch_load_b32 v114, off, off offset:60
	v_cmp_lt_u32_e64 s0, 15, v0
	s_wait_loadcnt 0x0
	ds_store_b32 v1, v114
	s_wait_storecnt_dscnt 0x0
	s_barrier_signal -1
	s_barrier_wait -1
	s_wait_xcnt 0x0
	s_and_saveexec_b32 s21, s0
	s_cbranch_execz .LBB118_386
; %bb.377:
	s_and_not1_b32 vcc_lo, exec_lo, s6
	s_cbranch_vccnz .LBB118_379
; %bb.378:
	scratch_load_b32 v114, v7, off
	ds_load_b32 v115, v1
	s_wait_loadcnt_dscnt 0x0
	v_mul_f32_e32 v114, v114, v115
	s_cbranch_execz .LBB118_380
	s_branch .LBB118_381
.LBB118_379:
                                        ; implicit-def: $vgpr114
.LBB118_380:
	ds_load_b32 v114, v1
.LBB118_381:
	s_and_saveexec_b32 s22, s1
	s_cbranch_execz .LBB118_385
; %bb.382:
	v_add_nc_u32_e32 v115, -16, v0
	s_movk_i32 s23, 0x120
	s_mov_b32 s1, 0
.LBB118_383:                            ; =>This Inner Loop Header: Depth=1
	scratch_load_b32 v116, off, s20
	v_dual_mov_b32 v117, s23 :: v_dual_add_nc_u32 v115, -1, v115
	s_add_co_i32 s23, s23, 4
	s_wait_xcnt 0x0
	s_add_co_i32 s20, s20, 4
	ds_load_b32 v117, v117
	v_cmp_eq_u32_e32 vcc_lo, 0, v115
	s_or_b32 s1, vcc_lo, s1
	s_wait_loadcnt_dscnt 0x0
	v_fmac_f32_e32 v114, v116, v117
	s_and_not1_b32 exec_lo, exec_lo, s1
	s_cbranch_execnz .LBB118_383
; %bb.384:
	s_or_b32 exec_lo, exec_lo, s1
.LBB118_385:
	s_delay_alu instid0(SALU_CYCLE_1)
	s_or_b32 exec_lo, exec_lo, s22
	v_mov_b32_e32 v115, 0
	ds_load_b32 v115, v115 offset:60
	s_wait_dscnt 0x0
	v_mul_f32_e32 v114, v114, v115
	scratch_store_b32 off, v114, off offset:60
.LBB118_386:
	s_wait_xcnt 0x0
	s_or_b32 exec_lo, exec_lo, s21
	scratch_load_b32 v114, off, off offset:56
	v_cmp_lt_u32_e64 s1, 14, v0
	s_wait_loadcnt 0x0
	ds_store_b32 v1, v114
	s_wait_storecnt_dscnt 0x0
	s_barrier_signal -1
	s_barrier_wait -1
	s_wait_xcnt 0x0
	s_and_saveexec_b32 s20, s1
	s_cbranch_execz .LBB118_396
; %bb.387:
	s_and_not1_b32 vcc_lo, exec_lo, s6
	s_cbranch_vccnz .LBB118_389
; %bb.388:
	scratch_load_b32 v114, v7, off
	ds_load_b32 v115, v1
	s_wait_loadcnt_dscnt 0x0
	v_mul_f32_e32 v114, v114, v115
	s_cbranch_execz .LBB118_390
	s_branch .LBB118_391
.LBB118_389:
                                        ; implicit-def: $vgpr114
.LBB118_390:
	ds_load_b32 v114, v1
.LBB118_391:
	s_and_saveexec_b32 s21, s0
	s_cbranch_execz .LBB118_395
; %bb.392:
	v_add_nc_u32_e32 v115, -15, v0
	s_movk_i32 s22, 0x11c
	s_mov_b32 s0, 0
.LBB118_393:                            ; =>This Inner Loop Header: Depth=1
	scratch_load_b32 v116, off, s19
	v_dual_mov_b32 v117, s22 :: v_dual_add_nc_u32 v115, -1, v115
	s_add_co_i32 s22, s22, 4
	s_wait_xcnt 0x0
	s_add_co_i32 s19, s19, 4
	ds_load_b32 v117, v117
	v_cmp_eq_u32_e32 vcc_lo, 0, v115
	s_or_b32 s0, vcc_lo, s0
	s_wait_loadcnt_dscnt 0x0
	v_fmac_f32_e32 v114, v116, v117
	s_and_not1_b32 exec_lo, exec_lo, s0
	s_cbranch_execnz .LBB118_393
; %bb.394:
	s_or_b32 exec_lo, exec_lo, s0
.LBB118_395:
	s_delay_alu instid0(SALU_CYCLE_1)
	s_or_b32 exec_lo, exec_lo, s21
	v_mov_b32_e32 v115, 0
	ds_load_b32 v115, v115 offset:56
	s_wait_dscnt 0x0
	v_mul_f32_e32 v114, v114, v115
	scratch_store_b32 off, v114, off offset:56
.LBB118_396:
	;; [unrolled: 57-line block ×15, first 2 shown]
	s_wait_xcnt 0x0
	s_or_b32 exec_lo, exec_lo, s7
	scratch_load_b32 v114, off, off
	s_mov_b32 s5, 0
	s_mov_b32 s1, exec_lo
	s_wait_loadcnt 0x0
	ds_store_b32 v1, v114
	s_wait_storecnt_dscnt 0x0
	s_barrier_signal -1
	s_barrier_wait -1
	s_wait_xcnt 0x0
	v_cmpx_ne_u32_e32 0, v0
	s_cbranch_execz .LBB118_536
; %bb.527:
	s_and_not1_b32 vcc_lo, exec_lo, s6
	s_cbranch_vccnz .LBB118_529
; %bb.528:
	scratch_load_b32 v114, v7, off
	ds_load_b32 v115, v1
	s_wait_loadcnt_dscnt 0x0
	v_mul_f32_e32 v114, v114, v115
	s_cbranch_execz .LBB118_530
	s_branch .LBB118_531
.LBB118_529:
                                        ; implicit-def: $vgpr114
.LBB118_530:
	ds_load_b32 v114, v1
.LBB118_531:
	s_and_saveexec_b32 s7, s0
	s_cbranch_execz .LBB118_535
; %bb.532:
	v_add_nc_u32_e32 v115, -1, v0
	s_movk_i32 s8, 0xe4
	s_mov_b32 s0, 0
.LBB118_533:                            ; =>This Inner Loop Header: Depth=1
	scratch_load_b32 v116, off, s4
	v_dual_mov_b32 v117, s8 :: v_dual_add_nc_u32 v115, -1, v115
	s_add_co_i32 s8, s8, 4
	s_wait_xcnt 0x0
	s_add_co_i32 s4, s4, 4
	ds_load_b32 v117, v117
	v_cmp_eq_u32_e32 vcc_lo, 0, v115
	s_or_b32 s0, vcc_lo, s0
	s_wait_loadcnt_dscnt 0x0
	v_fmac_f32_e32 v114, v116, v117
	s_and_not1_b32 exec_lo, exec_lo, s0
	s_cbranch_execnz .LBB118_533
; %bb.534:
	s_or_b32 exec_lo, exec_lo, s0
.LBB118_535:
	s_delay_alu instid0(SALU_CYCLE_1)
	s_or_b32 exec_lo, exec_lo, s7
	v_mov_b32_e32 v115, 0
	ds_load_b32 v115, v115
	s_wait_dscnt 0x0
	v_mul_f32_e32 v114, v114, v115
	scratch_store_b32 off, v114, off
.LBB118_536:
	s_wait_xcnt 0x0
	s_or_b32 exec_lo, exec_lo, s1
.LBB118_537:
	v_lshl_add_u64 v[164:165], v[8:9], 2, s[2:3]
	v_lshl_add_u64 v[162:163], v[10:11], 2, s[2:3]
	;; [unrolled: 1-line block ×53, first 2 shown]
	s_and_b32 vcc_lo, exec_lo, s5
	s_cbranch_vccz .LBB118_1069
; %bb.538:
	scratch_load_b32 v62, off, off offset:4
	v_cmp_eq_u32_e64 s0, 0, v0
	s_wait_loadcnt 0x0
	ds_store_b32 v1, v62
	s_wait_storecnt_dscnt 0x0
	s_barrier_signal -1
	s_barrier_wait -1
	s_wait_xcnt 0x0
	s_and_saveexec_b32 s1, s0
	s_cbranch_execz .LBB118_544
; %bb.539:
	s_and_b32 vcc_lo, exec_lo, s6
	s_cbranch_vccz .LBB118_541
; %bb.540:
	scratch_load_b32 v62, v7, off
	ds_load_b32 v63, v1
	s_wait_loadcnt_dscnt 0x0
	v_mul_f32_e32 v62, v62, v63
	s_cbranch_execz .LBB118_542
	s_branch .LBB118_543
.LBB118_541:
                                        ; implicit-def: $vgpr62
.LBB118_542:
	ds_load_b32 v62, v1
.LBB118_543:
	v_mov_b32_e32 v63, 0
	ds_load_b32 v63, v63 offset:4
	s_wait_dscnt 0x0
	v_mul_f32_e32 v62, v62, v63
	scratch_store_b32 off, v62, off offset:4
.LBB118_544:
	s_wait_xcnt 0x0
	s_or_b32 exec_lo, exec_lo, s1
	scratch_load_b32 v63, off, off offset:8
	v_cndmask_b32_e64 v62, 0, 1, s6
	s_mov_b32 s1, exec_lo
	s_wait_loadcnt 0x0
	ds_store_b32 v1, v63
	s_wait_storecnt_dscnt 0x0
	s_barrier_signal -1
	s_barrier_wait -1
	s_wait_xcnt 0x0
	v_cmpx_gt_u32_e32 2, v0
	s_cbranch_execz .LBB118_550
; %bb.545:
	s_and_not1_b32 vcc_lo, exec_lo, s6
	s_cbranch_vccnz .LBB118_547
; %bb.546:
	scratch_load_b32 v63, v7, off
	ds_load_b32 v64, v1
	s_wait_loadcnt_dscnt 0x0
	v_mul_f32_e32 v63, v63, v64
	s_cbranch_execz .LBB118_548
	s_branch .LBB118_549
.LBB118_547:
                                        ; implicit-def: $vgpr63
.LBB118_548:
	ds_load_b32 v63, v1
.LBB118_549:
	scratch_load_b32 v66, off, off offset:4
	v_mov_b32_e32 v64, 0
	ds_load_2addr_b32 v[64:65], v64 offset0:2 offset1:57
	s_wait_loadcnt_dscnt 0x0
	v_fma_f32 v65, v66, v65, v63
	s_delay_alu instid0(VALU_DEP_1) | instskip(NEXT) | instid1(VALU_DEP_1)
	v_cndmask_b32_e64 v63, v63, v65, s0
	v_mul_f32_e32 v63, v63, v64
	scratch_store_b32 off, v63, off offset:8
.LBB118_550:
	s_wait_xcnt 0x0
	s_or_b32 exec_lo, exec_lo, s1
	scratch_load_b32 v63, off, off offset:12
	s_mov_b32 s1, exec_lo
	s_wait_loadcnt 0x0
	ds_store_b32 v1, v63
	s_wait_storecnt_dscnt 0x0
	s_barrier_signal -1
	s_barrier_wait -1
	s_wait_xcnt 0x0
	v_cmpx_gt_u32_e32 3, v0
	s_cbranch_execz .LBB118_558
; %bb.551:
	v_cmp_ne_u32_e32 vcc_lo, 1, v62
	s_cbranch_vccnz .LBB118_553
; %bb.552:
	scratch_load_b32 v63, v7, off
	ds_load_b32 v64, v1
	s_wait_loadcnt_dscnt 0x0
	v_mul_f32_e32 v63, v63, v64
	s_cbranch_execz .LBB118_554
	s_branch .LBB118_555
.LBB118_553:
                                        ; implicit-def: $vgpr63
.LBB118_554:
	ds_load_b32 v63, v1
.LBB118_555:
	s_mov_b32 s2, exec_lo
	v_cmpx_ne_u32_e32 2, v0
	s_cbranch_execz .LBB118_557
; %bb.556:
	scratch_load_b32 v64, v7, off offset:4
	scratch_load_b32 v65, off, off offset:8
	ds_load_b32 v66, v1 offset:4
	v_mov_b32_e32 v67, 0
	ds_load_b32 v67, v67 offset:232
	s_wait_loadcnt_dscnt 0x101
	v_fmac_f32_e32 v63, v64, v66
	s_wait_loadcnt_dscnt 0x0
	s_delay_alu instid0(VALU_DEP_1) | instskip(NEXT) | instid1(VALU_DEP_1)
	v_fma_f32 v64, v65, v67, v63
	v_cndmask_b32_e64 v63, v63, v64, s0
.LBB118_557:
	s_or_b32 exec_lo, exec_lo, s2
	v_mov_b32_e32 v64, 0
	ds_load_b32 v64, v64 offset:12
	s_wait_dscnt 0x0
	v_mul_f32_e32 v63, v63, v64
	scratch_store_b32 off, v63, off offset:12
.LBB118_558:
	s_wait_xcnt 0x0
	s_or_b32 exec_lo, exec_lo, s1
	scratch_load_b32 v63, off, off offset:16
	s_mov_b32 s0, exec_lo
	s_wait_loadcnt 0x0
	ds_store_b32 v1, v63
	s_wait_storecnt_dscnt 0x0
	s_barrier_signal -1
	s_barrier_wait -1
	s_wait_xcnt 0x0
	v_cmpx_gt_u32_e32 4, v0
	s_cbranch_execz .LBB118_568
; %bb.559:
	v_cmp_ne_u32_e32 vcc_lo, 1, v62
	s_cbranch_vccnz .LBB118_561
; %bb.560:
	scratch_load_b32 v63, v7, off
	ds_load_b32 v64, v1
	s_wait_loadcnt_dscnt 0x0
	v_mul_f32_e32 v63, v63, v64
	s_cbranch_execz .LBB118_562
	s_branch .LBB118_563
.LBB118_561:
                                        ; implicit-def: $vgpr63
.LBB118_562:
	ds_load_b32 v63, v1
.LBB118_563:
	s_mov_b32 s1, exec_lo
	v_cmpx_ne_u32_e32 3, v0
	s_cbranch_execz .LBB118_567
; %bb.564:
	v_add_nc_u32_e32 v64, 0xe4, v6
	v_add3_u32 v65, 0, v6, 4
	v_mov_b32_e32 v66, v0
	s_mov_b32 s2, 0
.LBB118_565:                            ; =>This Inner Loop Header: Depth=1
	scratch_load_b32 v67, v65, off
	ds_load_b32 v68, v64
	v_dual_add_nc_u32 v66, 1, v66 :: v_dual_add_nc_u32 v64, 4, v64
	s_wait_xcnt 0x0
	v_add_nc_u32_e32 v65, 4, v65
	s_delay_alu instid0(VALU_DEP_2)
	v_cmp_lt_u32_e32 vcc_lo, 2, v66
	s_or_b32 s2, vcc_lo, s2
	s_wait_loadcnt_dscnt 0x0
	v_fmac_f32_e32 v63, v67, v68
	s_and_not1_b32 exec_lo, exec_lo, s2
	s_cbranch_execnz .LBB118_565
; %bb.566:
	s_or_b32 exec_lo, exec_lo, s2
.LBB118_567:
	s_delay_alu instid0(SALU_CYCLE_1)
	s_or_b32 exec_lo, exec_lo, s1
	v_mov_b32_e32 v64, 0
	ds_load_b32 v64, v64 offset:16
	s_wait_dscnt 0x0
	v_mul_f32_e32 v63, v63, v64
	scratch_store_b32 off, v63, off offset:16
.LBB118_568:
	s_wait_xcnt 0x0
	s_or_b32 exec_lo, exec_lo, s0
	scratch_load_b32 v63, off, off offset:20
	s_mov_b32 s0, exec_lo
	s_wait_loadcnt 0x0
	ds_store_b32 v1, v63
	s_wait_storecnt_dscnt 0x0
	s_barrier_signal -1
	s_barrier_wait -1
	s_wait_xcnt 0x0
	v_cmpx_gt_u32_e32 5, v0
	s_cbranch_execz .LBB118_578
; %bb.569:
	v_cmp_ne_u32_e32 vcc_lo, 1, v62
	s_cbranch_vccnz .LBB118_571
; %bb.570:
	scratch_load_b32 v63, v7, off
	ds_load_b32 v64, v1
	s_wait_loadcnt_dscnt 0x0
	v_mul_f32_e32 v63, v63, v64
	s_cbranch_execz .LBB118_572
	s_branch .LBB118_573
.LBB118_571:
                                        ; implicit-def: $vgpr63
.LBB118_572:
	ds_load_b32 v63, v1
.LBB118_573:
	s_mov_b32 s1, exec_lo
	v_cmpx_ne_u32_e32 4, v0
	s_cbranch_execz .LBB118_577
; %bb.574:
	v_add_nc_u32_e32 v64, 0xe4, v6
	v_add3_u32 v65, 0, v6, 4
	v_mov_b32_e32 v66, v0
	s_mov_b32 s2, 0
.LBB118_575:                            ; =>This Inner Loop Header: Depth=1
	scratch_load_b32 v67, v65, off
	ds_load_b32 v68, v64
	v_dual_add_nc_u32 v66, 1, v66 :: v_dual_add_nc_u32 v64, 4, v64
	s_wait_xcnt 0x0
	v_add_nc_u32_e32 v65, 4, v65
	s_delay_alu instid0(VALU_DEP_2)
	v_cmp_lt_u32_e32 vcc_lo, 3, v66
	s_or_b32 s2, vcc_lo, s2
	s_wait_loadcnt_dscnt 0x0
	v_fmac_f32_e32 v63, v67, v68
	s_and_not1_b32 exec_lo, exec_lo, s2
	s_cbranch_execnz .LBB118_575
; %bb.576:
	s_or_b32 exec_lo, exec_lo, s2
.LBB118_577:
	s_delay_alu instid0(SALU_CYCLE_1)
	s_or_b32 exec_lo, exec_lo, s1
	v_mov_b32_e32 v64, 0
	ds_load_b32 v64, v64 offset:20
	s_wait_dscnt 0x0
	v_mul_f32_e32 v63, v63, v64
	scratch_store_b32 off, v63, off offset:20
.LBB118_578:
	;; [unrolled: 59-line block ×44, first 2 shown]
	s_wait_xcnt 0x0
	s_or_b32 exec_lo, exec_lo, s0
	scratch_load_b32 v63, off, off offset:192
	s_mov_b32 s0, exec_lo
	s_wait_loadcnt 0x0
	ds_store_b32 v1, v63
	s_wait_storecnt_dscnt 0x0
	s_barrier_signal -1
	s_barrier_wait -1
	s_wait_xcnt 0x0
	v_cmpx_gt_u32_e32 48, v0
	s_cbranch_execz .LBB118_1008
; %bb.999:
	v_cmp_ne_u32_e32 vcc_lo, 1, v62
	s_cbranch_vccnz .LBB118_1001
; %bb.1000:
	scratch_load_b32 v63, v7, off
	ds_load_b32 v64, v1
	s_wait_loadcnt_dscnt 0x0
	v_mul_f32_e32 v63, v63, v64
	s_cbranch_execz .LBB118_1002
	s_branch .LBB118_1003
.LBB118_1001:
                                        ; implicit-def: $vgpr63
.LBB118_1002:
	ds_load_b32 v63, v1
.LBB118_1003:
	s_mov_b32 s1, exec_lo
	v_cmpx_ne_u32_e32 47, v0
	s_cbranch_execz .LBB118_1007
; %bb.1004:
	v_add_nc_u32_e32 v64, 0xe4, v6
	v_add3_u32 v65, 0, v6, 4
	v_mov_b32_e32 v66, v0
	s_mov_b32 s2, 0
.LBB118_1005:                           ; =>This Inner Loop Header: Depth=1
	scratch_load_b32 v67, v65, off
	ds_load_b32 v68, v64
	v_dual_add_nc_u32 v66, 1, v66 :: v_dual_add_nc_u32 v64, 4, v64
	s_wait_xcnt 0x0
	v_add_nc_u32_e32 v65, 4, v65
	s_delay_alu instid0(VALU_DEP_2)
	v_cmp_lt_u32_e32 vcc_lo, 46, v66
	s_or_b32 s2, vcc_lo, s2
	s_wait_loadcnt_dscnt 0x0
	v_fmac_f32_e32 v63, v67, v68
	s_and_not1_b32 exec_lo, exec_lo, s2
	s_cbranch_execnz .LBB118_1005
; %bb.1006:
	s_or_b32 exec_lo, exec_lo, s2
.LBB118_1007:
	s_delay_alu instid0(SALU_CYCLE_1)
	s_or_b32 exec_lo, exec_lo, s1
	v_mov_b32_e32 v64, 0
	ds_load_b32 v64, v64 offset:192
	s_wait_dscnt 0x0
	v_mul_f32_e32 v63, v63, v64
	scratch_store_b32 off, v63, off offset:192
.LBB118_1008:
	s_wait_xcnt 0x0
	s_or_b32 exec_lo, exec_lo, s0
	scratch_load_b32 v63, off, off offset:196
	s_mov_b32 s0, exec_lo
	s_wait_loadcnt 0x0
	ds_store_b32 v1, v63
	s_wait_storecnt_dscnt 0x0
	s_barrier_signal -1
	s_barrier_wait -1
	s_wait_xcnt 0x0
	v_cmpx_gt_u32_e32 49, v0
	s_cbranch_execz .LBB118_1018
; %bb.1009:
	v_cmp_ne_u32_e32 vcc_lo, 1, v62
	s_cbranch_vccnz .LBB118_1011
; %bb.1010:
	scratch_load_b32 v63, v7, off
	ds_load_b32 v64, v1
	s_wait_loadcnt_dscnt 0x0
	v_mul_f32_e32 v63, v63, v64
	s_cbranch_execz .LBB118_1012
	s_branch .LBB118_1013
.LBB118_1011:
                                        ; implicit-def: $vgpr63
.LBB118_1012:
	ds_load_b32 v63, v1
.LBB118_1013:
	s_mov_b32 s1, exec_lo
	v_cmpx_ne_u32_e32 48, v0
	s_cbranch_execz .LBB118_1017
; %bb.1014:
	v_add_nc_u32_e32 v64, 0xe4, v6
	v_add3_u32 v65, 0, v6, 4
	v_mov_b32_e32 v66, v0
	s_mov_b32 s2, 0
.LBB118_1015:                           ; =>This Inner Loop Header: Depth=1
	scratch_load_b32 v67, v65, off
	ds_load_b32 v68, v64
	v_dual_add_nc_u32 v66, 1, v66 :: v_dual_add_nc_u32 v64, 4, v64
	s_wait_xcnt 0x0
	v_add_nc_u32_e32 v65, 4, v65
	s_delay_alu instid0(VALU_DEP_2)
	v_cmp_lt_u32_e32 vcc_lo, 47, v66
	s_or_b32 s2, vcc_lo, s2
	s_wait_loadcnt_dscnt 0x0
	v_fmac_f32_e32 v63, v67, v68
	s_and_not1_b32 exec_lo, exec_lo, s2
	s_cbranch_execnz .LBB118_1015
; %bb.1016:
	s_or_b32 exec_lo, exec_lo, s2
.LBB118_1017:
	s_delay_alu instid0(SALU_CYCLE_1)
	s_or_b32 exec_lo, exec_lo, s1
	v_mov_b32_e32 v64, 0
	ds_load_b32 v64, v64 offset:196
	s_wait_dscnt 0x0
	v_mul_f32_e32 v63, v63, v64
	scratch_store_b32 off, v63, off offset:196
.LBB118_1018:
	;; [unrolled: 59-line block ×5, first 2 shown]
	s_wait_xcnt 0x0
	s_or_b32 exec_lo, exec_lo, s0
	scratch_load_b32 v63, off, off offset:212
	v_cmp_gt_u32_e64 s0, 53, v0
	s_wait_loadcnt 0x0
	ds_store_b32 v1, v63
	s_wait_storecnt_dscnt 0x0
	s_barrier_signal -1
	s_barrier_wait -1
	s_wait_xcnt 0x0
	s_and_saveexec_b32 s1, s0
	s_cbranch_execz .LBB118_1058
; %bb.1049:
	v_cmp_ne_u32_e32 vcc_lo, 1, v62
	s_cbranch_vccnz .LBB118_1051
; %bb.1050:
	scratch_load_b32 v63, v7, off
	ds_load_b32 v64, v1
	s_wait_loadcnt_dscnt 0x0
	v_mul_f32_e32 v63, v63, v64
	s_cbranch_execz .LBB118_1052
	s_branch .LBB118_1053
.LBB118_1051:
                                        ; implicit-def: $vgpr63
.LBB118_1052:
	ds_load_b32 v63, v1
.LBB118_1053:
	s_mov_b32 s2, exec_lo
	v_cmpx_ne_u32_e32 52, v0
	s_cbranch_execz .LBB118_1057
; %bb.1054:
	v_add_nc_u32_e32 v64, 0xe4, v6
	v_add3_u32 v65, 0, v6, 4
	v_mov_b32_e32 v66, v0
	s_mov_b32 s3, 0
.LBB118_1055:                           ; =>This Inner Loop Header: Depth=1
	scratch_load_b32 v67, v65, off
	ds_load_b32 v68, v64
	v_dual_add_nc_u32 v66, 1, v66 :: v_dual_add_nc_u32 v64, 4, v64
	s_wait_xcnt 0x0
	v_add_nc_u32_e32 v65, 4, v65
	s_delay_alu instid0(VALU_DEP_2)
	v_cmp_lt_u32_e32 vcc_lo, 51, v66
	s_or_b32 s3, vcc_lo, s3
	s_wait_loadcnt_dscnt 0x0
	v_fmac_f32_e32 v63, v67, v68
	s_and_not1_b32 exec_lo, exec_lo, s3
	s_cbranch_execnz .LBB118_1055
; %bb.1056:
	s_or_b32 exec_lo, exec_lo, s3
.LBB118_1057:
	s_delay_alu instid0(SALU_CYCLE_1)
	s_or_b32 exec_lo, exec_lo, s2
	v_mov_b32_e32 v64, 0
	ds_load_b32 v64, v64 offset:212
	s_wait_dscnt 0x0
	v_mul_f32_e32 v63, v63, v64
	scratch_store_b32 off, v63, off offset:212
.LBB118_1058:
	s_wait_xcnt 0x0
	s_or_b32 exec_lo, exec_lo, s1
	scratch_load_b32 v63, off, off offset:216
	s_mov_b32 s1, exec_lo
	s_wait_loadcnt 0x0
	ds_store_b32 v1, v63
	s_wait_storecnt_dscnt 0x0
	s_barrier_signal -1
	s_barrier_wait -1
	s_wait_xcnt 0x0
	v_cmpx_ne_u32_e32 54, v0
	s_cbranch_execz .LBB118_1068
; %bb.1059:
	v_cmp_ne_u32_e32 vcc_lo, 1, v62
	s_cbranch_vccnz .LBB118_1061
; %bb.1060:
	scratch_load_b32 v7, v7, off
	ds_load_b32 v62, v1
	s_wait_loadcnt_dscnt 0x0
	v_mul_f32_e32 v7, v7, v62
	s_cbranch_execz .LBB118_1062
	s_branch .LBB118_1063
.LBB118_1061:
                                        ; implicit-def: $vgpr7
.LBB118_1062:
	ds_load_b32 v7, v1
.LBB118_1063:
	s_and_saveexec_b32 s2, s0
	s_cbranch_execz .LBB118_1067
; %bb.1064:
	v_add_nc_u32_e32 v1, 0xe4, v6
	v_add3_u32 v6, 0, v6, 4
	s_mov_b32 s0, 0
.LBB118_1065:                           ; =>This Inner Loop Header: Depth=1
	scratch_load_b32 v62, v6, off
	ds_load_b32 v63, v1
	v_dual_add_nc_u32 v0, 1, v0 :: v_dual_add_nc_u32 v1, 4, v1
	s_wait_xcnt 0x0
	v_add_nc_u32_e32 v6, 4, v6
	s_delay_alu instid0(VALU_DEP_2)
	v_cmp_lt_u32_e32 vcc_lo, 52, v0
	s_or_b32 s0, vcc_lo, s0
	s_wait_loadcnt_dscnt 0x0
	v_fmac_f32_e32 v7, v62, v63
	s_and_not1_b32 exec_lo, exec_lo, s0
	s_cbranch_execnz .LBB118_1065
; %bb.1066:
	s_or_b32 exec_lo, exec_lo, s0
.LBB118_1067:
	s_delay_alu instid0(SALU_CYCLE_1)
	s_or_b32 exec_lo, exec_lo, s2
	v_mov_b32_e32 v0, 0
	ds_load_b32 v0, v0 offset:216
	s_wait_dscnt 0x0
	v_mul_f32_e32 v0, v7, v0
	scratch_store_b32 off, v0, off offset:216
.LBB118_1068:
	s_wait_xcnt 0x0
	s_or_b32 exec_lo, exec_lo, s1
.LBB118_1069:
	scratch_load_b32 v0, off, off
	s_wait_loadcnt 0x0
	flat_store_b32 v[2:3], v0
	scratch_load_b32 v0, off, off offset:4
	s_wait_loadcnt 0x0
	flat_store_b32 v[4:5], v0
	scratch_load_b32 v0, off, off offset:8
	;; [unrolled: 3-line block ×54, first 2 shown]
	s_wait_loadcnt 0x0
	flat_store_b32 v[8:9], v0
.LBB118_1070:
	s_sendmsg sendmsg(MSG_DEALLOC_VGPRS)
	s_endpgm
	.section	.rodata,"a",@progbits
	.p2align	6, 0x0
	.amdhsa_kernel _ZN9rocsolver6v33100L18trti2_kernel_smallILi55EfPKPfEEv13rocblas_fill_17rocblas_diagonal_T1_iil
		.amdhsa_group_segment_fixed_size 444
		.amdhsa_private_segment_fixed_size 224
		.amdhsa_kernarg_size 32
		.amdhsa_user_sgpr_count 2
		.amdhsa_user_sgpr_dispatch_ptr 0
		.amdhsa_user_sgpr_queue_ptr 0
		.amdhsa_user_sgpr_kernarg_segment_ptr 1
		.amdhsa_user_sgpr_dispatch_id 0
		.amdhsa_user_sgpr_kernarg_preload_length 0
		.amdhsa_user_sgpr_kernarg_preload_offset 0
		.amdhsa_user_sgpr_private_segment_size 0
		.amdhsa_wavefront_size32 1
		.amdhsa_uses_dynamic_stack 0
		.amdhsa_enable_private_segment 1
		.amdhsa_system_sgpr_workgroup_id_x 1
		.amdhsa_system_sgpr_workgroup_id_y 0
		.amdhsa_system_sgpr_workgroup_id_z 0
		.amdhsa_system_sgpr_workgroup_info 0
		.amdhsa_system_vgpr_workitem_id 0
		.amdhsa_next_free_vgpr 166
		.amdhsa_next_free_sgpr 61
		.amdhsa_named_barrier_count 0
		.amdhsa_reserve_vcc 1
		.amdhsa_float_round_mode_32 0
		.amdhsa_float_round_mode_16_64 0
		.amdhsa_float_denorm_mode_32 3
		.amdhsa_float_denorm_mode_16_64 3
		.amdhsa_fp16_overflow 0
		.amdhsa_memory_ordered 1
		.amdhsa_forward_progress 1
		.amdhsa_inst_pref_size 249
		.amdhsa_round_robin_scheduling 0
		.amdhsa_exception_fp_ieee_invalid_op 0
		.amdhsa_exception_fp_denorm_src 0
		.amdhsa_exception_fp_ieee_div_zero 0
		.amdhsa_exception_fp_ieee_overflow 0
		.amdhsa_exception_fp_ieee_underflow 0
		.amdhsa_exception_fp_ieee_inexact 0
		.amdhsa_exception_int_div_zero 0
	.end_amdhsa_kernel
	.section	.text._ZN9rocsolver6v33100L18trti2_kernel_smallILi55EfPKPfEEv13rocblas_fill_17rocblas_diagonal_T1_iil,"axG",@progbits,_ZN9rocsolver6v33100L18trti2_kernel_smallILi55EfPKPfEEv13rocblas_fill_17rocblas_diagonal_T1_iil,comdat
.Lfunc_end118:
	.size	_ZN9rocsolver6v33100L18trti2_kernel_smallILi55EfPKPfEEv13rocblas_fill_17rocblas_diagonal_T1_iil, .Lfunc_end118-_ZN9rocsolver6v33100L18trti2_kernel_smallILi55EfPKPfEEv13rocblas_fill_17rocblas_diagonal_T1_iil
                                        ; -- End function
	.set _ZN9rocsolver6v33100L18trti2_kernel_smallILi55EfPKPfEEv13rocblas_fill_17rocblas_diagonal_T1_iil.num_vgpr, 166
	.set _ZN9rocsolver6v33100L18trti2_kernel_smallILi55EfPKPfEEv13rocblas_fill_17rocblas_diagonal_T1_iil.num_agpr, 0
	.set _ZN9rocsolver6v33100L18trti2_kernel_smallILi55EfPKPfEEv13rocblas_fill_17rocblas_diagonal_T1_iil.numbered_sgpr, 61
	.set _ZN9rocsolver6v33100L18trti2_kernel_smallILi55EfPKPfEEv13rocblas_fill_17rocblas_diagonal_T1_iil.num_named_barrier, 0
	.set _ZN9rocsolver6v33100L18trti2_kernel_smallILi55EfPKPfEEv13rocblas_fill_17rocblas_diagonal_T1_iil.private_seg_size, 224
	.set _ZN9rocsolver6v33100L18trti2_kernel_smallILi55EfPKPfEEv13rocblas_fill_17rocblas_diagonal_T1_iil.uses_vcc, 1
	.set _ZN9rocsolver6v33100L18trti2_kernel_smallILi55EfPKPfEEv13rocblas_fill_17rocblas_diagonal_T1_iil.uses_flat_scratch, 0
	.set _ZN9rocsolver6v33100L18trti2_kernel_smallILi55EfPKPfEEv13rocblas_fill_17rocblas_diagonal_T1_iil.has_dyn_sized_stack, 0
	.set _ZN9rocsolver6v33100L18trti2_kernel_smallILi55EfPKPfEEv13rocblas_fill_17rocblas_diagonal_T1_iil.has_recursion, 0
	.set _ZN9rocsolver6v33100L18trti2_kernel_smallILi55EfPKPfEEv13rocblas_fill_17rocblas_diagonal_T1_iil.has_indirect_call, 0
	.section	.AMDGPU.csdata,"",@progbits
; Kernel info:
; codeLenInByte = 31824
; TotalNumSgprs: 63
; NumVgprs: 166
; ScratchSize: 224
; MemoryBound: 0
; FloatMode: 240
; IeeeMode: 1
; LDSByteSize: 444 bytes/workgroup (compile time only)
; SGPRBlocks: 0
; VGPRBlocks: 10
; NumSGPRsForWavesPerEU: 63
; NumVGPRsForWavesPerEU: 166
; NamedBarCnt: 0
; Occupancy: 5
; WaveLimiterHint : 1
; COMPUTE_PGM_RSRC2:SCRATCH_EN: 1
; COMPUTE_PGM_RSRC2:USER_SGPR: 2
; COMPUTE_PGM_RSRC2:TRAP_HANDLER: 0
; COMPUTE_PGM_RSRC2:TGID_X_EN: 1
; COMPUTE_PGM_RSRC2:TGID_Y_EN: 0
; COMPUTE_PGM_RSRC2:TGID_Z_EN: 0
; COMPUTE_PGM_RSRC2:TIDIG_COMP_CNT: 0
	.section	.text._ZN9rocsolver6v33100L18trti2_kernel_smallILi56EfPKPfEEv13rocblas_fill_17rocblas_diagonal_T1_iil,"axG",@progbits,_ZN9rocsolver6v33100L18trti2_kernel_smallILi56EfPKPfEEv13rocblas_fill_17rocblas_diagonal_T1_iil,comdat
	.globl	_ZN9rocsolver6v33100L18trti2_kernel_smallILi56EfPKPfEEv13rocblas_fill_17rocblas_diagonal_T1_iil ; -- Begin function _ZN9rocsolver6v33100L18trti2_kernel_smallILi56EfPKPfEEv13rocblas_fill_17rocblas_diagonal_T1_iil
	.p2align	8
	.type	_ZN9rocsolver6v33100L18trti2_kernel_smallILi56EfPKPfEEv13rocblas_fill_17rocblas_diagonal_T1_iil,@function
_ZN9rocsolver6v33100L18trti2_kernel_smallILi56EfPKPfEEv13rocblas_fill_17rocblas_diagonal_T1_iil: ; @_ZN9rocsolver6v33100L18trti2_kernel_smallILi56EfPKPfEEv13rocblas_fill_17rocblas_diagonal_T1_iil
; %bb.0:
	s_mov_b32 s2, exec_lo
	v_cmpx_gt_u32_e32 56, v0
	s_cbranch_execz .LBB119_1090
; %bb.1:
	s_clause 0x1
	s_load_b64 s[2:3], s[0:1], 0x10
	s_load_b128 s[4:7], s[0:1], 0x0
	s_wait_xcnt 0x0
	s_bfe_u32 s0, ttmp6, 0x4000c
	s_and_b32 s1, ttmp6, 15
	s_add_co_i32 s0, s0, 1
	s_getreg_b32 s8, hwreg(HW_REG_IB_STS2, 6, 4)
	s_mul_i32 s0, ttmp9, s0
	v_dual_mov_b32 v7, 0 :: v_dual_lshlrev_b32 v6, 2, v0
	s_add_co_i32 s0, s1, s0
	v_mov_b32_e32 v116, -1.0
	s_wait_kmcnt 0x0
	s_ashr_i32 s1, s2, 31
	s_cmp_eq_u32 s8, 0
	v_add3_u32 v8, s3, s3, v0
	s_cselect_b32 s8, ttmp9, s0
	s_mov_b32 s0, s2
	s_ashr_i32 s9, s8, 31
	s_lshl_b64 s[0:1], s[0:1], 2
	s_lshl_b64 s[8:9], s[8:9], 3
	v_add_nc_u32_e32 v10, s3, v8
	s_add_nc_u64 s[6:7], s[6:7], s[8:9]
	s_load_b64 s[6:7], s[6:7], 0x0
	s_delay_alu instid0(VALU_DEP_1) | instskip(NEXT) | instid1(VALU_DEP_1)
	v_add_nc_u32_e32 v12, s3, v10
	v_add_nc_u32_e32 v14, s3, v12
	s_delay_alu instid0(VALU_DEP_1) | instskip(NEXT) | instid1(VALU_DEP_1)
	v_add_nc_u32_e32 v16, s3, v14
	v_dual_ashrrev_i32 v11, 31, v10 :: v_dual_add_nc_u32 v18, s3, v16
	v_ashrrev_i32_e32 v13, 31, v12
	s_wait_kmcnt 0x0
	s_add_nc_u64 s[6:7], s[6:7], s[0:1]
	s_mov_b32 s0, s3
	flat_load_b32 v1, v0, s[6:7] scale_offset
	v_add_nc_u64_e32 v[2:3], s[6:7], v[6:7]
	s_ashr_i32 s1, s3, 31
	v_dual_add_nc_u32 v20, s3, v18 :: v_dual_ashrrev_i32 v9, 31, v8
	v_ashrrev_i32_e32 v15, 31, v14
	v_ashrrev_i32_e32 v19, 31, v18
	s_cmp_lg_u32 s5, 0x84
	s_delay_alu instid0(VALU_DEP_4) | instskip(SKIP_2) | instid1(VALU_DEP_1)
	v_lshl_add_u64 v[4:5], s[0:1], 2, v[2:3]
	v_add_nc_u32_e32 v22, s3, v20
	s_movk_i32 s1, 0x84
	v_add_nc_u32_e32 v24, s3, v22
	s_delay_alu instid0(VALU_DEP_1) | instskip(NEXT) | instid1(VALU_DEP_1)
	v_add_nc_u32_e32 v26, s3, v24
	v_dual_add_nc_u32 v28, s3, v26 :: v_dual_ashrrev_i32 v17, 31, v16
	s_delay_alu instid0(VALU_DEP_1) | instskip(NEXT) | instid1(VALU_DEP_1)
	v_dual_ashrrev_i32 v23, 31, v22 :: v_dual_add_nc_u32 v30, s3, v28
	v_dual_ashrrev_i32 v25, 31, v24 :: v_dual_ashrrev_i32 v31, 31, v30
	v_dual_add_nc_u32 v32, s3, v30 :: v_dual_ashrrev_i32 v21, 31, v20
	s_delay_alu instid0(VALU_DEP_1) | instskip(NEXT) | instid1(VALU_DEP_1)
	v_dual_ashrrev_i32 v27, 31, v26 :: v_dual_add_nc_u32 v34, s3, v32
	v_add_nc_u32_e32 v36, s3, v34
	s_delay_alu instid0(VALU_DEP_1) | instskip(NEXT) | instid1(VALU_DEP_1)
	v_add_nc_u32_e32 v38, s3, v36
	v_dual_add_nc_u32 v40, s3, v38 :: v_dual_ashrrev_i32 v29, 31, v28
	s_delay_alu instid0(VALU_DEP_1) | instskip(NEXT) | instid1(VALU_DEP_1)
	v_dual_ashrrev_i32 v35, 31, v34 :: v_dual_add_nc_u32 v42, s3, v40
	v_dual_ashrrev_i32 v37, 31, v36 :: v_dual_ashrrev_i32 v43, 31, v42
	v_dual_add_nc_u32 v44, s3, v42 :: v_dual_ashrrev_i32 v33, 31, v32
	s_delay_alu instid0(VALU_DEP_1) | instskip(NEXT) | instid1(VALU_DEP_1)
	v_dual_ashrrev_i32 v39, 31, v38 :: v_dual_add_nc_u32 v46, s3, v44
	;; [unrolled: 10-line block ×7, first 2 shown]
	v_add_nc_u32_e32 v108, s3, v106
	s_delay_alu instid0(VALU_DEP_1) | instskip(NEXT) | instid1(VALU_DEP_1)
	v_add_nc_u32_e32 v110, s3, v108
	v_dual_ashrrev_i32 v105, 31, v104 :: v_dual_ashrrev_i32 v111, 31, v110
	v_dual_add_nc_u32 v112, s3, v110 :: v_dual_ashrrev_i32 v101, 31, v100
	s_delay_alu instid0(VALU_DEP_1)
	v_dual_ashrrev_i32 v107, 31, v106 :: v_dual_add_nc_u32 v114, s3, v112
	v_ashrrev_i32_e32 v109, 31, v108
	v_ashrrev_i32_e32 v113, 31, v112
	s_cselect_b32 s3, -1, 0
	s_cmp_eq_u32 s5, 0x84
	v_ashrrev_i32_e32 v115, 31, v114
	s_wait_loadcnt_dscnt 0x0
	scratch_store_b32 off, v1, off
	flat_load_b32 v1, v[4:5]
	s_wait_loadcnt_dscnt 0x0
	scratch_store_b32 off, v1, off offset:4
	flat_load_b32 v1, v8, s[6:7] scale_offset
	s_wait_loadcnt_dscnt 0x0
	scratch_store_b32 off, v1, off offset:8
	flat_load_b32 v1, v10, s[6:7] scale_offset
	s_wait_loadcnt_dscnt 0x0
	scratch_store_b32 off, v1, off offset:12
	flat_load_b32 v1, v12, s[6:7] scale_offset
	s_wait_loadcnt_dscnt 0x0
	scratch_store_b32 off, v1, off offset:16
	flat_load_b32 v1, v14, s[6:7] scale_offset
	s_wait_loadcnt_dscnt 0x0
	scratch_store_b32 off, v1, off offset:20
	flat_load_b32 v1, v16, s[6:7] scale_offset
	s_wait_loadcnt_dscnt 0x0
	scratch_store_b32 off, v1, off offset:24
	flat_load_b32 v1, v18, s[6:7] scale_offset
	s_wait_loadcnt_dscnt 0x0
	scratch_store_b32 off, v1, off offset:28
	flat_load_b32 v1, v20, s[6:7] scale_offset
	s_wait_loadcnt_dscnt 0x0
	scratch_store_b32 off, v1, off offset:32
	flat_load_b32 v1, v22, s[6:7] scale_offset
	s_wait_loadcnt_dscnt 0x0
	scratch_store_b32 off, v1, off offset:36
	flat_load_b32 v1, v24, s[6:7] scale_offset
	s_wait_loadcnt_dscnt 0x0
	scratch_store_b32 off, v1, off offset:40
	flat_load_b32 v1, v26, s[6:7] scale_offset
	s_wait_loadcnt_dscnt 0x0
	scratch_store_b32 off, v1, off offset:44
	flat_load_b32 v1, v28, s[6:7] scale_offset
	s_wait_loadcnt_dscnt 0x0
	scratch_store_b32 off, v1, off offset:48
	flat_load_b32 v1, v30, s[6:7] scale_offset
	s_wait_loadcnt_dscnt 0x0
	scratch_store_b32 off, v1, off offset:52
	flat_load_b32 v1, v32, s[6:7] scale_offset
	s_wait_loadcnt_dscnt 0x0
	scratch_store_b32 off, v1, off offset:56
	flat_load_b32 v1, v34, s[6:7] scale_offset
	s_wait_loadcnt_dscnt 0x0
	scratch_store_b32 off, v1, off offset:60
	flat_load_b32 v1, v36, s[6:7] scale_offset
	s_wait_loadcnt_dscnt 0x0
	scratch_store_b32 off, v1, off offset:64
	flat_load_b32 v1, v38, s[6:7] scale_offset
	s_wait_loadcnt_dscnt 0x0
	scratch_store_b32 off, v1, off offset:68
	flat_load_b32 v1, v40, s[6:7] scale_offset
	s_wait_loadcnt_dscnt 0x0
	scratch_store_b32 off, v1, off offset:72
	flat_load_b32 v1, v42, s[6:7] scale_offset
	s_wait_loadcnt_dscnt 0x0
	scratch_store_b32 off, v1, off offset:76
	flat_load_b32 v1, v44, s[6:7] scale_offset
	s_wait_loadcnt_dscnt 0x0
	scratch_store_b32 off, v1, off offset:80
	flat_load_b32 v1, v46, s[6:7] scale_offset
	s_wait_loadcnt_dscnt 0x0
	scratch_store_b32 off, v1, off offset:84
	flat_load_b32 v1, v48, s[6:7] scale_offset
	s_wait_loadcnt_dscnt 0x0
	scratch_store_b32 off, v1, off offset:88
	flat_load_b32 v1, v50, s[6:7] scale_offset
	s_wait_loadcnt_dscnt 0x0
	scratch_store_b32 off, v1, off offset:92
	flat_load_b32 v1, v52, s[6:7] scale_offset
	s_wait_loadcnt_dscnt 0x0
	scratch_store_b32 off, v1, off offset:96
	flat_load_b32 v1, v54, s[6:7] scale_offset
	s_wait_loadcnt_dscnt 0x0
	scratch_store_b32 off, v1, off offset:100
	flat_load_b32 v1, v56, s[6:7] scale_offset
	s_wait_loadcnt_dscnt 0x0
	scratch_store_b32 off, v1, off offset:104
	flat_load_b32 v1, v58, s[6:7] scale_offset
	s_wait_loadcnt_dscnt 0x0
	scratch_store_b32 off, v1, off offset:108
	flat_load_b32 v1, v60, s[6:7] scale_offset
	s_wait_loadcnt_dscnt 0x0
	scratch_store_b32 off, v1, off offset:112
	flat_load_b32 v1, v62, s[6:7] scale_offset
	s_wait_loadcnt_dscnt 0x0
	scratch_store_b32 off, v1, off offset:116
	flat_load_b32 v1, v64, s[6:7] scale_offset
	s_wait_loadcnt_dscnt 0x0
	scratch_store_b32 off, v1, off offset:120
	flat_load_b32 v1, v66, s[6:7] scale_offset
	s_wait_loadcnt_dscnt 0x0
	scratch_store_b32 off, v1, off offset:124
	flat_load_b32 v1, v68, s[6:7] scale_offset
	s_wait_loadcnt_dscnt 0x0
	scratch_store_b32 off, v1, off offset:128
	flat_load_b32 v1, v70, s[6:7] scale_offset
	s_wait_loadcnt_dscnt 0x0
	scratch_store_b32 off, v1, off offset:132
	flat_load_b32 v1, v72, s[6:7] scale_offset
	s_wait_loadcnt_dscnt 0x0
	scratch_store_b32 off, v1, off offset:136
	flat_load_b32 v1, v74, s[6:7] scale_offset
	s_wait_loadcnt_dscnt 0x0
	scratch_store_b32 off, v1, off offset:140
	flat_load_b32 v1, v76, s[6:7] scale_offset
	s_wait_loadcnt_dscnt 0x0
	scratch_store_b32 off, v1, off offset:144
	flat_load_b32 v1, v78, s[6:7] scale_offset
	s_wait_loadcnt_dscnt 0x0
	scratch_store_b32 off, v1, off offset:148
	flat_load_b32 v1, v80, s[6:7] scale_offset
	s_wait_loadcnt_dscnt 0x0
	scratch_store_b32 off, v1, off offset:152
	flat_load_b32 v1, v82, s[6:7] scale_offset
	s_wait_loadcnt_dscnt 0x0
	scratch_store_b32 off, v1, off offset:156
	flat_load_b32 v1, v84, s[6:7] scale_offset
	s_wait_loadcnt_dscnt 0x0
	scratch_store_b32 off, v1, off offset:160
	flat_load_b32 v1, v86, s[6:7] scale_offset
	s_wait_loadcnt_dscnt 0x0
	scratch_store_b32 off, v1, off offset:164
	flat_load_b32 v1, v88, s[6:7] scale_offset
	s_wait_loadcnt_dscnt 0x0
	scratch_store_b32 off, v1, off offset:168
	flat_load_b32 v1, v90, s[6:7] scale_offset
	s_wait_loadcnt_dscnt 0x0
	scratch_store_b32 off, v1, off offset:172
	flat_load_b32 v1, v92, s[6:7] scale_offset
	s_wait_loadcnt_dscnt 0x0
	scratch_store_b32 off, v1, off offset:176
	flat_load_b32 v1, v94, s[6:7] scale_offset
	s_wait_loadcnt_dscnt 0x0
	scratch_store_b32 off, v1, off offset:180
	flat_load_b32 v1, v96, s[6:7] scale_offset
	s_wait_loadcnt_dscnt 0x0
	scratch_store_b32 off, v1, off offset:184
	flat_load_b32 v1, v98, s[6:7] scale_offset
	s_wait_loadcnt_dscnt 0x0
	scratch_store_b32 off, v1, off offset:188
	flat_load_b32 v1, v100, s[6:7] scale_offset
	s_wait_loadcnt_dscnt 0x0
	scratch_store_b32 off, v1, off offset:192
	flat_load_b32 v1, v102, s[6:7] scale_offset
	s_wait_loadcnt_dscnt 0x0
	scratch_store_b32 off, v1, off offset:196
	flat_load_b32 v1, v104, s[6:7] scale_offset
	s_wait_loadcnt_dscnt 0x0
	scratch_store_b32 off, v1, off offset:200
	flat_load_b32 v1, v106, s[6:7] scale_offset
	s_wait_loadcnt_dscnt 0x0
	scratch_store_b32 off, v1, off offset:204
	flat_load_b32 v1, v108, s[6:7] scale_offset
	s_wait_loadcnt_dscnt 0x0
	scratch_store_b32 off, v1, off offset:208
	flat_load_b32 v1, v110, s[6:7] scale_offset
	s_wait_loadcnt_dscnt 0x0
	scratch_store_b32 off, v1, off offset:212
	flat_load_b32 v1, v112, s[6:7] scale_offset
	s_wait_loadcnt_dscnt 0x0
	scratch_store_b32 off, v1, off offset:216
	flat_load_b32 v1, v114, s[6:7] scale_offset
	s_wait_loadcnt_dscnt 0x0
	scratch_store_b32 off, v1, off offset:220
	s_cbranch_scc1 .LBB119_3
; %bb.2:
	scratch_load_b32 v1, v0, off scale_offset
	s_wait_loadcnt 0x0
	v_div_scale_f32 v7, null, v1, v1, 1.0
	s_delay_alu instid0(VALU_DEP_1) | instskip(SKIP_1) | instid1(TRANS32_DEP_1)
	v_rcp_f32_e32 v116, v7
	v_nop
	v_fma_f32 v117, -v7, v116, 1.0
	s_delay_alu instid0(VALU_DEP_1) | instskip(SKIP_1) | instid1(VALU_DEP_1)
	v_fmac_f32_e32 v116, v117, v116
	v_div_scale_f32 v117, vcc_lo, 1.0, v1, 1.0
	v_mul_f32_e32 v118, v117, v116
	s_delay_alu instid0(VALU_DEP_1) | instskip(NEXT) | instid1(VALU_DEP_1)
	v_fma_f32 v119, -v7, v118, v117
	v_fmac_f32_e32 v118, v119, v116
	s_delay_alu instid0(VALU_DEP_1) | instskip(NEXT) | instid1(VALU_DEP_1)
	v_fma_f32 v7, -v7, v118, v117
	v_div_fmas_f32 v7, v7, v116, v118
	s_delay_alu instid0(VALU_DEP_1) | instskip(NEXT) | instid1(VALU_DEP_1)
	v_div_fixup_f32 v1, v7, v1, 1.0
	v_xor_b32_e32 v116, 0x80000000, v1
	scratch_store_b32 v0, v1, off scale_offset
.LBB119_3:
	s_wait_xcnt 0x0
	v_add_nc_u32_e32 v1, 0xe0, v6
	v_mov_b32_e32 v7, v6
	s_cmp_eq_u32 s4, 0x79
	s_mov_b32 s2, -1
	ds_store_b32 v6, v116
	s_cbranch_scc1 .LBB119_547
; %bb.4:
	scratch_load_b32 v116, off, off offset:216
	v_cmp_eq_u32_e64 s0, 55, v0
	s_movk_i32 s21, 0x44
	s_movk_i32 s22, 0x48
	;; [unrolled: 1-line block ×36, first 2 shown]
	s_wait_loadcnt 0x0
	ds_store_b32 v1, v116
	s_wait_storecnt_dscnt 0x0
	s_barrier_signal -1
	s_barrier_wait -1
	s_wait_xcnt 0x0
	s_and_saveexec_b32 s2, s0
	s_cbranch_execz .LBB119_10
; %bb.5:
	s_and_b32 vcc_lo, exec_lo, s3
	s_cbranch_vccz .LBB119_7
; %bb.6:
	scratch_load_b32 v116, v7, off
	ds_load_b32 v117, v1
	s_wait_loadcnt_dscnt 0x0
	v_mul_f32_e32 v116, v116, v117
	s_cbranch_execz .LBB119_8
	s_branch .LBB119_9
.LBB119_7:
                                        ; implicit-def: $vgpr116
.LBB119_8:
	ds_load_b32 v116, v1
.LBB119_9:
	v_mov_b32_e32 v117, 0
	ds_load_b32 v117, v117 offset:216
	s_wait_dscnt 0x0
	v_mul_f32_e32 v116, v116, v117
	scratch_store_b32 off, v116, off offset:216
.LBB119_10:
	s_wait_xcnt 0x0
	s_or_b32 exec_lo, exec_lo, s2
	scratch_load_b32 v116, off, off offset:212
	s_mov_b32 s38, s1
	v_cmp_lt_u32_e64 s1, 53, v0
	s_or_b32 s4, 0, 4
	s_or_b32 s5, 0, 8
	s_or_b32 s8, 0, 12
	s_mov_b32 s2, 16
	s_mov_b32 s9, 20
	;; [unrolled: 1-line block ×13, first 2 shown]
	s_wait_loadcnt 0x0
	ds_store_b32 v1, v116
	s_wait_storecnt_dscnt 0x0
	s_barrier_signal -1
	s_barrier_wait -1
	s_wait_xcnt 0x0
	s_and_saveexec_b32 s59, s1
	s_cbranch_execz .LBB119_16
; %bb.11:
	s_and_not1_b32 vcc_lo, exec_lo, s3
	s_cbranch_vccnz .LBB119_13
; %bb.12:
	scratch_load_b32 v116, v7, off
	ds_load_b32 v117, v1
	s_wait_loadcnt_dscnt 0x0
	v_mul_f32_e32 v116, v116, v117
	s_cbranch_execz .LBB119_14
	s_branch .LBB119_15
.LBB119_13:
                                        ; implicit-def: $vgpr116
.LBB119_14:
	ds_load_b32 v116, v1
.LBB119_15:
	scratch_load_b32 v117, off, off offset:216
	v_mov_b32_e32 v118, 0
	ds_load_2addr_b32 v[118:119], v118 offset0:53 offset1:110
	s_wait_loadcnt_dscnt 0x0
	v_fma_f32 v117, v117, v119, v116
	s_delay_alu instid0(VALU_DEP_1) | instskip(NEXT) | instid1(VALU_DEP_1)
	v_cndmask_b32_e64 v116, v116, v117, s0
	v_mul_f32_e32 v116, v116, v118
	scratch_store_b32 off, v116, off offset:212
.LBB119_16:
	s_wait_xcnt 0x0
	s_or_b32 exec_lo, exec_lo, s59
	scratch_load_b32 v116, off, off offset:208
	v_cmp_lt_u32_e64 s0, 52, v0
	s_wait_loadcnt 0x0
	ds_store_b32 v1, v116
	s_wait_storecnt_dscnt 0x0
	s_barrier_signal -1
	s_barrier_wait -1
	s_wait_xcnt 0x0
	s_and_saveexec_b32 s59, s0
	s_cbranch_execz .LBB119_26
; %bb.17:
	s_and_not1_b32 vcc_lo, exec_lo, s3
	s_cbranch_vccnz .LBB119_19
; %bb.18:
	scratch_load_b32 v116, v7, off
	ds_load_b32 v117, v1
	s_wait_loadcnt_dscnt 0x0
	v_mul_f32_e32 v116, v116, v117
	s_cbranch_execz .LBB119_20
	s_branch .LBB119_21
.LBB119_19:
                                        ; implicit-def: $vgpr116
.LBB119_20:
	ds_load_b32 v116, v1
.LBB119_21:
	s_and_saveexec_b32 s60, s1
	s_cbranch_execz .LBB119_25
; %bb.22:
	v_subrev_nc_u32_e32 v117, 53, v0
	s_movk_i32 s61, 0x1b4
	s_mov_b32 s1, 0
.LBB119_23:                             ; =>This Inner Loop Header: Depth=1
	scratch_load_b32 v118, off, s58
	v_dual_mov_b32 v119, s61 :: v_dual_add_nc_u32 v117, -1, v117
	s_add_co_i32 s61, s61, 4
	s_wait_xcnt 0x0
	s_add_co_i32 s58, s58, 4
	ds_load_b32 v119, v119
	v_cmp_eq_u32_e32 vcc_lo, 0, v117
	s_or_b32 s1, vcc_lo, s1
	s_wait_loadcnt_dscnt 0x0
	v_fmac_f32_e32 v116, v118, v119
	s_and_not1_b32 exec_lo, exec_lo, s1
	s_cbranch_execnz .LBB119_23
; %bb.24:
	s_or_b32 exec_lo, exec_lo, s1
.LBB119_25:
	s_delay_alu instid0(SALU_CYCLE_1)
	s_or_b32 exec_lo, exec_lo, s60
	v_mov_b32_e32 v117, 0
	ds_load_b32 v117, v117 offset:208
	s_wait_dscnt 0x0
	v_mul_f32_e32 v116, v116, v117
	scratch_store_b32 off, v116, off offset:208
.LBB119_26:
	s_wait_xcnt 0x0
	s_or_b32 exec_lo, exec_lo, s59
	scratch_load_b32 v116, off, off offset:204
	v_cmp_lt_u32_e64 s1, 51, v0
	s_wait_loadcnt 0x0
	ds_store_b32 v1, v116
	s_wait_storecnt_dscnt 0x0
	s_barrier_signal -1
	s_barrier_wait -1
	s_wait_xcnt 0x0
	s_and_saveexec_b32 s58, s1
	s_cbranch_execz .LBB119_36
; %bb.27:
	s_and_not1_b32 vcc_lo, exec_lo, s3
	s_cbranch_vccnz .LBB119_29
; %bb.28:
	scratch_load_b32 v116, v7, off
	ds_load_b32 v117, v1
	s_wait_loadcnt_dscnt 0x0
	v_mul_f32_e32 v116, v116, v117
	s_cbranch_execz .LBB119_30
	s_branch .LBB119_31
.LBB119_29:
                                        ; implicit-def: $vgpr116
.LBB119_30:
	ds_load_b32 v116, v1
.LBB119_31:
	s_and_saveexec_b32 s59, s0
	s_cbranch_execz .LBB119_35
; %bb.32:
	v_subrev_nc_u32_e32 v117, 52, v0
	s_movk_i32 s60, 0x1b0
	s_mov_b32 s0, 0
.LBB119_33:                             ; =>This Inner Loop Header: Depth=1
	scratch_load_b32 v118, off, s57
	v_dual_mov_b32 v119, s60 :: v_dual_add_nc_u32 v117, -1, v117
	s_add_co_i32 s60, s60, 4
	s_wait_xcnt 0x0
	s_add_co_i32 s57, s57, 4
	ds_load_b32 v119, v119
	v_cmp_eq_u32_e32 vcc_lo, 0, v117
	s_or_b32 s0, vcc_lo, s0
	s_wait_loadcnt_dscnt 0x0
	v_fmac_f32_e32 v116, v118, v119
	s_and_not1_b32 exec_lo, exec_lo, s0
	s_cbranch_execnz .LBB119_33
; %bb.34:
	s_or_b32 exec_lo, exec_lo, s0
.LBB119_35:
	s_delay_alu instid0(SALU_CYCLE_1)
	s_or_b32 exec_lo, exec_lo, s59
	v_mov_b32_e32 v117, 0
	ds_load_b32 v117, v117 offset:204
	s_wait_dscnt 0x0
	v_mul_f32_e32 v116, v116, v117
	scratch_store_b32 off, v116, off offset:204
.LBB119_36:
	;; [unrolled: 57-line block ×8, first 2 shown]
	s_wait_xcnt 0x0
	s_or_b32 exec_lo, exec_lo, s52
	scratch_load_b32 v116, off, off offset:176
	v_cmp_lt_u32_e64 s0, 44, v0
	s_wait_loadcnt 0x0
	ds_store_b32 v1, v116
	s_wait_storecnt_dscnt 0x0
	s_barrier_signal -1
	s_barrier_wait -1
	s_wait_xcnt 0x0
	s_and_saveexec_b32 s51, s0
	s_cbranch_execz .LBB119_106
; %bb.97:
	s_and_not1_b32 vcc_lo, exec_lo, s3
	s_cbranch_vccnz .LBB119_99
; %bb.98:
	scratch_load_b32 v116, v7, off
	ds_load_b32 v117, v1
	s_wait_loadcnt_dscnt 0x0
	v_mul_f32_e32 v116, v116, v117
	s_cbranch_execz .LBB119_100
	s_branch .LBB119_101
.LBB119_99:
                                        ; implicit-def: $vgpr116
.LBB119_100:
	ds_load_b32 v116, v1
.LBB119_101:
	s_and_saveexec_b32 s52, s1
	s_cbranch_execz .LBB119_105
; %bb.102:
	v_subrev_nc_u32_e32 v117, 45, v0
	s_movk_i32 s53, 0x194
	s_mov_b32 s1, 0
.LBB119_103:                            ; =>This Inner Loop Header: Depth=1
	scratch_load_b32 v118, off, s50
	v_dual_mov_b32 v119, s53 :: v_dual_add_nc_u32 v117, -1, v117
	s_add_co_i32 s53, s53, 4
	s_wait_xcnt 0x0
	s_add_co_i32 s50, s50, 4
	ds_load_b32 v119, v119
	v_cmp_eq_u32_e32 vcc_lo, 0, v117
	s_or_b32 s1, vcc_lo, s1
	s_wait_loadcnt_dscnt 0x0
	v_fmac_f32_e32 v116, v118, v119
	s_and_not1_b32 exec_lo, exec_lo, s1
	s_cbranch_execnz .LBB119_103
; %bb.104:
	s_or_b32 exec_lo, exec_lo, s1
.LBB119_105:
	s_delay_alu instid0(SALU_CYCLE_1)
	s_or_b32 exec_lo, exec_lo, s52
	v_mov_b32_e32 v117, 0
	ds_load_b32 v117, v117 offset:176
	s_wait_dscnt 0x0
	v_mul_f32_e32 v116, v116, v117
	scratch_store_b32 off, v116, off offset:176
.LBB119_106:
	s_wait_xcnt 0x0
	s_or_b32 exec_lo, exec_lo, s51
	scratch_load_b32 v116, off, off offset:172
	v_cmp_lt_u32_e64 s1, 43, v0
	s_wait_loadcnt 0x0
	ds_store_b32 v1, v116
	s_wait_storecnt_dscnt 0x0
	s_barrier_signal -1
	s_barrier_wait -1
	s_wait_xcnt 0x0
	s_and_saveexec_b32 s50, s1
	s_cbranch_execz .LBB119_116
; %bb.107:
	s_and_not1_b32 vcc_lo, exec_lo, s3
	s_cbranch_vccnz .LBB119_109
; %bb.108:
	scratch_load_b32 v116, v7, off
	ds_load_b32 v117, v1
	s_wait_loadcnt_dscnt 0x0
	v_mul_f32_e32 v116, v116, v117
	s_cbranch_execz .LBB119_110
	s_branch .LBB119_111
.LBB119_109:
                                        ; implicit-def: $vgpr116
.LBB119_110:
	ds_load_b32 v116, v1
.LBB119_111:
	s_and_saveexec_b32 s51, s0
	s_cbranch_execz .LBB119_115
; %bb.112:
	v_subrev_nc_u32_e32 v117, 44, v0
	s_movk_i32 s52, 0x190
	s_mov_b32 s0, 0
.LBB119_113:                            ; =>This Inner Loop Header: Depth=1
	scratch_load_b32 v118, off, s49
	v_dual_mov_b32 v119, s52 :: v_dual_add_nc_u32 v117, -1, v117
	s_add_co_i32 s52, s52, 4
	s_wait_xcnt 0x0
	s_add_co_i32 s49, s49, 4
	ds_load_b32 v119, v119
	v_cmp_eq_u32_e32 vcc_lo, 0, v117
	s_or_b32 s0, vcc_lo, s0
	s_wait_loadcnt_dscnt 0x0
	v_fmac_f32_e32 v116, v118, v119
	s_and_not1_b32 exec_lo, exec_lo, s0
	s_cbranch_execnz .LBB119_113
; %bb.114:
	s_or_b32 exec_lo, exec_lo, s0
.LBB119_115:
	s_delay_alu instid0(SALU_CYCLE_1)
	s_or_b32 exec_lo, exec_lo, s51
	v_mov_b32_e32 v117, 0
	ds_load_b32 v117, v117 offset:172
	s_wait_dscnt 0x0
	v_mul_f32_e32 v116, v116, v117
	scratch_store_b32 off, v116, off offset:172
.LBB119_116:
	;; [unrolled: 57-line block ×29, first 2 shown]
	s_wait_xcnt 0x0
	s_or_b32 exec_lo, exec_lo, s22
	scratch_load_b32 v116, off, off offset:60
	v_cmp_lt_u32_e64 s1, 15, v0
	s_wait_loadcnt 0x0
	ds_store_b32 v1, v116
	s_wait_storecnt_dscnt 0x0
	s_barrier_signal -1
	s_barrier_wait -1
	s_wait_xcnt 0x0
	s_and_saveexec_b32 s21, s1
	s_cbranch_execz .LBB119_396
; %bb.387:
	s_and_not1_b32 vcc_lo, exec_lo, s3
	s_cbranch_vccnz .LBB119_389
; %bb.388:
	scratch_load_b32 v116, v7, off
	ds_load_b32 v117, v1
	s_wait_loadcnt_dscnt 0x0
	v_mul_f32_e32 v116, v116, v117
	s_cbranch_execz .LBB119_390
	s_branch .LBB119_391
.LBB119_389:
                                        ; implicit-def: $vgpr116
.LBB119_390:
	ds_load_b32 v116, v1
.LBB119_391:
	s_and_saveexec_b32 s22, s0
	s_cbranch_execz .LBB119_395
; %bb.392:
	v_add_nc_u32_e32 v117, -16, v0
	s_movk_i32 s23, 0x120
	s_mov_b32 s0, 0
.LBB119_393:                            ; =>This Inner Loop Header: Depth=1
	scratch_load_b32 v118, off, s20
	v_dual_mov_b32 v119, s23 :: v_dual_add_nc_u32 v117, -1, v117
	s_add_co_i32 s23, s23, 4
	s_wait_xcnt 0x0
	s_add_co_i32 s20, s20, 4
	ds_load_b32 v119, v119
	v_cmp_eq_u32_e32 vcc_lo, 0, v117
	s_or_b32 s0, vcc_lo, s0
	s_wait_loadcnt_dscnt 0x0
	v_fmac_f32_e32 v116, v118, v119
	s_and_not1_b32 exec_lo, exec_lo, s0
	s_cbranch_execnz .LBB119_393
; %bb.394:
	s_or_b32 exec_lo, exec_lo, s0
.LBB119_395:
	s_delay_alu instid0(SALU_CYCLE_1)
	s_or_b32 exec_lo, exec_lo, s22
	v_mov_b32_e32 v117, 0
	ds_load_b32 v117, v117 offset:60
	s_wait_dscnt 0x0
	v_mul_f32_e32 v116, v116, v117
	scratch_store_b32 off, v116, off offset:60
.LBB119_396:
	s_wait_xcnt 0x0
	s_or_b32 exec_lo, exec_lo, s21
	scratch_load_b32 v116, off, off offset:56
	v_cmp_lt_u32_e64 s0, 14, v0
	s_wait_loadcnt 0x0
	ds_store_b32 v1, v116
	s_wait_storecnt_dscnt 0x0
	s_barrier_signal -1
	s_barrier_wait -1
	s_wait_xcnt 0x0
	s_and_saveexec_b32 s20, s0
	s_cbranch_execz .LBB119_406
; %bb.397:
	s_and_not1_b32 vcc_lo, exec_lo, s3
	s_cbranch_vccnz .LBB119_399
; %bb.398:
	scratch_load_b32 v116, v7, off
	ds_load_b32 v117, v1
	s_wait_loadcnt_dscnt 0x0
	v_mul_f32_e32 v116, v116, v117
	s_cbranch_execz .LBB119_400
	s_branch .LBB119_401
.LBB119_399:
                                        ; implicit-def: $vgpr116
.LBB119_400:
	ds_load_b32 v116, v1
.LBB119_401:
	s_and_saveexec_b32 s21, s1
	s_cbranch_execz .LBB119_405
; %bb.402:
	v_add_nc_u32_e32 v117, -15, v0
	s_movk_i32 s22, 0x11c
	s_mov_b32 s1, 0
.LBB119_403:                            ; =>This Inner Loop Header: Depth=1
	scratch_load_b32 v118, off, s19
	v_dual_mov_b32 v119, s22 :: v_dual_add_nc_u32 v117, -1, v117
	s_add_co_i32 s22, s22, 4
	s_wait_xcnt 0x0
	s_add_co_i32 s19, s19, 4
	ds_load_b32 v119, v119
	v_cmp_eq_u32_e32 vcc_lo, 0, v117
	s_or_b32 s1, vcc_lo, s1
	s_wait_loadcnt_dscnt 0x0
	v_fmac_f32_e32 v116, v118, v119
	s_and_not1_b32 exec_lo, exec_lo, s1
	s_cbranch_execnz .LBB119_403
; %bb.404:
	s_or_b32 exec_lo, exec_lo, s1
.LBB119_405:
	s_delay_alu instid0(SALU_CYCLE_1)
	s_or_b32 exec_lo, exec_lo, s21
	v_mov_b32_e32 v117, 0
	ds_load_b32 v117, v117 offset:56
	s_wait_dscnt 0x0
	v_mul_f32_e32 v116, v116, v117
	scratch_store_b32 off, v116, off offset:56
.LBB119_406:
	;; [unrolled: 57-line block ×15, first 2 shown]
	s_wait_xcnt 0x0
	s_or_b32 exec_lo, exec_lo, s1
	scratch_load_b32 v116, off, off
	s_mov_b32 s2, 0
	s_mov_b32 s1, exec_lo
	s_wait_loadcnt 0x0
	ds_store_b32 v1, v116
	s_wait_storecnt_dscnt 0x0
	s_barrier_signal -1
	s_barrier_wait -1
	s_wait_xcnt 0x0
	v_cmpx_ne_u32_e32 0, v0
	s_cbranch_execz .LBB119_546
; %bb.537:
	s_and_not1_b32 vcc_lo, exec_lo, s3
	s_cbranch_vccnz .LBB119_539
; %bb.538:
	scratch_load_b32 v116, v7, off
	ds_load_b32 v117, v1
	s_wait_loadcnt_dscnt 0x0
	v_mul_f32_e32 v116, v116, v117
	s_cbranch_execz .LBB119_540
	s_branch .LBB119_541
.LBB119_539:
                                        ; implicit-def: $vgpr116
.LBB119_540:
	ds_load_b32 v116, v1
.LBB119_541:
	s_and_saveexec_b32 s5, s0
	s_cbranch_execz .LBB119_545
; %bb.542:
	v_add_nc_u32_e32 v117, -1, v0
	s_movk_i32 s8, 0xe4
	s_mov_b32 s0, 0
.LBB119_543:                            ; =>This Inner Loop Header: Depth=1
	scratch_load_b32 v118, off, s4
	v_dual_mov_b32 v119, s8 :: v_dual_add_nc_u32 v117, -1, v117
	s_add_co_i32 s8, s8, 4
	s_wait_xcnt 0x0
	s_add_co_i32 s4, s4, 4
	ds_load_b32 v119, v119
	v_cmp_eq_u32_e32 vcc_lo, 0, v117
	s_or_b32 s0, vcc_lo, s0
	s_wait_loadcnt_dscnt 0x0
	v_fmac_f32_e32 v116, v118, v119
	s_and_not1_b32 exec_lo, exec_lo, s0
	s_cbranch_execnz .LBB119_543
; %bb.544:
	s_or_b32 exec_lo, exec_lo, s0
.LBB119_545:
	s_delay_alu instid0(SALU_CYCLE_1)
	s_or_b32 exec_lo, exec_lo, s5
	v_mov_b32_e32 v117, 0
	ds_load_b32 v117, v117
	s_wait_dscnt 0x0
	v_mul_f32_e32 v116, v116, v117
	scratch_store_b32 off, v116, off
.LBB119_546:
	s_wait_xcnt 0x0
	s_or_b32 exec_lo, exec_lo, s1
.LBB119_547:
	v_lshl_add_u64 v[168:169], v[8:9], 2, s[6:7]
	v_lshl_add_u64 v[166:167], v[10:11], 2, s[6:7]
	;; [unrolled: 1-line block ×54, first 2 shown]
	s_and_b32 vcc_lo, exec_lo, s2
	s_cbranch_vccz .LBB119_1089
; %bb.548:
	scratch_load_b32 v62, off, off offset:4
	v_cmp_eq_u32_e64 s0, 0, v0
	s_wait_loadcnt 0x0
	ds_store_b32 v1, v62
	s_wait_storecnt_dscnt 0x0
	s_barrier_signal -1
	s_barrier_wait -1
	s_wait_xcnt 0x0
	s_and_saveexec_b32 s1, s0
	s_cbranch_execz .LBB119_554
; %bb.549:
	s_and_b32 vcc_lo, exec_lo, s3
	s_cbranch_vccz .LBB119_551
; %bb.550:
	scratch_load_b32 v62, v7, off
	ds_load_b32 v63, v1
	s_wait_loadcnt_dscnt 0x0
	v_mul_f32_e32 v62, v62, v63
	s_cbranch_execz .LBB119_552
	s_branch .LBB119_553
.LBB119_551:
                                        ; implicit-def: $vgpr62
.LBB119_552:
	ds_load_b32 v62, v1
.LBB119_553:
	v_mov_b32_e32 v63, 0
	ds_load_b32 v63, v63 offset:4
	s_wait_dscnt 0x0
	v_mul_f32_e32 v62, v62, v63
	scratch_store_b32 off, v62, off offset:4
.LBB119_554:
	s_wait_xcnt 0x0
	s_or_b32 exec_lo, exec_lo, s1
	scratch_load_b32 v63, off, off offset:8
	v_cndmask_b32_e64 v62, 0, 1, s3
	s_mov_b32 s1, exec_lo
	s_wait_loadcnt 0x0
	ds_store_b32 v1, v63
	s_wait_storecnt_dscnt 0x0
	s_barrier_signal -1
	s_barrier_wait -1
	s_wait_xcnt 0x0
	v_cmpx_gt_u32_e32 2, v0
	s_cbranch_execz .LBB119_560
; %bb.555:
	s_and_not1_b32 vcc_lo, exec_lo, s3
	s_cbranch_vccnz .LBB119_557
; %bb.556:
	scratch_load_b32 v63, v7, off
	ds_load_b32 v64, v1
	s_wait_loadcnt_dscnt 0x0
	v_mul_f32_e32 v63, v63, v64
	s_cbranch_execz .LBB119_558
	s_branch .LBB119_559
.LBB119_557:
                                        ; implicit-def: $vgpr63
.LBB119_558:
	ds_load_b32 v63, v1
.LBB119_559:
	scratch_load_b32 v66, off, off offset:4
	v_mov_b32_e32 v64, 0
	ds_load_2addr_b32 v[64:65], v64 offset0:2 offset1:57
	s_wait_loadcnt_dscnt 0x0
	v_fma_f32 v65, v66, v65, v63
	s_delay_alu instid0(VALU_DEP_1) | instskip(NEXT) | instid1(VALU_DEP_1)
	v_cndmask_b32_e64 v63, v63, v65, s0
	v_mul_f32_e32 v63, v63, v64
	scratch_store_b32 off, v63, off offset:8
.LBB119_560:
	s_wait_xcnt 0x0
	s_or_b32 exec_lo, exec_lo, s1
	scratch_load_b32 v63, off, off offset:12
	s_mov_b32 s1, exec_lo
	s_wait_loadcnt 0x0
	ds_store_b32 v1, v63
	s_wait_storecnt_dscnt 0x0
	s_barrier_signal -1
	s_barrier_wait -1
	s_wait_xcnt 0x0
	v_cmpx_gt_u32_e32 3, v0
	s_cbranch_execz .LBB119_568
; %bb.561:
	v_cmp_ne_u32_e32 vcc_lo, 1, v62
	s_cbranch_vccnz .LBB119_563
; %bb.562:
	scratch_load_b32 v63, v7, off
	ds_load_b32 v64, v1
	s_wait_loadcnt_dscnt 0x0
	v_mul_f32_e32 v63, v63, v64
	s_cbranch_execz .LBB119_564
	s_branch .LBB119_565
.LBB119_563:
                                        ; implicit-def: $vgpr63
.LBB119_564:
	ds_load_b32 v63, v1
.LBB119_565:
	s_mov_b32 s2, exec_lo
	v_cmpx_ne_u32_e32 2, v0
	s_cbranch_execz .LBB119_567
; %bb.566:
	scratch_load_b32 v64, v7, off offset:4
	scratch_load_b32 v65, off, off offset:8
	ds_load_b32 v66, v1 offset:4
	v_mov_b32_e32 v67, 0
	ds_load_b32 v67, v67 offset:232
	s_wait_loadcnt_dscnt 0x101
	v_fmac_f32_e32 v63, v64, v66
	s_wait_loadcnt_dscnt 0x0
	s_delay_alu instid0(VALU_DEP_1) | instskip(NEXT) | instid1(VALU_DEP_1)
	v_fma_f32 v64, v65, v67, v63
	v_cndmask_b32_e64 v63, v63, v64, s0
.LBB119_567:
	s_or_b32 exec_lo, exec_lo, s2
	v_mov_b32_e32 v64, 0
	ds_load_b32 v64, v64 offset:12
	s_wait_dscnt 0x0
	v_mul_f32_e32 v63, v63, v64
	scratch_store_b32 off, v63, off offset:12
.LBB119_568:
	s_wait_xcnt 0x0
	s_or_b32 exec_lo, exec_lo, s1
	scratch_load_b32 v63, off, off offset:16
	s_mov_b32 s0, exec_lo
	s_wait_loadcnt 0x0
	ds_store_b32 v1, v63
	s_wait_storecnt_dscnt 0x0
	s_barrier_signal -1
	s_barrier_wait -1
	s_wait_xcnt 0x0
	v_cmpx_gt_u32_e32 4, v0
	s_cbranch_execz .LBB119_578
; %bb.569:
	v_cmp_ne_u32_e32 vcc_lo, 1, v62
	s_cbranch_vccnz .LBB119_571
; %bb.570:
	scratch_load_b32 v63, v7, off
	ds_load_b32 v64, v1
	s_wait_loadcnt_dscnt 0x0
	v_mul_f32_e32 v63, v63, v64
	s_cbranch_execz .LBB119_572
	s_branch .LBB119_573
.LBB119_571:
                                        ; implicit-def: $vgpr63
.LBB119_572:
	ds_load_b32 v63, v1
.LBB119_573:
	s_mov_b32 s1, exec_lo
	v_cmpx_ne_u32_e32 3, v0
	s_cbranch_execz .LBB119_577
; %bb.574:
	v_add_nc_u32_e32 v64, 0xe4, v6
	v_add3_u32 v65, 0, v6, 4
	v_mov_b32_e32 v66, v0
	s_mov_b32 s2, 0
.LBB119_575:                            ; =>This Inner Loop Header: Depth=1
	scratch_load_b32 v67, v65, off
	ds_load_b32 v68, v64
	v_dual_add_nc_u32 v66, 1, v66 :: v_dual_add_nc_u32 v64, 4, v64
	s_wait_xcnt 0x0
	v_add_nc_u32_e32 v65, 4, v65
	s_delay_alu instid0(VALU_DEP_2)
	v_cmp_lt_u32_e32 vcc_lo, 2, v66
	s_or_b32 s2, vcc_lo, s2
	s_wait_loadcnt_dscnt 0x0
	v_fmac_f32_e32 v63, v67, v68
	s_and_not1_b32 exec_lo, exec_lo, s2
	s_cbranch_execnz .LBB119_575
; %bb.576:
	s_or_b32 exec_lo, exec_lo, s2
.LBB119_577:
	s_delay_alu instid0(SALU_CYCLE_1)
	s_or_b32 exec_lo, exec_lo, s1
	v_mov_b32_e32 v64, 0
	ds_load_b32 v64, v64 offset:16
	s_wait_dscnt 0x0
	v_mul_f32_e32 v63, v63, v64
	scratch_store_b32 off, v63, off offset:16
.LBB119_578:
	s_wait_xcnt 0x0
	s_or_b32 exec_lo, exec_lo, s0
	scratch_load_b32 v63, off, off offset:20
	s_mov_b32 s0, exec_lo
	s_wait_loadcnt 0x0
	ds_store_b32 v1, v63
	s_wait_storecnt_dscnt 0x0
	s_barrier_signal -1
	s_barrier_wait -1
	s_wait_xcnt 0x0
	v_cmpx_gt_u32_e32 5, v0
	s_cbranch_execz .LBB119_588
; %bb.579:
	v_cmp_ne_u32_e32 vcc_lo, 1, v62
	s_cbranch_vccnz .LBB119_581
; %bb.580:
	scratch_load_b32 v63, v7, off
	ds_load_b32 v64, v1
	s_wait_loadcnt_dscnt 0x0
	v_mul_f32_e32 v63, v63, v64
	s_cbranch_execz .LBB119_582
	s_branch .LBB119_583
.LBB119_581:
                                        ; implicit-def: $vgpr63
.LBB119_582:
	ds_load_b32 v63, v1
.LBB119_583:
	s_mov_b32 s1, exec_lo
	v_cmpx_ne_u32_e32 4, v0
	s_cbranch_execz .LBB119_587
; %bb.584:
	v_add_nc_u32_e32 v64, 0xe4, v6
	v_add3_u32 v65, 0, v6, 4
	v_mov_b32_e32 v66, v0
	s_mov_b32 s2, 0
.LBB119_585:                            ; =>This Inner Loop Header: Depth=1
	scratch_load_b32 v67, v65, off
	ds_load_b32 v68, v64
	v_dual_add_nc_u32 v66, 1, v66 :: v_dual_add_nc_u32 v64, 4, v64
	s_wait_xcnt 0x0
	v_add_nc_u32_e32 v65, 4, v65
	s_delay_alu instid0(VALU_DEP_2)
	v_cmp_lt_u32_e32 vcc_lo, 3, v66
	s_or_b32 s2, vcc_lo, s2
	s_wait_loadcnt_dscnt 0x0
	v_fmac_f32_e32 v63, v67, v68
	s_and_not1_b32 exec_lo, exec_lo, s2
	s_cbranch_execnz .LBB119_585
; %bb.586:
	s_or_b32 exec_lo, exec_lo, s2
.LBB119_587:
	s_delay_alu instid0(SALU_CYCLE_1)
	s_or_b32 exec_lo, exec_lo, s1
	v_mov_b32_e32 v64, 0
	ds_load_b32 v64, v64 offset:20
	s_wait_dscnt 0x0
	v_mul_f32_e32 v63, v63, v64
	scratch_store_b32 off, v63, off offset:20
.LBB119_588:
	;; [unrolled: 59-line block ×43, first 2 shown]
	s_wait_xcnt 0x0
	s_or_b32 exec_lo, exec_lo, s0
	scratch_load_b32 v63, off, off offset:188
	s_mov_b32 s0, exec_lo
	s_wait_loadcnt 0x0
	ds_store_b32 v1, v63
	s_wait_storecnt_dscnt 0x0
	s_barrier_signal -1
	s_barrier_wait -1
	s_wait_xcnt 0x0
	v_cmpx_gt_u32_e32 47, v0
	s_cbranch_execz .LBB119_1008
; %bb.999:
	v_cmp_ne_u32_e32 vcc_lo, 1, v62
	s_cbranch_vccnz .LBB119_1001
; %bb.1000:
	scratch_load_b32 v63, v7, off
	ds_load_b32 v64, v1
	s_wait_loadcnt_dscnt 0x0
	v_mul_f32_e32 v63, v63, v64
	s_cbranch_execz .LBB119_1002
	s_branch .LBB119_1003
.LBB119_1001:
                                        ; implicit-def: $vgpr63
.LBB119_1002:
	ds_load_b32 v63, v1
.LBB119_1003:
	s_mov_b32 s1, exec_lo
	v_cmpx_ne_u32_e32 46, v0
	s_cbranch_execz .LBB119_1007
; %bb.1004:
	v_add_nc_u32_e32 v64, 0xe4, v6
	v_add3_u32 v65, 0, v6, 4
	v_mov_b32_e32 v66, v0
	s_mov_b32 s2, 0
.LBB119_1005:                           ; =>This Inner Loop Header: Depth=1
	scratch_load_b32 v67, v65, off
	ds_load_b32 v68, v64
	v_dual_add_nc_u32 v66, 1, v66 :: v_dual_add_nc_u32 v64, 4, v64
	s_wait_xcnt 0x0
	v_add_nc_u32_e32 v65, 4, v65
	s_delay_alu instid0(VALU_DEP_2)
	v_cmp_lt_u32_e32 vcc_lo, 45, v66
	s_or_b32 s2, vcc_lo, s2
	s_wait_loadcnt_dscnt 0x0
	v_fmac_f32_e32 v63, v67, v68
	s_and_not1_b32 exec_lo, exec_lo, s2
	s_cbranch_execnz .LBB119_1005
; %bb.1006:
	s_or_b32 exec_lo, exec_lo, s2
.LBB119_1007:
	s_delay_alu instid0(SALU_CYCLE_1)
	s_or_b32 exec_lo, exec_lo, s1
	v_mov_b32_e32 v64, 0
	ds_load_b32 v64, v64 offset:188
	s_wait_dscnt 0x0
	v_mul_f32_e32 v63, v63, v64
	scratch_store_b32 off, v63, off offset:188
.LBB119_1008:
	s_wait_xcnt 0x0
	s_or_b32 exec_lo, exec_lo, s0
	scratch_load_b32 v63, off, off offset:192
	s_mov_b32 s0, exec_lo
	s_wait_loadcnt 0x0
	ds_store_b32 v1, v63
	s_wait_storecnt_dscnt 0x0
	s_barrier_signal -1
	s_barrier_wait -1
	s_wait_xcnt 0x0
	v_cmpx_gt_u32_e32 48, v0
	s_cbranch_execz .LBB119_1018
; %bb.1009:
	v_cmp_ne_u32_e32 vcc_lo, 1, v62
	s_cbranch_vccnz .LBB119_1011
; %bb.1010:
	scratch_load_b32 v63, v7, off
	ds_load_b32 v64, v1
	s_wait_loadcnt_dscnt 0x0
	v_mul_f32_e32 v63, v63, v64
	s_cbranch_execz .LBB119_1012
	s_branch .LBB119_1013
.LBB119_1011:
                                        ; implicit-def: $vgpr63
.LBB119_1012:
	ds_load_b32 v63, v1
.LBB119_1013:
	s_mov_b32 s1, exec_lo
	v_cmpx_ne_u32_e32 47, v0
	s_cbranch_execz .LBB119_1017
; %bb.1014:
	v_add_nc_u32_e32 v64, 0xe4, v6
	v_add3_u32 v65, 0, v6, 4
	v_mov_b32_e32 v66, v0
	s_mov_b32 s2, 0
.LBB119_1015:                           ; =>This Inner Loop Header: Depth=1
	scratch_load_b32 v67, v65, off
	ds_load_b32 v68, v64
	v_dual_add_nc_u32 v66, 1, v66 :: v_dual_add_nc_u32 v64, 4, v64
	s_wait_xcnt 0x0
	v_add_nc_u32_e32 v65, 4, v65
	s_delay_alu instid0(VALU_DEP_2)
	v_cmp_lt_u32_e32 vcc_lo, 46, v66
	s_or_b32 s2, vcc_lo, s2
	s_wait_loadcnt_dscnt 0x0
	v_fmac_f32_e32 v63, v67, v68
	s_and_not1_b32 exec_lo, exec_lo, s2
	s_cbranch_execnz .LBB119_1015
; %bb.1016:
	s_or_b32 exec_lo, exec_lo, s2
.LBB119_1017:
	s_delay_alu instid0(SALU_CYCLE_1)
	s_or_b32 exec_lo, exec_lo, s1
	v_mov_b32_e32 v64, 0
	ds_load_b32 v64, v64 offset:192
	s_wait_dscnt 0x0
	v_mul_f32_e32 v63, v63, v64
	scratch_store_b32 off, v63, off offset:192
.LBB119_1018:
	;; [unrolled: 59-line block ×7, first 2 shown]
	s_wait_xcnt 0x0
	s_or_b32 exec_lo, exec_lo, s0
	scratch_load_b32 v63, off, off offset:216
	v_cmp_gt_u32_e64 s0, 54, v0
	s_wait_loadcnt 0x0
	ds_store_b32 v1, v63
	s_wait_storecnt_dscnt 0x0
	s_barrier_signal -1
	s_barrier_wait -1
	s_wait_xcnt 0x0
	s_and_saveexec_b32 s1, s0
	s_cbranch_execz .LBB119_1078
; %bb.1069:
	v_cmp_ne_u32_e32 vcc_lo, 1, v62
	s_cbranch_vccnz .LBB119_1071
; %bb.1070:
	scratch_load_b32 v63, v7, off
	ds_load_b32 v64, v1
	s_wait_loadcnt_dscnt 0x0
	v_mul_f32_e32 v63, v63, v64
	s_cbranch_execz .LBB119_1072
	s_branch .LBB119_1073
.LBB119_1071:
                                        ; implicit-def: $vgpr63
.LBB119_1072:
	ds_load_b32 v63, v1
.LBB119_1073:
	s_mov_b32 s2, exec_lo
	v_cmpx_ne_u32_e32 53, v0
	s_cbranch_execz .LBB119_1077
; %bb.1074:
	v_add_nc_u32_e32 v64, 0xe4, v6
	v_add3_u32 v65, 0, v6, 4
	v_mov_b32_e32 v66, v0
	s_mov_b32 s3, 0
.LBB119_1075:                           ; =>This Inner Loop Header: Depth=1
	scratch_load_b32 v67, v65, off
	ds_load_b32 v68, v64
	v_dual_add_nc_u32 v66, 1, v66 :: v_dual_add_nc_u32 v64, 4, v64
	s_wait_xcnt 0x0
	v_add_nc_u32_e32 v65, 4, v65
	s_delay_alu instid0(VALU_DEP_2)
	v_cmp_lt_u32_e32 vcc_lo, 52, v66
	s_or_b32 s3, vcc_lo, s3
	s_wait_loadcnt_dscnt 0x0
	v_fmac_f32_e32 v63, v67, v68
	s_and_not1_b32 exec_lo, exec_lo, s3
	s_cbranch_execnz .LBB119_1075
; %bb.1076:
	s_or_b32 exec_lo, exec_lo, s3
.LBB119_1077:
	s_delay_alu instid0(SALU_CYCLE_1)
	s_or_b32 exec_lo, exec_lo, s2
	v_mov_b32_e32 v64, 0
	ds_load_b32 v64, v64 offset:216
	s_wait_dscnt 0x0
	v_mul_f32_e32 v63, v63, v64
	scratch_store_b32 off, v63, off offset:216
.LBB119_1078:
	s_wait_xcnt 0x0
	s_or_b32 exec_lo, exec_lo, s1
	scratch_load_b32 v63, off, off offset:220
	s_mov_b32 s1, exec_lo
	s_wait_loadcnt 0x0
	ds_store_b32 v1, v63
	s_wait_storecnt_dscnt 0x0
	s_barrier_signal -1
	s_barrier_wait -1
	s_wait_xcnt 0x0
	v_cmpx_ne_u32_e32 55, v0
	s_cbranch_execz .LBB119_1088
; %bb.1079:
	v_cmp_ne_u32_e32 vcc_lo, 1, v62
	s_cbranch_vccnz .LBB119_1081
; %bb.1080:
	scratch_load_b32 v7, v7, off
	ds_load_b32 v62, v1
	s_wait_loadcnt_dscnt 0x0
	v_mul_f32_e32 v7, v7, v62
	s_cbranch_execz .LBB119_1082
	s_branch .LBB119_1083
.LBB119_1081:
                                        ; implicit-def: $vgpr7
.LBB119_1082:
	ds_load_b32 v7, v1
.LBB119_1083:
	s_and_saveexec_b32 s2, s0
	s_cbranch_execz .LBB119_1087
; %bb.1084:
	v_add_nc_u32_e32 v1, 0xe4, v6
	v_add3_u32 v6, 0, v6, 4
	s_mov_b32 s0, 0
.LBB119_1085:                           ; =>This Inner Loop Header: Depth=1
	scratch_load_b32 v62, v6, off
	ds_load_b32 v63, v1
	v_dual_add_nc_u32 v0, 1, v0 :: v_dual_add_nc_u32 v1, 4, v1
	s_wait_xcnt 0x0
	v_add_nc_u32_e32 v6, 4, v6
	s_delay_alu instid0(VALU_DEP_2)
	v_cmp_lt_u32_e32 vcc_lo, 53, v0
	s_or_b32 s0, vcc_lo, s0
	s_wait_loadcnt_dscnt 0x0
	v_fmac_f32_e32 v7, v62, v63
	s_and_not1_b32 exec_lo, exec_lo, s0
	s_cbranch_execnz .LBB119_1085
; %bb.1086:
	s_or_b32 exec_lo, exec_lo, s0
.LBB119_1087:
	s_delay_alu instid0(SALU_CYCLE_1)
	s_or_b32 exec_lo, exec_lo, s2
	v_mov_b32_e32 v0, 0
	ds_load_b32 v0, v0 offset:220
	s_wait_dscnt 0x0
	v_mul_f32_e32 v0, v7, v0
	scratch_store_b32 off, v0, off offset:220
.LBB119_1088:
	s_wait_xcnt 0x0
	s_or_b32 exec_lo, exec_lo, s1
.LBB119_1089:
	scratch_load_b32 v0, off, off
	s_wait_loadcnt 0x0
	flat_store_b32 v[2:3], v0
	scratch_load_b32 v0, off, off offset:4
	s_wait_loadcnt 0x0
	flat_store_b32 v[4:5], v0
	scratch_load_b32 v0, off, off offset:8
	s_wait_loadcnt 0x0
	flat_store_b32 v[168:169], v0
	scratch_load_b32 v0, off, off offset:12
	s_wait_loadcnt 0x0
	flat_store_b32 v[166:167], v0
	scratch_load_b32 v0, off, off offset:16
	s_wait_loadcnt 0x0
	flat_store_b32 v[164:165], v0
	scratch_load_b32 v0, off, off offset:20
	s_wait_loadcnt 0x0
	flat_store_b32 v[162:163], v0
	scratch_load_b32 v0, off, off offset:24
	s_wait_loadcnt 0x0
	flat_store_b32 v[160:161], v0
	scratch_load_b32 v0, off, off offset:28
	s_wait_loadcnt 0x0
	flat_store_b32 v[158:159], v0
	scratch_load_b32 v0, off, off offset:32
	s_wait_loadcnt 0x0
	flat_store_b32 v[156:157], v0
	scratch_load_b32 v0, off, off offset:36
	s_wait_loadcnt 0x0
	flat_store_b32 v[154:155], v0
	scratch_load_b32 v0, off, off offset:40
	s_wait_loadcnt 0x0
	flat_store_b32 v[152:153], v0
	scratch_load_b32 v0, off, off offset:44
	s_wait_loadcnt 0x0
	flat_store_b32 v[150:151], v0
	scratch_load_b32 v0, off, off offset:48
	s_wait_loadcnt 0x0
	flat_store_b32 v[148:149], v0
	scratch_load_b32 v0, off, off offset:52
	s_wait_loadcnt 0x0
	flat_store_b32 v[146:147], v0
	scratch_load_b32 v0, off, off offset:56
	s_wait_loadcnt 0x0
	flat_store_b32 v[144:145], v0
	scratch_load_b32 v0, off, off offset:60
	s_wait_loadcnt 0x0
	flat_store_b32 v[142:143], v0
	scratch_load_b32 v0, off, off offset:64
	s_wait_loadcnt 0x0
	flat_store_b32 v[140:141], v0
	scratch_load_b32 v0, off, off offset:68
	s_wait_loadcnt 0x0
	flat_store_b32 v[138:139], v0
	scratch_load_b32 v0, off, off offset:72
	s_wait_loadcnt 0x0
	flat_store_b32 v[136:137], v0
	scratch_load_b32 v0, off, off offset:76
	s_wait_loadcnt 0x0
	flat_store_b32 v[134:135], v0
	scratch_load_b32 v0, off, off offset:80
	s_wait_loadcnt 0x0
	flat_store_b32 v[132:133], v0
	scratch_load_b32 v0, off, off offset:84
	s_wait_loadcnt 0x0
	flat_store_b32 v[130:131], v0
	scratch_load_b32 v0, off, off offset:88
	s_wait_loadcnt 0x0
	flat_store_b32 v[128:129], v0
	scratch_load_b32 v0, off, off offset:92
	s_wait_loadcnt 0x0
	flat_store_b32 v[126:127], v0
	scratch_load_b32 v0, off, off offset:96
	s_wait_loadcnt 0x0
	flat_store_b32 v[124:125], v0
	scratch_load_b32 v0, off, off offset:100
	s_wait_loadcnt 0x0
	flat_store_b32 v[122:123], v0
	scratch_load_b32 v0, off, off offset:104
	s_wait_loadcnt 0x0
	flat_store_b32 v[120:121], v0
	scratch_load_b32 v0, off, off offset:108
	s_wait_loadcnt 0x0
	flat_store_b32 v[118:119], v0
	scratch_load_b32 v0, off, off offset:112
	s_wait_loadcnt 0x0
	flat_store_b32 v[116:117], v0
	scratch_load_b32 v0, off, off offset:116
	s_wait_loadcnt 0x0
	flat_store_b32 v[60:61], v0
	scratch_load_b32 v0, off, off offset:120
	s_wait_loadcnt 0x0
	flat_store_b32 v[58:59], v0
	scratch_load_b32 v0, off, off offset:124
	s_wait_loadcnt 0x0
	flat_store_b32 v[56:57], v0
	scratch_load_b32 v0, off, off offset:128
	s_wait_loadcnt 0x0
	flat_store_b32 v[54:55], v0
	scratch_load_b32 v0, off, off offset:132
	s_wait_loadcnt 0x0
	flat_store_b32 v[52:53], v0
	scratch_load_b32 v0, off, off offset:136
	s_wait_loadcnt 0x0
	flat_store_b32 v[50:51], v0
	scratch_load_b32 v0, off, off offset:140
	s_wait_loadcnt 0x0
	flat_store_b32 v[48:49], v0
	scratch_load_b32 v0, off, off offset:144
	s_wait_loadcnt 0x0
	flat_store_b32 v[46:47], v0
	scratch_load_b32 v0, off, off offset:148
	s_wait_loadcnt 0x0
	flat_store_b32 v[44:45], v0
	scratch_load_b32 v0, off, off offset:152
	s_wait_loadcnt 0x0
	flat_store_b32 v[42:43], v0
	scratch_load_b32 v0, off, off offset:156
	s_wait_loadcnt 0x0
	flat_store_b32 v[40:41], v0
	scratch_load_b32 v0, off, off offset:160
	s_wait_loadcnt 0x0
	flat_store_b32 v[38:39], v0
	scratch_load_b32 v0, off, off offset:164
	s_wait_loadcnt 0x0
	flat_store_b32 v[36:37], v0
	scratch_load_b32 v0, off, off offset:168
	s_wait_loadcnt 0x0
	flat_store_b32 v[34:35], v0
	scratch_load_b32 v0, off, off offset:172
	s_wait_loadcnt 0x0
	flat_store_b32 v[32:33], v0
	scratch_load_b32 v0, off, off offset:176
	s_wait_loadcnt 0x0
	flat_store_b32 v[30:31], v0
	scratch_load_b32 v0, off, off offset:180
	s_wait_loadcnt 0x0
	flat_store_b32 v[28:29], v0
	scratch_load_b32 v0, off, off offset:184
	s_wait_loadcnt 0x0
	flat_store_b32 v[26:27], v0
	scratch_load_b32 v0, off, off offset:188
	s_wait_loadcnt 0x0
	flat_store_b32 v[24:25], v0
	scratch_load_b32 v0, off, off offset:192
	s_wait_loadcnt 0x0
	flat_store_b32 v[22:23], v0
	scratch_load_b32 v0, off, off offset:196
	s_wait_loadcnt 0x0
	flat_store_b32 v[20:21], v0
	scratch_load_b32 v0, off, off offset:200
	s_wait_loadcnt 0x0
	flat_store_b32 v[18:19], v0
	scratch_load_b32 v0, off, off offset:204
	s_wait_loadcnt 0x0
	flat_store_b32 v[16:17], v0
	scratch_load_b32 v0, off, off offset:208
	s_wait_loadcnt 0x0
	flat_store_b32 v[14:15], v0
	scratch_load_b32 v0, off, off offset:212
	s_wait_loadcnt 0x0
	flat_store_b32 v[12:13], v0
	scratch_load_b32 v0, off, off offset:216
	s_wait_loadcnt 0x0
	flat_store_b32 v[10:11], v0
	scratch_load_b32 v0, off, off offset:220
	s_wait_loadcnt 0x0
	flat_store_b32 v[8:9], v0
.LBB119_1090:
	s_sendmsg sendmsg(MSG_DEALLOC_VGPRS)
	s_endpgm
	.section	.rodata,"a",@progbits
	.p2align	6, 0x0
	.amdhsa_kernel _ZN9rocsolver6v33100L18trti2_kernel_smallILi56EfPKPfEEv13rocblas_fill_17rocblas_diagonal_T1_iil
		.amdhsa_group_segment_fixed_size 448
		.amdhsa_private_segment_fixed_size 240
		.amdhsa_kernarg_size 32
		.amdhsa_user_sgpr_count 2
		.amdhsa_user_sgpr_dispatch_ptr 0
		.amdhsa_user_sgpr_queue_ptr 0
		.amdhsa_user_sgpr_kernarg_segment_ptr 1
		.amdhsa_user_sgpr_dispatch_id 0
		.amdhsa_user_sgpr_kernarg_preload_length 0
		.amdhsa_user_sgpr_kernarg_preload_offset 0
		.amdhsa_user_sgpr_private_segment_size 0
		.amdhsa_wavefront_size32 1
		.amdhsa_uses_dynamic_stack 0
		.amdhsa_enable_private_segment 1
		.amdhsa_system_sgpr_workgroup_id_x 1
		.amdhsa_system_sgpr_workgroup_id_y 0
		.amdhsa_system_sgpr_workgroup_id_z 0
		.amdhsa_system_sgpr_workgroup_info 0
		.amdhsa_system_vgpr_workitem_id 0
		.amdhsa_next_free_vgpr 170
		.amdhsa_next_free_sgpr 62
		.amdhsa_named_barrier_count 0
		.amdhsa_reserve_vcc 1
		.amdhsa_float_round_mode_32 0
		.amdhsa_float_round_mode_16_64 0
		.amdhsa_float_denorm_mode_32 3
		.amdhsa_float_denorm_mode_16_64 3
		.amdhsa_fp16_overflow 0
		.amdhsa_memory_ordered 1
		.amdhsa_forward_progress 1
		.amdhsa_inst_pref_size 254
		.amdhsa_round_robin_scheduling 0
		.amdhsa_exception_fp_ieee_invalid_op 0
		.amdhsa_exception_fp_denorm_src 0
		.amdhsa_exception_fp_ieee_div_zero 0
		.amdhsa_exception_fp_ieee_overflow 0
		.amdhsa_exception_fp_ieee_underflow 0
		.amdhsa_exception_fp_ieee_inexact 0
		.amdhsa_exception_int_div_zero 0
	.end_amdhsa_kernel
	.section	.text._ZN9rocsolver6v33100L18trti2_kernel_smallILi56EfPKPfEEv13rocblas_fill_17rocblas_diagonal_T1_iil,"axG",@progbits,_ZN9rocsolver6v33100L18trti2_kernel_smallILi56EfPKPfEEv13rocblas_fill_17rocblas_diagonal_T1_iil,comdat
.Lfunc_end119:
	.size	_ZN9rocsolver6v33100L18trti2_kernel_smallILi56EfPKPfEEv13rocblas_fill_17rocblas_diagonal_T1_iil, .Lfunc_end119-_ZN9rocsolver6v33100L18trti2_kernel_smallILi56EfPKPfEEv13rocblas_fill_17rocblas_diagonal_T1_iil
                                        ; -- End function
	.set _ZN9rocsolver6v33100L18trti2_kernel_smallILi56EfPKPfEEv13rocblas_fill_17rocblas_diagonal_T1_iil.num_vgpr, 170
	.set _ZN9rocsolver6v33100L18trti2_kernel_smallILi56EfPKPfEEv13rocblas_fill_17rocblas_diagonal_T1_iil.num_agpr, 0
	.set _ZN9rocsolver6v33100L18trti2_kernel_smallILi56EfPKPfEEv13rocblas_fill_17rocblas_diagonal_T1_iil.numbered_sgpr, 62
	.set _ZN9rocsolver6v33100L18trti2_kernel_smallILi56EfPKPfEEv13rocblas_fill_17rocblas_diagonal_T1_iil.num_named_barrier, 0
	.set _ZN9rocsolver6v33100L18trti2_kernel_smallILi56EfPKPfEEv13rocblas_fill_17rocblas_diagonal_T1_iil.private_seg_size, 240
	.set _ZN9rocsolver6v33100L18trti2_kernel_smallILi56EfPKPfEEv13rocblas_fill_17rocblas_diagonal_T1_iil.uses_vcc, 1
	.set _ZN9rocsolver6v33100L18trti2_kernel_smallILi56EfPKPfEEv13rocblas_fill_17rocblas_diagonal_T1_iil.uses_flat_scratch, 0
	.set _ZN9rocsolver6v33100L18trti2_kernel_smallILi56EfPKPfEEv13rocblas_fill_17rocblas_diagonal_T1_iil.has_dyn_sized_stack, 0
	.set _ZN9rocsolver6v33100L18trti2_kernel_smallILi56EfPKPfEEv13rocblas_fill_17rocblas_diagonal_T1_iil.has_recursion, 0
	.set _ZN9rocsolver6v33100L18trti2_kernel_smallILi56EfPKPfEEv13rocblas_fill_17rocblas_diagonal_T1_iil.has_indirect_call, 0
	.section	.AMDGPU.csdata,"",@progbits
; Kernel info:
; codeLenInByte = 32400
; TotalNumSgprs: 64
; NumVgprs: 170
; ScratchSize: 240
; MemoryBound: 0
; FloatMode: 240
; IeeeMode: 1
; LDSByteSize: 448 bytes/workgroup (compile time only)
; SGPRBlocks: 0
; VGPRBlocks: 10
; NumSGPRsForWavesPerEU: 64
; NumVGPRsForWavesPerEU: 170
; NamedBarCnt: 0
; Occupancy: 5
; WaveLimiterHint : 1
; COMPUTE_PGM_RSRC2:SCRATCH_EN: 1
; COMPUTE_PGM_RSRC2:USER_SGPR: 2
; COMPUTE_PGM_RSRC2:TRAP_HANDLER: 0
; COMPUTE_PGM_RSRC2:TGID_X_EN: 1
; COMPUTE_PGM_RSRC2:TGID_Y_EN: 0
; COMPUTE_PGM_RSRC2:TGID_Z_EN: 0
; COMPUTE_PGM_RSRC2:TIDIG_COMP_CNT: 0
	.section	.text._ZN9rocsolver6v33100L18trti2_kernel_smallILi57EfPKPfEEv13rocblas_fill_17rocblas_diagonal_T1_iil,"axG",@progbits,_ZN9rocsolver6v33100L18trti2_kernel_smallILi57EfPKPfEEv13rocblas_fill_17rocblas_diagonal_T1_iil,comdat
	.globl	_ZN9rocsolver6v33100L18trti2_kernel_smallILi57EfPKPfEEv13rocblas_fill_17rocblas_diagonal_T1_iil ; -- Begin function _ZN9rocsolver6v33100L18trti2_kernel_smallILi57EfPKPfEEv13rocblas_fill_17rocblas_diagonal_T1_iil
	.p2align	8
	.type	_ZN9rocsolver6v33100L18trti2_kernel_smallILi57EfPKPfEEv13rocblas_fill_17rocblas_diagonal_T1_iil,@function
_ZN9rocsolver6v33100L18trti2_kernel_smallILi57EfPKPfEEv13rocblas_fill_17rocblas_diagonal_T1_iil: ; @_ZN9rocsolver6v33100L18trti2_kernel_smallILi57EfPKPfEEv13rocblas_fill_17rocblas_diagonal_T1_iil
; %bb.0:
	s_mov_b32 s2, exec_lo
	v_cmpx_gt_u32_e32 57, v0
	s_cbranch_execz .LBB120_1110
; %bb.1:
	s_clause 0x1
	s_load_b64 s[8:9], s[0:1], 0x10
	s_load_b128 s[4:7], s[0:1], 0x0
	s_wait_xcnt 0x0
	s_bfe_u32 s0, ttmp6, 0x4000c
	s_and_b32 s1, ttmp6, 15
	s_add_co_i32 s0, s0, 1
	s_getreg_b32 s2, hwreg(HW_REG_IB_STS2, 6, 4)
	s_mul_i32 s0, ttmp9, s0
	v_dual_mov_b32 v7, 0 :: v_dual_lshlrev_b32 v6, 2, v0
	s_add_co_i32 s0, s1, s0
	v_mov_b32_e32 v118, -1.0
	s_wait_kmcnt 0x0
	s_ashr_i32 s1, s8, 31
	s_cmp_eq_u32 s2, 0
	v_add3_u32 v8, s9, s9, v0
	s_cselect_b32 s2, ttmp9, s0
	s_mov_b32 s0, s8
	s_ashr_i32 s3, s2, 31
	s_lshl_b64 s[0:1], s[0:1], 2
	s_lshl_b64 s[2:3], s[2:3], 3
	v_add_nc_u32_e32 v10, s9, v8
	s_add_nc_u64 s[2:3], s[6:7], s[2:3]
	s_load_b64 s[2:3], s[2:3], 0x0
	s_delay_alu instid0(VALU_DEP_1) | instskip(NEXT) | instid1(VALU_DEP_1)
	v_add_nc_u32_e32 v12, s9, v10
	v_add_nc_u32_e32 v14, s9, v12
	s_delay_alu instid0(VALU_DEP_1) | instskip(NEXT) | instid1(VALU_DEP_1)
	v_dual_add_nc_u32 v16, s9, v14 :: v_dual_ashrrev_i32 v9, 31, v8
	v_dual_ashrrev_i32 v11, 31, v10 :: v_dual_add_nc_u32 v18, s9, v16
	v_ashrrev_i32_e32 v17, 31, v16
	s_wait_kmcnt 0x0
	s_add_nc_u64 s[2:3], s[2:3], s[0:1]
	s_mov_b32 s0, s9
	flat_load_b32 v1, v0, s[2:3] scale_offset
	v_add_nc_u64_e32 v[2:3], s[2:3], v[6:7]
	s_ashr_i32 s1, s9, 31
	v_dual_add_nc_u32 v20, s9, v18 :: v_dual_ashrrev_i32 v13, 31, v12
	v_ashrrev_i32_e32 v15, 31, v14
	v_ashrrev_i32_e32 v19, 31, v18
	s_cmp_lg_u32 s5, 0x84
	s_delay_alu instid0(VALU_DEP_4) | instskip(SKIP_4) | instid1(VALU_DEP_1)
	v_lshl_add_u64 v[4:5], s[0:1], 2, v[2:3]
	v_add_nc_u32_e32 v22, s9, v20
	s_cselect_b32 s6, -1, 0
	s_cmp_eq_u32 s5, 0x84
	s_movk_i32 s1, 0x84
	v_add_nc_u32_e32 v24, s9, v22
	s_delay_alu instid0(VALU_DEP_1) | instskip(NEXT) | instid1(VALU_DEP_1)
	v_add_nc_u32_e32 v26, s9, v24
	v_dual_add_nc_u32 v28, s9, v26 :: v_dual_ashrrev_i32 v21, 31, v20
	s_delay_alu instid0(VALU_DEP_1) | instskip(NEXT) | instid1(VALU_DEP_1)
	v_dual_ashrrev_i32 v23, 31, v22 :: v_dual_add_nc_u32 v30, s9, v28
	v_dual_ashrrev_i32 v29, 31, v28 :: v_dual_ashrrev_i32 v31, 31, v30
	v_dual_add_nc_u32 v32, s9, v30 :: v_dual_ashrrev_i32 v25, 31, v24
	s_delay_alu instid0(VALU_DEP_1) | instskip(NEXT) | instid1(VALU_DEP_1)
	v_dual_ashrrev_i32 v27, 31, v26 :: v_dual_add_nc_u32 v34, s9, v32
	v_add_nc_u32_e32 v36, s9, v34
	s_delay_alu instid0(VALU_DEP_1) | instskip(NEXT) | instid1(VALU_DEP_1)
	v_add_nc_u32_e32 v38, s9, v36
	v_dual_add_nc_u32 v40, s9, v38 :: v_dual_ashrrev_i32 v33, 31, v32
	s_delay_alu instid0(VALU_DEP_1) | instskip(NEXT) | instid1(VALU_DEP_1)
	v_dual_ashrrev_i32 v35, 31, v34 :: v_dual_add_nc_u32 v42, s9, v40
	v_dual_ashrrev_i32 v41, 31, v40 :: v_dual_ashrrev_i32 v43, 31, v42
	v_dual_add_nc_u32 v44, s9, v42 :: v_dual_ashrrev_i32 v37, 31, v36
	s_delay_alu instid0(VALU_DEP_1) | instskip(NEXT) | instid1(VALU_DEP_1)
	v_dual_ashrrev_i32 v39, 31, v38 :: v_dual_add_nc_u32 v46, s9, v44
	;; [unrolled: 10-line block ×7, first 2 shown]
	v_add_nc_u32_e32 v108, s9, v106
	s_delay_alu instid0(VALU_DEP_1) | instskip(NEXT) | instid1(VALU_DEP_1)
	v_add_nc_u32_e32 v110, s9, v108
	v_dual_add_nc_u32 v112, s9, v110 :: v_dual_ashrrev_i32 v105, 31, v104
	s_delay_alu instid0(VALU_DEP_1) | instskip(NEXT) | instid1(VALU_DEP_1)
	v_dual_ashrrev_i32 v107, 31, v106 :: v_dual_add_nc_u32 v114, s9, v112
	v_dual_ashrrev_i32 v113, 31, v112 :: v_dual_ashrrev_i32 v115, 31, v114
	v_dual_add_nc_u32 v116, s9, v114 :: v_dual_ashrrev_i32 v109, 31, v108
	s_delay_alu instid0(VALU_DEP_1)
	v_dual_ashrrev_i32 v111, 31, v110 :: v_dual_ashrrev_i32 v117, 31, v116
	s_wait_loadcnt_dscnt 0x0
	scratch_store_b32 off, v1, off
	flat_load_b32 v1, v[4:5]
	s_wait_loadcnt_dscnt 0x0
	scratch_store_b32 off, v1, off offset:4
	flat_load_b32 v1, v8, s[2:3] scale_offset
	s_wait_loadcnt_dscnt 0x0
	scratch_store_b32 off, v1, off offset:8
	flat_load_b32 v1, v10, s[2:3] scale_offset
	;; [unrolled: 3-line block ×55, first 2 shown]
	s_wait_loadcnt_dscnt 0x0
	scratch_store_b32 off, v1, off offset:224
	s_cbranch_scc1 .LBB120_3
; %bb.2:
	scratch_load_b32 v1, v0, off scale_offset
	s_wait_loadcnt 0x0
	v_div_scale_f32 v7, null, v1, v1, 1.0
	s_delay_alu instid0(VALU_DEP_1) | instskip(SKIP_1) | instid1(TRANS32_DEP_1)
	v_rcp_f32_e32 v118, v7
	v_nop
	v_fma_f32 v119, -v7, v118, 1.0
	s_delay_alu instid0(VALU_DEP_1) | instskip(SKIP_1) | instid1(VALU_DEP_1)
	v_fmac_f32_e32 v118, v119, v118
	v_div_scale_f32 v119, vcc_lo, 1.0, v1, 1.0
	v_mul_f32_e32 v120, v119, v118
	s_delay_alu instid0(VALU_DEP_1) | instskip(NEXT) | instid1(VALU_DEP_1)
	v_fma_f32 v121, -v7, v120, v119
	v_fmac_f32_e32 v120, v121, v118
	s_delay_alu instid0(VALU_DEP_1) | instskip(NEXT) | instid1(VALU_DEP_1)
	v_fma_f32 v7, -v7, v120, v119
	v_div_fmas_f32 v7, v7, v118, v120
	s_delay_alu instid0(VALU_DEP_1) | instskip(NEXT) | instid1(VALU_DEP_1)
	v_div_fixup_f32 v1, v7, v1, 1.0
	v_xor_b32_e32 v118, 0x80000000, v1
	scratch_store_b32 v0, v1, off scale_offset
.LBB120_3:
	s_wait_xcnt 0x0
	v_add_nc_u32_e32 v1, 0xf0, v6
	v_mov_b32_e32 v7, v6
	s_cmp_eq_u32 s4, 0x79
	s_mov_b32 s5, -1
	ds_store_b32 v6, v118
	s_cbranch_scc1 .LBB120_557
; %bb.4:
	scratch_load_b32 v118, off, off offset:220
	v_cmp_eq_u32_e64 s0, 56, v0
	s_movk_i32 s21, 0x44
	s_movk_i32 s22, 0x48
	;; [unrolled: 1-line block ×37, first 2 shown]
	s_wait_loadcnt 0x0
	ds_store_b32 v1, v118
	s_wait_storecnt_dscnt 0x0
	s_barrier_signal -1
	s_barrier_wait -1
	s_wait_xcnt 0x0
	s_and_saveexec_b32 s4, s0
	s_cbranch_execz .LBB120_10
; %bb.5:
	s_and_b32 vcc_lo, exec_lo, s6
	s_cbranch_vccz .LBB120_7
; %bb.6:
	scratch_load_b32 v118, v7, off
	ds_load_b32 v119, v1
	s_wait_loadcnt_dscnt 0x0
	v_mul_f32_e32 v118, v118, v119
	s_cbranch_execz .LBB120_8
	s_branch .LBB120_9
.LBB120_7:
                                        ; implicit-def: $vgpr118
	s_and_not1_b32 vcc_lo, exec_lo, s5
	s_cbranch_vccnz .LBB120_9
.LBB120_8:
	ds_load_b32 v118, v1
.LBB120_9:
	v_mov_b32_e32 v119, 0
	ds_load_b32 v119, v119 offset:220
	s_wait_dscnt 0x0
	v_mul_f32_e32 v118, v118, v119
	scratch_store_b32 off, v118, off offset:220
.LBB120_10:
	s_wait_xcnt 0x0
	s_or_b32 exec_lo, exec_lo, s4
	scratch_load_b32 v118, off, off offset:216
	s_mov_b32 s38, s1
	v_cmp_lt_u32_e64 s1, 54, v0
	s_or_b32 s4, 0, 4
	s_or_b32 s5, 0, 8
	;; [unrolled: 1-line block ×3, first 2 shown]
	s_mov_b32 s8, 16
	s_mov_b32 s9, 20
	;; [unrolled: 1-line block ×13, first 2 shown]
	s_wait_loadcnt 0x0
	ds_store_b32 v1, v118
	s_wait_storecnt_dscnt 0x0
	s_barrier_signal -1
	s_barrier_wait -1
	s_wait_xcnt 0x0
	s_and_saveexec_b32 s60, s1
	s_cbranch_execz .LBB120_16
; %bb.11:
	s_and_not1_b32 vcc_lo, exec_lo, s6
	s_cbranch_vccnz .LBB120_13
; %bb.12:
	scratch_load_b32 v118, v7, off
	ds_load_b32 v119, v1
	s_wait_loadcnt_dscnt 0x0
	v_mul_f32_e32 v118, v118, v119
	s_cbranch_execz .LBB120_14
	s_branch .LBB120_15
.LBB120_13:
                                        ; implicit-def: $vgpr118
.LBB120_14:
	ds_load_b32 v118, v1
.LBB120_15:
	scratch_load_b32 v119, off, off offset:220
	v_mov_b32_e32 v120, 0
	ds_load_2addr_b32 v[120:121], v120 offset0:54 offset1:115
	s_wait_loadcnt_dscnt 0x0
	v_fma_f32 v119, v119, v121, v118
	s_delay_alu instid0(VALU_DEP_1) | instskip(NEXT) | instid1(VALU_DEP_1)
	v_cndmask_b32_e64 v118, v118, v119, s0
	v_mul_f32_e32 v118, v118, v120
	scratch_store_b32 off, v118, off offset:216
.LBB120_16:
	s_wait_xcnt 0x0
	s_or_b32 exec_lo, exec_lo, s60
	scratch_load_b32 v118, off, off offset:212
	v_cmp_lt_u32_e64 s0, 53, v0
	s_wait_loadcnt 0x0
	ds_store_b32 v1, v118
	s_wait_storecnt_dscnt 0x0
	s_barrier_signal -1
	s_barrier_wait -1
	s_wait_xcnt 0x0
	s_and_saveexec_b32 s60, s0
	s_cbranch_execz .LBB120_26
; %bb.17:
	s_and_not1_b32 vcc_lo, exec_lo, s6
	s_cbranch_vccnz .LBB120_19
; %bb.18:
	scratch_load_b32 v118, v7, off
	ds_load_b32 v119, v1
	s_wait_loadcnt_dscnt 0x0
	v_mul_f32_e32 v118, v118, v119
	s_cbranch_execz .LBB120_20
	s_branch .LBB120_21
.LBB120_19:
                                        ; implicit-def: $vgpr118
.LBB120_20:
	ds_load_b32 v118, v1
.LBB120_21:
	s_and_saveexec_b32 s61, s1
	s_cbranch_execz .LBB120_25
; %bb.22:
	v_subrev_nc_u32_e32 v119, 54, v0
	s_movk_i32 s62, 0x1c8
	s_mov_b32 s1, 0
.LBB120_23:                             ; =>This Inner Loop Header: Depth=1
	scratch_load_b32 v120, off, s59
	v_dual_mov_b32 v121, s62 :: v_dual_add_nc_u32 v119, -1, v119
	s_add_co_i32 s62, s62, 4
	s_wait_xcnt 0x0
	s_add_co_i32 s59, s59, 4
	ds_load_b32 v121, v121
	v_cmp_eq_u32_e32 vcc_lo, 0, v119
	s_or_b32 s1, vcc_lo, s1
	s_wait_loadcnt_dscnt 0x0
	v_fmac_f32_e32 v118, v120, v121
	s_and_not1_b32 exec_lo, exec_lo, s1
	s_cbranch_execnz .LBB120_23
; %bb.24:
	s_or_b32 exec_lo, exec_lo, s1
.LBB120_25:
	s_delay_alu instid0(SALU_CYCLE_1)
	s_or_b32 exec_lo, exec_lo, s61
	v_mov_b32_e32 v119, 0
	ds_load_b32 v119, v119 offset:212
	s_wait_dscnt 0x0
	v_mul_f32_e32 v118, v118, v119
	scratch_store_b32 off, v118, off offset:212
.LBB120_26:
	s_wait_xcnt 0x0
	s_or_b32 exec_lo, exec_lo, s60
	scratch_load_b32 v118, off, off offset:208
	v_cmp_lt_u32_e64 s1, 52, v0
	s_wait_loadcnt 0x0
	ds_store_b32 v1, v118
	s_wait_storecnt_dscnt 0x0
	s_barrier_signal -1
	s_barrier_wait -1
	s_wait_xcnt 0x0
	s_and_saveexec_b32 s59, s1
	s_cbranch_execz .LBB120_36
; %bb.27:
	s_and_not1_b32 vcc_lo, exec_lo, s6
	s_cbranch_vccnz .LBB120_29
; %bb.28:
	scratch_load_b32 v118, v7, off
	ds_load_b32 v119, v1
	s_wait_loadcnt_dscnt 0x0
	v_mul_f32_e32 v118, v118, v119
	s_cbranch_execz .LBB120_30
	s_branch .LBB120_31
.LBB120_29:
                                        ; implicit-def: $vgpr118
.LBB120_30:
	ds_load_b32 v118, v1
.LBB120_31:
	s_and_saveexec_b32 s60, s0
	s_cbranch_execz .LBB120_35
; %bb.32:
	v_subrev_nc_u32_e32 v119, 53, v0
	s_movk_i32 s61, 0x1c4
	s_mov_b32 s0, 0
.LBB120_33:                             ; =>This Inner Loop Header: Depth=1
	scratch_load_b32 v120, off, s58
	v_dual_mov_b32 v121, s61 :: v_dual_add_nc_u32 v119, -1, v119
	s_add_co_i32 s61, s61, 4
	s_wait_xcnt 0x0
	s_add_co_i32 s58, s58, 4
	ds_load_b32 v121, v121
	v_cmp_eq_u32_e32 vcc_lo, 0, v119
	s_or_b32 s0, vcc_lo, s0
	s_wait_loadcnt_dscnt 0x0
	v_fmac_f32_e32 v118, v120, v121
	s_and_not1_b32 exec_lo, exec_lo, s0
	s_cbranch_execnz .LBB120_33
; %bb.34:
	s_or_b32 exec_lo, exec_lo, s0
.LBB120_35:
	s_delay_alu instid0(SALU_CYCLE_1)
	s_or_b32 exec_lo, exec_lo, s60
	v_mov_b32_e32 v119, 0
	ds_load_b32 v119, v119 offset:208
	s_wait_dscnt 0x0
	v_mul_f32_e32 v118, v118, v119
	scratch_store_b32 off, v118, off offset:208
.LBB120_36:
	;; [unrolled: 57-line block ×8, first 2 shown]
	s_wait_xcnt 0x0
	s_or_b32 exec_lo, exec_lo, s53
	scratch_load_b32 v118, off, off offset:180
	v_cmp_lt_u32_e64 s0, 45, v0
	s_wait_loadcnt 0x0
	ds_store_b32 v1, v118
	s_wait_storecnt_dscnt 0x0
	s_barrier_signal -1
	s_barrier_wait -1
	s_wait_xcnt 0x0
	s_and_saveexec_b32 s52, s0
	s_cbranch_execz .LBB120_106
; %bb.97:
	s_and_not1_b32 vcc_lo, exec_lo, s6
	s_cbranch_vccnz .LBB120_99
; %bb.98:
	scratch_load_b32 v118, v7, off
	ds_load_b32 v119, v1
	s_wait_loadcnt_dscnt 0x0
	v_mul_f32_e32 v118, v118, v119
	s_cbranch_execz .LBB120_100
	s_branch .LBB120_101
.LBB120_99:
                                        ; implicit-def: $vgpr118
.LBB120_100:
	ds_load_b32 v118, v1
.LBB120_101:
	s_and_saveexec_b32 s53, s1
	s_cbranch_execz .LBB120_105
; %bb.102:
	v_subrev_nc_u32_e32 v119, 46, v0
	s_movk_i32 s54, 0x1a8
	s_mov_b32 s1, 0
.LBB120_103:                            ; =>This Inner Loop Header: Depth=1
	scratch_load_b32 v120, off, s51
	v_dual_mov_b32 v121, s54 :: v_dual_add_nc_u32 v119, -1, v119
	s_add_co_i32 s54, s54, 4
	s_wait_xcnt 0x0
	s_add_co_i32 s51, s51, 4
	ds_load_b32 v121, v121
	v_cmp_eq_u32_e32 vcc_lo, 0, v119
	s_or_b32 s1, vcc_lo, s1
	s_wait_loadcnt_dscnt 0x0
	v_fmac_f32_e32 v118, v120, v121
	s_and_not1_b32 exec_lo, exec_lo, s1
	s_cbranch_execnz .LBB120_103
; %bb.104:
	s_or_b32 exec_lo, exec_lo, s1
.LBB120_105:
	s_delay_alu instid0(SALU_CYCLE_1)
	s_or_b32 exec_lo, exec_lo, s53
	v_mov_b32_e32 v119, 0
	ds_load_b32 v119, v119 offset:180
	s_wait_dscnt 0x0
	v_mul_f32_e32 v118, v118, v119
	scratch_store_b32 off, v118, off offset:180
.LBB120_106:
	s_wait_xcnt 0x0
	s_or_b32 exec_lo, exec_lo, s52
	scratch_load_b32 v118, off, off offset:176
	v_cmp_lt_u32_e64 s1, 44, v0
	s_wait_loadcnt 0x0
	ds_store_b32 v1, v118
	s_wait_storecnt_dscnt 0x0
	s_barrier_signal -1
	s_barrier_wait -1
	s_wait_xcnt 0x0
	s_and_saveexec_b32 s51, s1
	s_cbranch_execz .LBB120_116
; %bb.107:
	s_and_not1_b32 vcc_lo, exec_lo, s6
	s_cbranch_vccnz .LBB120_109
; %bb.108:
	scratch_load_b32 v118, v7, off
	ds_load_b32 v119, v1
	s_wait_loadcnt_dscnt 0x0
	v_mul_f32_e32 v118, v118, v119
	s_cbranch_execz .LBB120_110
	s_branch .LBB120_111
.LBB120_109:
                                        ; implicit-def: $vgpr118
.LBB120_110:
	ds_load_b32 v118, v1
.LBB120_111:
	s_and_saveexec_b32 s52, s0
	s_cbranch_execz .LBB120_115
; %bb.112:
	v_subrev_nc_u32_e32 v119, 45, v0
	s_movk_i32 s53, 0x1a4
	s_mov_b32 s0, 0
.LBB120_113:                            ; =>This Inner Loop Header: Depth=1
	scratch_load_b32 v120, off, s50
	v_dual_mov_b32 v121, s53 :: v_dual_add_nc_u32 v119, -1, v119
	s_add_co_i32 s53, s53, 4
	s_wait_xcnt 0x0
	s_add_co_i32 s50, s50, 4
	ds_load_b32 v121, v121
	v_cmp_eq_u32_e32 vcc_lo, 0, v119
	s_or_b32 s0, vcc_lo, s0
	s_wait_loadcnt_dscnt 0x0
	v_fmac_f32_e32 v118, v120, v121
	s_and_not1_b32 exec_lo, exec_lo, s0
	s_cbranch_execnz .LBB120_113
; %bb.114:
	s_or_b32 exec_lo, exec_lo, s0
.LBB120_115:
	s_delay_alu instid0(SALU_CYCLE_1)
	s_or_b32 exec_lo, exec_lo, s52
	v_mov_b32_e32 v119, 0
	ds_load_b32 v119, v119 offset:176
	s_wait_dscnt 0x0
	v_mul_f32_e32 v118, v118, v119
	scratch_store_b32 off, v118, off offset:176
.LBB120_116:
	;; [unrolled: 57-line block ×30, first 2 shown]
	s_wait_xcnt 0x0
	s_or_b32 exec_lo, exec_lo, s22
	scratch_load_b32 v118, off, off offset:60
	v_cmp_lt_u32_e64 s0, 15, v0
	s_wait_loadcnt 0x0
	ds_store_b32 v1, v118
	s_wait_storecnt_dscnt 0x0
	s_barrier_signal -1
	s_barrier_wait -1
	s_wait_xcnt 0x0
	s_and_saveexec_b32 s21, s0
	s_cbranch_execz .LBB120_406
; %bb.397:
	s_and_not1_b32 vcc_lo, exec_lo, s6
	s_cbranch_vccnz .LBB120_399
; %bb.398:
	scratch_load_b32 v118, v7, off
	ds_load_b32 v119, v1
	s_wait_loadcnt_dscnt 0x0
	v_mul_f32_e32 v118, v118, v119
	s_cbranch_execz .LBB120_400
	s_branch .LBB120_401
.LBB120_399:
                                        ; implicit-def: $vgpr118
.LBB120_400:
	ds_load_b32 v118, v1
.LBB120_401:
	s_and_saveexec_b32 s22, s1
	s_cbranch_execz .LBB120_405
; %bb.402:
	v_add_nc_u32_e32 v119, -16, v0
	s_movk_i32 s23, 0x130
	s_mov_b32 s1, 0
.LBB120_403:                            ; =>This Inner Loop Header: Depth=1
	scratch_load_b32 v120, off, s20
	v_dual_mov_b32 v121, s23 :: v_dual_add_nc_u32 v119, -1, v119
	s_add_co_i32 s23, s23, 4
	s_wait_xcnt 0x0
	s_add_co_i32 s20, s20, 4
	ds_load_b32 v121, v121
	v_cmp_eq_u32_e32 vcc_lo, 0, v119
	s_or_b32 s1, vcc_lo, s1
	s_wait_loadcnt_dscnt 0x0
	v_fmac_f32_e32 v118, v120, v121
	s_and_not1_b32 exec_lo, exec_lo, s1
	s_cbranch_execnz .LBB120_403
; %bb.404:
	s_or_b32 exec_lo, exec_lo, s1
.LBB120_405:
	s_delay_alu instid0(SALU_CYCLE_1)
	s_or_b32 exec_lo, exec_lo, s22
	v_mov_b32_e32 v119, 0
	ds_load_b32 v119, v119 offset:60
	s_wait_dscnt 0x0
	v_mul_f32_e32 v118, v118, v119
	scratch_store_b32 off, v118, off offset:60
.LBB120_406:
	s_wait_xcnt 0x0
	s_or_b32 exec_lo, exec_lo, s21
	scratch_load_b32 v118, off, off offset:56
	v_cmp_lt_u32_e64 s1, 14, v0
	s_wait_loadcnt 0x0
	ds_store_b32 v1, v118
	s_wait_storecnt_dscnt 0x0
	s_barrier_signal -1
	s_barrier_wait -1
	s_wait_xcnt 0x0
	s_and_saveexec_b32 s20, s1
	s_cbranch_execz .LBB120_416
; %bb.407:
	s_and_not1_b32 vcc_lo, exec_lo, s6
	s_cbranch_vccnz .LBB120_409
; %bb.408:
	scratch_load_b32 v118, v7, off
	ds_load_b32 v119, v1
	s_wait_loadcnt_dscnt 0x0
	v_mul_f32_e32 v118, v118, v119
	s_cbranch_execz .LBB120_410
	s_branch .LBB120_411
.LBB120_409:
                                        ; implicit-def: $vgpr118
.LBB120_410:
	ds_load_b32 v118, v1
.LBB120_411:
	s_and_saveexec_b32 s21, s0
	s_cbranch_execz .LBB120_415
; %bb.412:
	v_add_nc_u32_e32 v119, -15, v0
	s_movk_i32 s22, 0x12c
	s_mov_b32 s0, 0
.LBB120_413:                            ; =>This Inner Loop Header: Depth=1
	scratch_load_b32 v120, off, s19
	v_dual_mov_b32 v121, s22 :: v_dual_add_nc_u32 v119, -1, v119
	s_add_co_i32 s22, s22, 4
	s_wait_xcnt 0x0
	s_add_co_i32 s19, s19, 4
	ds_load_b32 v121, v121
	v_cmp_eq_u32_e32 vcc_lo, 0, v119
	s_or_b32 s0, vcc_lo, s0
	s_wait_loadcnt_dscnt 0x0
	v_fmac_f32_e32 v118, v120, v121
	s_and_not1_b32 exec_lo, exec_lo, s0
	s_cbranch_execnz .LBB120_413
; %bb.414:
	s_or_b32 exec_lo, exec_lo, s0
.LBB120_415:
	s_delay_alu instid0(SALU_CYCLE_1)
	s_or_b32 exec_lo, exec_lo, s21
	v_mov_b32_e32 v119, 0
	ds_load_b32 v119, v119 offset:56
	s_wait_dscnt 0x0
	v_mul_f32_e32 v118, v118, v119
	scratch_store_b32 off, v118, off offset:56
.LBB120_416:
	;; [unrolled: 57-line block ×15, first 2 shown]
	s_wait_xcnt 0x0
	s_or_b32 exec_lo, exec_lo, s7
	scratch_load_b32 v118, off, off
	s_mov_b32 s5, 0
	s_mov_b32 s1, exec_lo
	s_wait_loadcnt 0x0
	ds_store_b32 v1, v118
	s_wait_storecnt_dscnt 0x0
	s_barrier_signal -1
	s_barrier_wait -1
	s_wait_xcnt 0x0
	v_cmpx_ne_u32_e32 0, v0
	s_cbranch_execz .LBB120_556
; %bb.547:
	s_and_not1_b32 vcc_lo, exec_lo, s6
	s_cbranch_vccnz .LBB120_549
; %bb.548:
	scratch_load_b32 v118, v7, off
	ds_load_b32 v119, v1
	s_wait_loadcnt_dscnt 0x0
	v_mul_f32_e32 v118, v118, v119
	s_cbranch_execz .LBB120_550
	s_branch .LBB120_551
.LBB120_549:
                                        ; implicit-def: $vgpr118
.LBB120_550:
	ds_load_b32 v118, v1
.LBB120_551:
	s_and_saveexec_b32 s7, s0
	s_cbranch_execz .LBB120_555
; %bb.552:
	v_add_nc_u32_e32 v119, -1, v0
	s_movk_i32 s8, 0xf4
	s_mov_b32 s0, 0
.LBB120_553:                            ; =>This Inner Loop Header: Depth=1
	scratch_load_b32 v120, off, s4
	v_dual_mov_b32 v121, s8 :: v_dual_add_nc_u32 v119, -1, v119
	s_add_co_i32 s8, s8, 4
	s_wait_xcnt 0x0
	s_add_co_i32 s4, s4, 4
	ds_load_b32 v121, v121
	v_cmp_eq_u32_e32 vcc_lo, 0, v119
	s_or_b32 s0, vcc_lo, s0
	s_wait_loadcnt_dscnt 0x0
	v_fmac_f32_e32 v118, v120, v121
	s_and_not1_b32 exec_lo, exec_lo, s0
	s_cbranch_execnz .LBB120_553
; %bb.554:
	s_or_b32 exec_lo, exec_lo, s0
.LBB120_555:
	s_delay_alu instid0(SALU_CYCLE_1)
	s_or_b32 exec_lo, exec_lo, s7
	v_mov_b32_e32 v119, 0
	ds_load_b32 v119, v119
	s_wait_dscnt 0x0
	v_mul_f32_e32 v118, v118, v119
	scratch_store_b32 off, v118, off
.LBB120_556:
	s_wait_xcnt 0x0
	s_or_b32 exec_lo, exec_lo, s1
.LBB120_557:
	v_lshl_add_u64 v[170:171], v[8:9], 2, s[2:3]
	v_lshl_add_u64 v[168:169], v[10:11], 2, s[2:3]
	;; [unrolled: 1-line block ×55, first 2 shown]
	s_and_b32 vcc_lo, exec_lo, s5
	s_cbranch_vccz .LBB120_1109
; %bb.558:
	scratch_load_b32 v64, off, off offset:4
	v_cmp_eq_u32_e64 s0, 0, v0
	s_wait_loadcnt 0x0
	ds_store_b32 v1, v64
	s_wait_storecnt_dscnt 0x0
	s_barrier_signal -1
	s_barrier_wait -1
	s_wait_xcnt 0x0
	s_and_saveexec_b32 s1, s0
	s_cbranch_execz .LBB120_564
; %bb.559:
	s_and_b32 vcc_lo, exec_lo, s6
	s_cbranch_vccz .LBB120_561
; %bb.560:
	scratch_load_b32 v64, v7, off
	ds_load_b32 v65, v1
	s_wait_loadcnt_dscnt 0x0
	v_mul_f32_e32 v64, v64, v65
	s_cbranch_execz .LBB120_562
	s_branch .LBB120_563
.LBB120_561:
                                        ; implicit-def: $vgpr64
.LBB120_562:
	ds_load_b32 v64, v1
.LBB120_563:
	v_mov_b32_e32 v65, 0
	ds_load_b32 v65, v65 offset:4
	s_wait_dscnt 0x0
	v_mul_f32_e32 v64, v64, v65
	scratch_store_b32 off, v64, off offset:4
.LBB120_564:
	s_wait_xcnt 0x0
	s_or_b32 exec_lo, exec_lo, s1
	scratch_load_b32 v65, off, off offset:8
	v_cndmask_b32_e64 v64, 0, 1, s6
	s_mov_b32 s1, exec_lo
	s_wait_loadcnt 0x0
	ds_store_b32 v1, v65
	s_wait_storecnt_dscnt 0x0
	s_barrier_signal -1
	s_barrier_wait -1
	s_wait_xcnt 0x0
	v_cmpx_gt_u32_e32 2, v0
	s_cbranch_execz .LBB120_570
; %bb.565:
	s_and_not1_b32 vcc_lo, exec_lo, s6
	s_cbranch_vccnz .LBB120_567
; %bb.566:
	scratch_load_b32 v65, v7, off
	ds_load_b32 v66, v1
	s_wait_loadcnt_dscnt 0x0
	v_mul_f32_e32 v65, v65, v66
	s_cbranch_execz .LBB120_568
	s_branch .LBB120_569
.LBB120_567:
                                        ; implicit-def: $vgpr65
.LBB120_568:
	ds_load_b32 v65, v1
.LBB120_569:
	scratch_load_b32 v68, off, off offset:4
	v_mov_b32_e32 v66, 0
	ds_load_2addr_b32 v[66:67], v66 offset0:2 offset1:61
	s_wait_loadcnt_dscnt 0x0
	v_fma_f32 v67, v68, v67, v65
	s_delay_alu instid0(VALU_DEP_1) | instskip(NEXT) | instid1(VALU_DEP_1)
	v_cndmask_b32_e64 v65, v65, v67, s0
	v_mul_f32_e32 v65, v65, v66
	scratch_store_b32 off, v65, off offset:8
.LBB120_570:
	s_wait_xcnt 0x0
	s_or_b32 exec_lo, exec_lo, s1
	scratch_load_b32 v65, off, off offset:12
	s_mov_b32 s1, exec_lo
	s_wait_loadcnt 0x0
	ds_store_b32 v1, v65
	s_wait_storecnt_dscnt 0x0
	s_barrier_signal -1
	s_barrier_wait -1
	s_wait_xcnt 0x0
	v_cmpx_gt_u32_e32 3, v0
	s_cbranch_execz .LBB120_578
; %bb.571:
	v_cmp_ne_u32_e32 vcc_lo, 1, v64
	s_cbranch_vccnz .LBB120_573
; %bb.572:
	scratch_load_b32 v65, v7, off
	ds_load_b32 v66, v1
	s_wait_loadcnt_dscnt 0x0
	v_mul_f32_e32 v65, v65, v66
	s_cbranch_execz .LBB120_574
	s_branch .LBB120_575
.LBB120_573:
                                        ; implicit-def: $vgpr65
.LBB120_574:
	ds_load_b32 v65, v1
.LBB120_575:
	s_mov_b32 s2, exec_lo
	v_cmpx_ne_u32_e32 2, v0
	s_cbranch_execz .LBB120_577
; %bb.576:
	scratch_load_b32 v66, v7, off offset:4
	scratch_load_b32 v67, off, off offset:8
	ds_load_b32 v68, v1 offset:4
	v_mov_b32_e32 v69, 0
	ds_load_b32 v69, v69 offset:248
	s_wait_loadcnt_dscnt 0x101
	v_fmac_f32_e32 v65, v66, v68
	s_wait_loadcnt_dscnt 0x0
	s_delay_alu instid0(VALU_DEP_1) | instskip(NEXT) | instid1(VALU_DEP_1)
	v_fma_f32 v66, v67, v69, v65
	v_cndmask_b32_e64 v65, v65, v66, s0
.LBB120_577:
	s_or_b32 exec_lo, exec_lo, s2
	v_mov_b32_e32 v66, 0
	ds_load_b32 v66, v66 offset:12
	s_wait_dscnt 0x0
	v_mul_f32_e32 v65, v65, v66
	scratch_store_b32 off, v65, off offset:12
.LBB120_578:
	s_wait_xcnt 0x0
	s_or_b32 exec_lo, exec_lo, s1
	scratch_load_b32 v65, off, off offset:16
	s_mov_b32 s0, exec_lo
	s_wait_loadcnt 0x0
	ds_store_b32 v1, v65
	s_wait_storecnt_dscnt 0x0
	s_barrier_signal -1
	s_barrier_wait -1
	s_wait_xcnt 0x0
	v_cmpx_gt_u32_e32 4, v0
	s_cbranch_execz .LBB120_588
; %bb.579:
	v_cmp_ne_u32_e32 vcc_lo, 1, v64
	s_cbranch_vccnz .LBB120_581
; %bb.580:
	scratch_load_b32 v65, v7, off
	ds_load_b32 v66, v1
	s_wait_loadcnt_dscnt 0x0
	v_mul_f32_e32 v65, v65, v66
	s_cbranch_execz .LBB120_582
	s_branch .LBB120_583
.LBB120_581:
                                        ; implicit-def: $vgpr65
.LBB120_582:
	ds_load_b32 v65, v1
.LBB120_583:
	s_mov_b32 s1, exec_lo
	v_cmpx_ne_u32_e32 3, v0
	s_cbranch_execz .LBB120_587
; %bb.584:
	v_add_nc_u32_e32 v66, 0xf4, v6
	v_add3_u32 v67, 0, v6, 4
	v_mov_b32_e32 v68, v0
	s_mov_b32 s2, 0
.LBB120_585:                            ; =>This Inner Loop Header: Depth=1
	scratch_load_b32 v69, v67, off
	ds_load_b32 v70, v66
	v_dual_add_nc_u32 v68, 1, v68 :: v_dual_add_nc_u32 v66, 4, v66
	s_wait_xcnt 0x0
	v_add_nc_u32_e32 v67, 4, v67
	s_delay_alu instid0(VALU_DEP_2)
	v_cmp_lt_u32_e32 vcc_lo, 2, v68
	s_or_b32 s2, vcc_lo, s2
	s_wait_loadcnt_dscnt 0x0
	v_fmac_f32_e32 v65, v69, v70
	s_and_not1_b32 exec_lo, exec_lo, s2
	s_cbranch_execnz .LBB120_585
; %bb.586:
	s_or_b32 exec_lo, exec_lo, s2
.LBB120_587:
	s_delay_alu instid0(SALU_CYCLE_1)
	s_or_b32 exec_lo, exec_lo, s1
	v_mov_b32_e32 v66, 0
	ds_load_b32 v66, v66 offset:16
	s_wait_dscnt 0x0
	v_mul_f32_e32 v65, v65, v66
	scratch_store_b32 off, v65, off offset:16
.LBB120_588:
	s_wait_xcnt 0x0
	s_or_b32 exec_lo, exec_lo, s0
	scratch_load_b32 v65, off, off offset:20
	s_mov_b32 s0, exec_lo
	s_wait_loadcnt 0x0
	ds_store_b32 v1, v65
	s_wait_storecnt_dscnt 0x0
	s_barrier_signal -1
	s_barrier_wait -1
	s_wait_xcnt 0x0
	v_cmpx_gt_u32_e32 5, v0
	s_cbranch_execz .LBB120_598
; %bb.589:
	v_cmp_ne_u32_e32 vcc_lo, 1, v64
	s_cbranch_vccnz .LBB120_591
; %bb.590:
	scratch_load_b32 v65, v7, off
	ds_load_b32 v66, v1
	s_wait_loadcnt_dscnt 0x0
	v_mul_f32_e32 v65, v65, v66
	s_cbranch_execz .LBB120_592
	s_branch .LBB120_593
.LBB120_591:
                                        ; implicit-def: $vgpr65
.LBB120_592:
	ds_load_b32 v65, v1
.LBB120_593:
	s_mov_b32 s1, exec_lo
	v_cmpx_ne_u32_e32 4, v0
	s_cbranch_execz .LBB120_597
; %bb.594:
	v_add_nc_u32_e32 v66, 0xf4, v6
	v_add3_u32 v67, 0, v6, 4
	v_mov_b32_e32 v68, v0
	s_mov_b32 s2, 0
.LBB120_595:                            ; =>This Inner Loop Header: Depth=1
	scratch_load_b32 v69, v67, off
	ds_load_b32 v70, v66
	v_dual_add_nc_u32 v68, 1, v68 :: v_dual_add_nc_u32 v66, 4, v66
	s_wait_xcnt 0x0
	v_add_nc_u32_e32 v67, 4, v67
	s_delay_alu instid0(VALU_DEP_2)
	v_cmp_lt_u32_e32 vcc_lo, 3, v68
	s_or_b32 s2, vcc_lo, s2
	s_wait_loadcnt_dscnt 0x0
	v_fmac_f32_e32 v65, v69, v70
	s_and_not1_b32 exec_lo, exec_lo, s2
	s_cbranch_execnz .LBB120_595
; %bb.596:
	s_or_b32 exec_lo, exec_lo, s2
.LBB120_597:
	s_delay_alu instid0(SALU_CYCLE_1)
	s_or_b32 exec_lo, exec_lo, s1
	v_mov_b32_e32 v66, 0
	ds_load_b32 v66, v66 offset:20
	s_wait_dscnt 0x0
	v_mul_f32_e32 v65, v65, v66
	scratch_store_b32 off, v65, off offset:20
.LBB120_598:
	;; [unrolled: 59-line block ×42, first 2 shown]
	s_wait_xcnt 0x0
	s_or_b32 exec_lo, exec_lo, s0
	scratch_load_b32 v65, off, off offset:184
	s_mov_b32 s0, exec_lo
	s_wait_loadcnt 0x0
	ds_store_b32 v1, v65
	s_wait_storecnt_dscnt 0x0
	s_barrier_signal -1
	s_barrier_wait -1
	s_wait_xcnt 0x0
	v_cmpx_gt_u32_e32 46, v0
	s_cbranch_execz .LBB120_1008
; %bb.999:
	v_cmp_ne_u32_e32 vcc_lo, 1, v64
	s_cbranch_vccnz .LBB120_1001
; %bb.1000:
	scratch_load_b32 v65, v7, off
	ds_load_b32 v66, v1
	s_wait_loadcnt_dscnt 0x0
	v_mul_f32_e32 v65, v65, v66
	s_cbranch_execz .LBB120_1002
	s_branch .LBB120_1003
.LBB120_1001:
                                        ; implicit-def: $vgpr65
.LBB120_1002:
	ds_load_b32 v65, v1
.LBB120_1003:
	s_mov_b32 s1, exec_lo
	v_cmpx_ne_u32_e32 45, v0
	s_cbranch_execz .LBB120_1007
; %bb.1004:
	v_add_nc_u32_e32 v66, 0xf4, v6
	v_add3_u32 v67, 0, v6, 4
	v_mov_b32_e32 v68, v0
	s_mov_b32 s2, 0
.LBB120_1005:                           ; =>This Inner Loop Header: Depth=1
	scratch_load_b32 v69, v67, off
	ds_load_b32 v70, v66
	v_dual_add_nc_u32 v68, 1, v68 :: v_dual_add_nc_u32 v66, 4, v66
	s_wait_xcnt 0x0
	v_add_nc_u32_e32 v67, 4, v67
	s_delay_alu instid0(VALU_DEP_2)
	v_cmp_lt_u32_e32 vcc_lo, 44, v68
	s_or_b32 s2, vcc_lo, s2
	s_wait_loadcnt_dscnt 0x0
	v_fmac_f32_e32 v65, v69, v70
	s_and_not1_b32 exec_lo, exec_lo, s2
	s_cbranch_execnz .LBB120_1005
; %bb.1006:
	s_or_b32 exec_lo, exec_lo, s2
.LBB120_1007:
	s_delay_alu instid0(SALU_CYCLE_1)
	s_or_b32 exec_lo, exec_lo, s1
	v_mov_b32_e32 v66, 0
	ds_load_b32 v66, v66 offset:184
	s_wait_dscnt 0x0
	v_mul_f32_e32 v65, v65, v66
	scratch_store_b32 off, v65, off offset:184
.LBB120_1008:
	s_wait_xcnt 0x0
	s_or_b32 exec_lo, exec_lo, s0
	scratch_load_b32 v65, off, off offset:188
	s_mov_b32 s0, exec_lo
	s_wait_loadcnt 0x0
	ds_store_b32 v1, v65
	s_wait_storecnt_dscnt 0x0
	s_barrier_signal -1
	s_barrier_wait -1
	s_wait_xcnt 0x0
	v_cmpx_gt_u32_e32 47, v0
	s_cbranch_execz .LBB120_1018
; %bb.1009:
	v_cmp_ne_u32_e32 vcc_lo, 1, v64
	s_cbranch_vccnz .LBB120_1011
; %bb.1010:
	scratch_load_b32 v65, v7, off
	ds_load_b32 v66, v1
	s_wait_loadcnt_dscnt 0x0
	v_mul_f32_e32 v65, v65, v66
	s_cbranch_execz .LBB120_1012
	s_branch .LBB120_1013
.LBB120_1011:
                                        ; implicit-def: $vgpr65
.LBB120_1012:
	ds_load_b32 v65, v1
.LBB120_1013:
	s_mov_b32 s1, exec_lo
	v_cmpx_ne_u32_e32 46, v0
	s_cbranch_execz .LBB120_1017
; %bb.1014:
	v_add_nc_u32_e32 v66, 0xf4, v6
	v_add3_u32 v67, 0, v6, 4
	v_mov_b32_e32 v68, v0
	s_mov_b32 s2, 0
.LBB120_1015:                           ; =>This Inner Loop Header: Depth=1
	scratch_load_b32 v69, v67, off
	ds_load_b32 v70, v66
	v_dual_add_nc_u32 v68, 1, v68 :: v_dual_add_nc_u32 v66, 4, v66
	s_wait_xcnt 0x0
	v_add_nc_u32_e32 v67, 4, v67
	s_delay_alu instid0(VALU_DEP_2)
	v_cmp_lt_u32_e32 vcc_lo, 45, v68
	s_or_b32 s2, vcc_lo, s2
	s_wait_loadcnt_dscnt 0x0
	v_fmac_f32_e32 v65, v69, v70
	s_and_not1_b32 exec_lo, exec_lo, s2
	s_cbranch_execnz .LBB120_1015
; %bb.1016:
	s_or_b32 exec_lo, exec_lo, s2
.LBB120_1017:
	s_delay_alu instid0(SALU_CYCLE_1)
	s_or_b32 exec_lo, exec_lo, s1
	v_mov_b32_e32 v66, 0
	ds_load_b32 v66, v66 offset:188
	s_wait_dscnt 0x0
	v_mul_f32_e32 v65, v65, v66
	scratch_store_b32 off, v65, off offset:188
.LBB120_1018:
	;; [unrolled: 59-line block ×9, first 2 shown]
	s_wait_xcnt 0x0
	s_or_b32 exec_lo, exec_lo, s0
	scratch_load_b32 v65, off, off offset:220
	v_cmp_gt_u32_e64 s0, 55, v0
	s_wait_loadcnt 0x0
	ds_store_b32 v1, v65
	s_wait_storecnt_dscnt 0x0
	s_barrier_signal -1
	s_barrier_wait -1
	s_wait_xcnt 0x0
	s_and_saveexec_b32 s1, s0
	s_cbranch_execz .LBB120_1098
; %bb.1089:
	v_cmp_ne_u32_e32 vcc_lo, 1, v64
	s_cbranch_vccnz .LBB120_1091
; %bb.1090:
	scratch_load_b32 v65, v7, off
	ds_load_b32 v66, v1
	s_wait_loadcnt_dscnt 0x0
	v_mul_f32_e32 v65, v65, v66
	s_cbranch_execz .LBB120_1092
	s_branch .LBB120_1093
.LBB120_1091:
                                        ; implicit-def: $vgpr65
.LBB120_1092:
	ds_load_b32 v65, v1
.LBB120_1093:
	s_mov_b32 s2, exec_lo
	v_cmpx_ne_u32_e32 54, v0
	s_cbranch_execz .LBB120_1097
; %bb.1094:
	v_add_nc_u32_e32 v66, 0xf4, v6
	v_add3_u32 v67, 0, v6, 4
	v_mov_b32_e32 v68, v0
	s_mov_b32 s3, 0
.LBB120_1095:                           ; =>This Inner Loop Header: Depth=1
	scratch_load_b32 v69, v67, off
	ds_load_b32 v70, v66
	v_dual_add_nc_u32 v68, 1, v68 :: v_dual_add_nc_u32 v66, 4, v66
	s_wait_xcnt 0x0
	v_add_nc_u32_e32 v67, 4, v67
	s_delay_alu instid0(VALU_DEP_2)
	v_cmp_lt_u32_e32 vcc_lo, 53, v68
	s_or_b32 s3, vcc_lo, s3
	s_wait_loadcnt_dscnt 0x0
	v_fmac_f32_e32 v65, v69, v70
	s_and_not1_b32 exec_lo, exec_lo, s3
	s_cbranch_execnz .LBB120_1095
; %bb.1096:
	s_or_b32 exec_lo, exec_lo, s3
.LBB120_1097:
	s_delay_alu instid0(SALU_CYCLE_1)
	s_or_b32 exec_lo, exec_lo, s2
	v_mov_b32_e32 v66, 0
	ds_load_b32 v66, v66 offset:220
	s_wait_dscnt 0x0
	v_mul_f32_e32 v65, v65, v66
	scratch_store_b32 off, v65, off offset:220
.LBB120_1098:
	s_wait_xcnt 0x0
	s_or_b32 exec_lo, exec_lo, s1
	scratch_load_b32 v65, off, off offset:224
	s_mov_b32 s1, exec_lo
	s_wait_loadcnt 0x0
	ds_store_b32 v1, v65
	s_wait_storecnt_dscnt 0x0
	s_barrier_signal -1
	s_barrier_wait -1
	s_wait_xcnt 0x0
	v_cmpx_ne_u32_e32 56, v0
	s_cbranch_execz .LBB120_1108
; %bb.1099:
	v_cmp_ne_u32_e32 vcc_lo, 1, v64
	s_cbranch_vccnz .LBB120_1101
; %bb.1100:
	scratch_load_b32 v7, v7, off
	ds_load_b32 v64, v1
	s_wait_loadcnt_dscnt 0x0
	v_mul_f32_e32 v7, v7, v64
	s_cbranch_execz .LBB120_1102
	s_branch .LBB120_1103
.LBB120_1101:
                                        ; implicit-def: $vgpr7
.LBB120_1102:
	ds_load_b32 v7, v1
.LBB120_1103:
	s_and_saveexec_b32 s2, s0
	s_cbranch_execz .LBB120_1107
; %bb.1104:
	v_add_nc_u32_e32 v1, 0xf4, v6
	v_add3_u32 v6, 0, v6, 4
	s_mov_b32 s0, 0
.LBB120_1105:                           ; =>This Inner Loop Header: Depth=1
	scratch_load_b32 v64, v6, off
	ds_load_b32 v65, v1
	v_dual_add_nc_u32 v0, 1, v0 :: v_dual_add_nc_u32 v1, 4, v1
	s_wait_xcnt 0x0
	v_add_nc_u32_e32 v6, 4, v6
	s_delay_alu instid0(VALU_DEP_2)
	v_cmp_lt_u32_e32 vcc_lo, 54, v0
	s_or_b32 s0, vcc_lo, s0
	s_wait_loadcnt_dscnt 0x0
	v_fmac_f32_e32 v7, v64, v65
	s_and_not1_b32 exec_lo, exec_lo, s0
	s_cbranch_execnz .LBB120_1105
; %bb.1106:
	s_or_b32 exec_lo, exec_lo, s0
.LBB120_1107:
	s_delay_alu instid0(SALU_CYCLE_1)
	s_or_b32 exec_lo, exec_lo, s2
	v_mov_b32_e32 v0, 0
	ds_load_b32 v0, v0 offset:224
	s_wait_dscnt 0x0
	v_mul_f32_e32 v0, v7, v0
	scratch_store_b32 off, v0, off offset:224
.LBB120_1108:
	s_wait_xcnt 0x0
	s_or_b32 exec_lo, exec_lo, s1
.LBB120_1109:
	scratch_load_b32 v0, off, off
	s_wait_loadcnt 0x0
	flat_store_b32 v[2:3], v0
	scratch_load_b32 v0, off, off offset:4
	s_wait_loadcnt 0x0
	flat_store_b32 v[4:5], v0
	scratch_load_b32 v0, off, off offset:8
	;; [unrolled: 3-line block ×56, first 2 shown]
	s_wait_loadcnt 0x0
	flat_store_b32 v[8:9], v0
.LBB120_1110:
	s_sendmsg sendmsg(MSG_DEALLOC_VGPRS)
	s_endpgm
	.section	.rodata,"a",@progbits
	.p2align	6, 0x0
	.amdhsa_kernel _ZN9rocsolver6v33100L18trti2_kernel_smallILi57EfPKPfEEv13rocblas_fill_17rocblas_diagonal_T1_iil
		.amdhsa_group_segment_fixed_size 468
		.amdhsa_private_segment_fixed_size 240
		.amdhsa_kernarg_size 32
		.amdhsa_user_sgpr_count 2
		.amdhsa_user_sgpr_dispatch_ptr 0
		.amdhsa_user_sgpr_queue_ptr 0
		.amdhsa_user_sgpr_kernarg_segment_ptr 1
		.amdhsa_user_sgpr_dispatch_id 0
		.amdhsa_user_sgpr_kernarg_preload_length 0
		.amdhsa_user_sgpr_kernarg_preload_offset 0
		.amdhsa_user_sgpr_private_segment_size 0
		.amdhsa_wavefront_size32 1
		.amdhsa_uses_dynamic_stack 0
		.amdhsa_enable_private_segment 1
		.amdhsa_system_sgpr_workgroup_id_x 1
		.amdhsa_system_sgpr_workgroup_id_y 0
		.amdhsa_system_sgpr_workgroup_id_z 0
		.amdhsa_system_sgpr_workgroup_info 0
		.amdhsa_system_vgpr_workitem_id 0
		.amdhsa_next_free_vgpr 172
		.amdhsa_next_free_sgpr 63
		.amdhsa_named_barrier_count 0
		.amdhsa_reserve_vcc 1
		.amdhsa_float_round_mode_32 0
		.amdhsa_float_round_mode_16_64 0
		.amdhsa_float_denorm_mode_32 3
		.amdhsa_float_denorm_mode_16_64 3
		.amdhsa_fp16_overflow 0
		.amdhsa_memory_ordered 1
		.amdhsa_forward_progress 1
		.amdhsa_inst_pref_size 255
		.amdhsa_round_robin_scheduling 0
		.amdhsa_exception_fp_ieee_invalid_op 0
		.amdhsa_exception_fp_denorm_src 0
		.amdhsa_exception_fp_ieee_div_zero 0
		.amdhsa_exception_fp_ieee_overflow 0
		.amdhsa_exception_fp_ieee_underflow 0
		.amdhsa_exception_fp_ieee_inexact 0
		.amdhsa_exception_int_div_zero 0
	.end_amdhsa_kernel
	.section	.text._ZN9rocsolver6v33100L18trti2_kernel_smallILi57EfPKPfEEv13rocblas_fill_17rocblas_diagonal_T1_iil,"axG",@progbits,_ZN9rocsolver6v33100L18trti2_kernel_smallILi57EfPKPfEEv13rocblas_fill_17rocblas_diagonal_T1_iil,comdat
.Lfunc_end120:
	.size	_ZN9rocsolver6v33100L18trti2_kernel_smallILi57EfPKPfEEv13rocblas_fill_17rocblas_diagonal_T1_iil, .Lfunc_end120-_ZN9rocsolver6v33100L18trti2_kernel_smallILi57EfPKPfEEv13rocblas_fill_17rocblas_diagonal_T1_iil
                                        ; -- End function
	.set _ZN9rocsolver6v33100L18trti2_kernel_smallILi57EfPKPfEEv13rocblas_fill_17rocblas_diagonal_T1_iil.num_vgpr, 172
	.set _ZN9rocsolver6v33100L18trti2_kernel_smallILi57EfPKPfEEv13rocblas_fill_17rocblas_diagonal_T1_iil.num_agpr, 0
	.set _ZN9rocsolver6v33100L18trti2_kernel_smallILi57EfPKPfEEv13rocblas_fill_17rocblas_diagonal_T1_iil.numbered_sgpr, 63
	.set _ZN9rocsolver6v33100L18trti2_kernel_smallILi57EfPKPfEEv13rocblas_fill_17rocblas_diagonal_T1_iil.num_named_barrier, 0
	.set _ZN9rocsolver6v33100L18trti2_kernel_smallILi57EfPKPfEEv13rocblas_fill_17rocblas_diagonal_T1_iil.private_seg_size, 240
	.set _ZN9rocsolver6v33100L18trti2_kernel_smallILi57EfPKPfEEv13rocblas_fill_17rocblas_diagonal_T1_iil.uses_vcc, 1
	.set _ZN9rocsolver6v33100L18trti2_kernel_smallILi57EfPKPfEEv13rocblas_fill_17rocblas_diagonal_T1_iil.uses_flat_scratch, 0
	.set _ZN9rocsolver6v33100L18trti2_kernel_smallILi57EfPKPfEEv13rocblas_fill_17rocblas_diagonal_T1_iil.has_dyn_sized_stack, 0
	.set _ZN9rocsolver6v33100L18trti2_kernel_smallILi57EfPKPfEEv13rocblas_fill_17rocblas_diagonal_T1_iil.has_recursion, 0
	.set _ZN9rocsolver6v33100L18trti2_kernel_smallILi57EfPKPfEEv13rocblas_fill_17rocblas_diagonal_T1_iil.has_indirect_call, 0
	.section	.AMDGPU.csdata,"",@progbits
; Kernel info:
; codeLenInByte = 33008
; TotalNumSgprs: 65
; NumVgprs: 172
; ScratchSize: 240
; MemoryBound: 0
; FloatMode: 240
; IeeeMode: 1
; LDSByteSize: 468 bytes/workgroup (compile time only)
; SGPRBlocks: 0
; VGPRBlocks: 10
; NumSGPRsForWavesPerEU: 65
; NumVGPRsForWavesPerEU: 172
; NamedBarCnt: 0
; Occupancy: 5
; WaveLimiterHint : 1
; COMPUTE_PGM_RSRC2:SCRATCH_EN: 1
; COMPUTE_PGM_RSRC2:USER_SGPR: 2
; COMPUTE_PGM_RSRC2:TRAP_HANDLER: 0
; COMPUTE_PGM_RSRC2:TGID_X_EN: 1
; COMPUTE_PGM_RSRC2:TGID_Y_EN: 0
; COMPUTE_PGM_RSRC2:TGID_Z_EN: 0
; COMPUTE_PGM_RSRC2:TIDIG_COMP_CNT: 0
	.section	.text._ZN9rocsolver6v33100L18trti2_kernel_smallILi58EfPKPfEEv13rocblas_fill_17rocblas_diagonal_T1_iil,"axG",@progbits,_ZN9rocsolver6v33100L18trti2_kernel_smallILi58EfPKPfEEv13rocblas_fill_17rocblas_diagonal_T1_iil,comdat
	.globl	_ZN9rocsolver6v33100L18trti2_kernel_smallILi58EfPKPfEEv13rocblas_fill_17rocblas_diagonal_T1_iil ; -- Begin function _ZN9rocsolver6v33100L18trti2_kernel_smallILi58EfPKPfEEv13rocblas_fill_17rocblas_diagonal_T1_iil
	.p2align	8
	.type	_ZN9rocsolver6v33100L18trti2_kernel_smallILi58EfPKPfEEv13rocblas_fill_17rocblas_diagonal_T1_iil,@function
_ZN9rocsolver6v33100L18trti2_kernel_smallILi58EfPKPfEEv13rocblas_fill_17rocblas_diagonal_T1_iil: ; @_ZN9rocsolver6v33100L18trti2_kernel_smallILi58EfPKPfEEv13rocblas_fill_17rocblas_diagonal_T1_iil
; %bb.0:
	s_mov_b32 s2, exec_lo
	v_cmpx_gt_u32_e32 58, v0
	s_cbranch_execz .LBB121_1130
; %bb.1:
	s_clause 0x1
	s_load_b64 s[2:3], s[0:1], 0x10
	s_load_b128 s[4:7], s[0:1], 0x0
	s_wait_xcnt 0x0
	s_bfe_u32 s0, ttmp6, 0x4000c
	s_and_b32 s1, ttmp6, 15
	s_add_co_i32 s0, s0, 1
	s_getreg_b32 s8, hwreg(HW_REG_IB_STS2, 6, 4)
	s_mul_i32 s0, ttmp9, s0
	v_dual_mov_b32 v7, 0 :: v_dual_lshlrev_b32 v6, 2, v0
	s_add_co_i32 s0, s1, s0
	v_mov_b32_e32 v120, -1.0
	s_wait_kmcnt 0x0
	s_ashr_i32 s1, s2, 31
	s_cmp_eq_u32 s8, 0
	v_add3_u32 v8, s3, s3, v0
	s_cselect_b32 s8, ttmp9, s0
	s_mov_b32 s0, s2
	s_ashr_i32 s9, s8, 31
	s_lshl_b64 s[0:1], s[0:1], 2
	s_lshl_b64 s[8:9], s[8:9], 3
	v_add_nc_u32_e32 v10, s3, v8
	s_add_nc_u64 s[6:7], s[6:7], s[8:9]
	s_load_b64 s[6:7], s[6:7], 0x0
	s_delay_alu instid0(VALU_DEP_1) | instskip(NEXT) | instid1(VALU_DEP_1)
	v_add_nc_u32_e32 v12, s3, v10
	v_add_nc_u32_e32 v14, s3, v12
	s_delay_alu instid0(VALU_DEP_1) | instskip(NEXT) | instid1(VALU_DEP_1)
	v_add_nc_u32_e32 v16, s3, v14
	v_dual_ashrrev_i32 v11, 31, v10 :: v_dual_add_nc_u32 v18, s3, v16
	v_ashrrev_i32_e32 v13, 31, v12
	s_wait_kmcnt 0x0
	s_add_nc_u64 s[6:7], s[6:7], s[0:1]
	s_mov_b32 s0, s3
	flat_load_b32 v1, v0, s[6:7] scale_offset
	v_add_nc_u64_e32 v[2:3], s[6:7], v[6:7]
	s_ashr_i32 s1, s3, 31
	v_dual_add_nc_u32 v20, s3, v18 :: v_dual_ashrrev_i32 v9, 31, v8
	v_ashrrev_i32_e32 v15, 31, v14
	v_ashrrev_i32_e32 v19, 31, v18
	s_cmp_lg_u32 s5, 0x84
	s_delay_alu instid0(VALU_DEP_4) | instskip(SKIP_2) | instid1(VALU_DEP_1)
	v_lshl_add_u64 v[4:5], s[0:1], 2, v[2:3]
	v_add_nc_u32_e32 v22, s3, v20
	s_movk_i32 s1, 0x84
	v_add_nc_u32_e32 v24, s3, v22
	s_delay_alu instid0(VALU_DEP_1) | instskip(NEXT) | instid1(VALU_DEP_1)
	v_add_nc_u32_e32 v26, s3, v24
	v_dual_add_nc_u32 v28, s3, v26 :: v_dual_ashrrev_i32 v17, 31, v16
	s_delay_alu instid0(VALU_DEP_1) | instskip(NEXT) | instid1(VALU_DEP_1)
	v_dual_ashrrev_i32 v23, 31, v22 :: v_dual_add_nc_u32 v30, s3, v28
	v_dual_ashrrev_i32 v25, 31, v24 :: v_dual_ashrrev_i32 v31, 31, v30
	v_dual_add_nc_u32 v32, s3, v30 :: v_dual_ashrrev_i32 v21, 31, v20
	s_delay_alu instid0(VALU_DEP_1) | instskip(NEXT) | instid1(VALU_DEP_1)
	v_dual_ashrrev_i32 v27, 31, v26 :: v_dual_add_nc_u32 v34, s3, v32
	v_add_nc_u32_e32 v36, s3, v34
	s_delay_alu instid0(VALU_DEP_1) | instskip(NEXT) | instid1(VALU_DEP_1)
	v_add_nc_u32_e32 v38, s3, v36
	v_dual_add_nc_u32 v40, s3, v38 :: v_dual_ashrrev_i32 v29, 31, v28
	s_delay_alu instid0(VALU_DEP_1) | instskip(NEXT) | instid1(VALU_DEP_1)
	v_dual_ashrrev_i32 v35, 31, v34 :: v_dual_add_nc_u32 v42, s3, v40
	v_dual_ashrrev_i32 v37, 31, v36 :: v_dual_ashrrev_i32 v43, 31, v42
	v_dual_add_nc_u32 v44, s3, v42 :: v_dual_ashrrev_i32 v33, 31, v32
	s_delay_alu instid0(VALU_DEP_1) | instskip(NEXT) | instid1(VALU_DEP_1)
	v_dual_ashrrev_i32 v39, 31, v38 :: v_dual_add_nc_u32 v46, s3, v44
	;; [unrolled: 10-line block ×7, first 2 shown]
	v_add_nc_u32_e32 v108, s3, v106
	s_delay_alu instid0(VALU_DEP_1) | instskip(NEXT) | instid1(VALU_DEP_1)
	v_add_nc_u32_e32 v110, s3, v108
	v_dual_add_nc_u32 v112, s3, v110 :: v_dual_ashrrev_i32 v101, 31, v100
	s_delay_alu instid0(VALU_DEP_1) | instskip(NEXT) | instid1(VALU_DEP_1)
	v_dual_ashrrev_i32 v107, 31, v106 :: v_dual_add_nc_u32 v114, s3, v112
	v_dual_ashrrev_i32 v109, 31, v108 :: v_dual_ashrrev_i32 v115, 31, v114
	v_dual_add_nc_u32 v116, s3, v114 :: v_dual_ashrrev_i32 v105, 31, v104
	s_delay_alu instid0(VALU_DEP_1)
	v_dual_ashrrev_i32 v111, 31, v110 :: v_dual_add_nc_u32 v118, s3, v116
	v_ashrrev_i32_e32 v113, 31, v112
	v_ashrrev_i32_e32 v117, 31, v116
	s_cselect_b32 s3, -1, 0
	s_cmp_eq_u32 s5, 0x84
	v_ashrrev_i32_e32 v119, 31, v118
	s_wait_loadcnt_dscnt 0x0
	scratch_store_b32 off, v1, off
	flat_load_b32 v1, v[4:5]
	s_wait_loadcnt_dscnt 0x0
	scratch_store_b32 off, v1, off offset:4
	flat_load_b32 v1, v8, s[6:7] scale_offset
	s_wait_loadcnt_dscnt 0x0
	scratch_store_b32 off, v1, off offset:8
	flat_load_b32 v1, v10, s[6:7] scale_offset
	;; [unrolled: 3-line block ×56, first 2 shown]
	s_wait_loadcnt_dscnt 0x0
	scratch_store_b32 off, v1, off offset:228
	s_cbranch_scc1 .LBB121_3
; %bb.2:
	scratch_load_b32 v1, v0, off scale_offset
	s_wait_loadcnt 0x0
	v_div_scale_f32 v7, null, v1, v1, 1.0
	s_delay_alu instid0(VALU_DEP_1) | instskip(SKIP_1) | instid1(TRANS32_DEP_1)
	v_rcp_f32_e32 v120, v7
	v_nop
	v_fma_f32 v121, -v7, v120, 1.0
	s_delay_alu instid0(VALU_DEP_1) | instskip(SKIP_1) | instid1(VALU_DEP_1)
	v_fmac_f32_e32 v120, v121, v120
	v_div_scale_f32 v121, vcc_lo, 1.0, v1, 1.0
	v_mul_f32_e32 v122, v121, v120
	s_delay_alu instid0(VALU_DEP_1) | instskip(NEXT) | instid1(VALU_DEP_1)
	v_fma_f32 v123, -v7, v122, v121
	v_fmac_f32_e32 v122, v123, v120
	s_delay_alu instid0(VALU_DEP_1) | instskip(NEXT) | instid1(VALU_DEP_1)
	v_fma_f32 v7, -v7, v122, v121
	v_div_fmas_f32 v7, v7, v120, v122
	s_delay_alu instid0(VALU_DEP_1) | instskip(NEXT) | instid1(VALU_DEP_1)
	v_div_fixup_f32 v1, v7, v1, 1.0
	v_xor_b32_e32 v120, 0x80000000, v1
	scratch_store_b32 v0, v1, off scale_offset
.LBB121_3:
	s_wait_xcnt 0x0
	v_add_nc_u32_e32 v1, 0xf0, v6
	v_mov_b32_e32 v7, v6
	s_cmp_eq_u32 s4, 0x79
	s_mov_b32 s2, -1
	ds_store_b32 v6, v120
	s_cbranch_scc1 .LBB121_567
; %bb.4:
	scratch_load_b32 v120, off, off offset:224
	v_cmp_eq_u32_e64 s0, 57, v0
	s_movk_i32 s21, 0x44
	s_movk_i32 s22, 0x48
	;; [unrolled: 1-line block ×38, first 2 shown]
	s_wait_loadcnt 0x0
	ds_store_b32 v1, v120
	s_wait_storecnt_dscnt 0x0
	s_barrier_signal -1
	s_barrier_wait -1
	s_wait_xcnt 0x0
	s_and_saveexec_b32 s2, s0
	s_cbranch_execz .LBB121_10
; %bb.5:
	s_and_b32 vcc_lo, exec_lo, s3
	s_cbranch_vccz .LBB121_7
; %bb.6:
	scratch_load_b32 v120, v7, off
	ds_load_b32 v121, v1
	s_wait_loadcnt_dscnt 0x0
	v_mul_f32_e32 v120, v120, v121
	s_cbranch_execz .LBB121_8
	s_branch .LBB121_9
.LBB121_7:
                                        ; implicit-def: $vgpr120
.LBB121_8:
	ds_load_b32 v120, v1
.LBB121_9:
	v_mov_b32_e32 v121, 0
	ds_load_b32 v121, v121 offset:224
	s_wait_dscnt 0x0
	v_mul_f32_e32 v120, v120, v121
	scratch_store_b32 off, v120, off offset:224
.LBB121_10:
	s_wait_xcnt 0x0
	s_or_b32 exec_lo, exec_lo, s2
	scratch_load_b32 v120, off, off offset:220
	s_mov_b32 s38, s1
	v_cmp_lt_u32_e64 s1, 55, v0
	s_or_b32 s4, 0, 4
	s_or_b32 s5, 0, 8
	;; [unrolled: 1-line block ×3, first 2 shown]
	s_mov_b32 s2, 16
	s_mov_b32 s9, 20
	s_mov_b32 s10, 24
	s_mov_b32 s11, 28
	s_mov_b32 s12, 32
	s_mov_b32 s13, 36
	s_mov_b32 s14, 40
	s_mov_b32 s15, 44
	s_mov_b32 s16, 48
	s_mov_b32 s17, 52
	s_mov_b32 s18, 56
	s_mov_b32 s19, 60
	s_mov_b32 s20, 64
	s_wait_loadcnt 0x0
	ds_store_b32 v1, v120
	s_wait_storecnt_dscnt 0x0
	s_barrier_signal -1
	s_barrier_wait -1
	s_wait_xcnt 0x0
	s_and_saveexec_b32 s61, s1
	s_cbranch_execz .LBB121_16
; %bb.11:
	s_and_not1_b32 vcc_lo, exec_lo, s3
	s_cbranch_vccnz .LBB121_13
; %bb.12:
	scratch_load_b32 v120, v7, off
	ds_load_b32 v121, v1
	s_wait_loadcnt_dscnt 0x0
	v_mul_f32_e32 v120, v120, v121
	s_cbranch_execz .LBB121_14
	s_branch .LBB121_15
.LBB121_13:
                                        ; implicit-def: $vgpr120
.LBB121_14:
	ds_load_b32 v120, v1
.LBB121_15:
	scratch_load_b32 v121, off, off offset:224
	v_mov_b32_e32 v122, 0
	ds_load_2addr_b32 v[122:123], v122 offset0:55 offset1:116
	s_wait_loadcnt_dscnt 0x0
	v_fma_f32 v121, v121, v123, v120
	s_delay_alu instid0(VALU_DEP_1) | instskip(NEXT) | instid1(VALU_DEP_1)
	v_cndmask_b32_e64 v120, v120, v121, s0
	v_mul_f32_e32 v120, v120, v122
	scratch_store_b32 off, v120, off offset:220
.LBB121_16:
	s_wait_xcnt 0x0
	s_or_b32 exec_lo, exec_lo, s61
	scratch_load_b32 v120, off, off offset:216
	v_cmp_lt_u32_e64 s0, 54, v0
	s_wait_loadcnt 0x0
	ds_store_b32 v1, v120
	s_wait_storecnt_dscnt 0x0
	s_barrier_signal -1
	s_barrier_wait -1
	s_wait_xcnt 0x0
	s_and_saveexec_b32 s61, s0
	s_cbranch_execz .LBB121_26
; %bb.17:
	s_and_not1_b32 vcc_lo, exec_lo, s3
	s_cbranch_vccnz .LBB121_19
; %bb.18:
	scratch_load_b32 v120, v7, off
	ds_load_b32 v121, v1
	s_wait_loadcnt_dscnt 0x0
	v_mul_f32_e32 v120, v120, v121
	s_cbranch_execz .LBB121_20
	s_branch .LBB121_21
.LBB121_19:
                                        ; implicit-def: $vgpr120
.LBB121_20:
	ds_load_b32 v120, v1
.LBB121_21:
	s_and_saveexec_b32 s62, s1
	s_cbranch_execz .LBB121_25
; %bb.22:
	v_subrev_nc_u32_e32 v121, 55, v0
	s_movk_i32 s63, 0x1cc
	s_mov_b32 s1, 0
.LBB121_23:                             ; =>This Inner Loop Header: Depth=1
	scratch_load_b32 v122, off, s60
	v_dual_mov_b32 v123, s63 :: v_dual_add_nc_u32 v121, -1, v121
	s_add_co_i32 s63, s63, 4
	s_wait_xcnt 0x0
	s_add_co_i32 s60, s60, 4
	ds_load_b32 v123, v123
	v_cmp_eq_u32_e32 vcc_lo, 0, v121
	s_or_b32 s1, vcc_lo, s1
	s_wait_loadcnt_dscnt 0x0
	v_fmac_f32_e32 v120, v122, v123
	s_and_not1_b32 exec_lo, exec_lo, s1
	s_cbranch_execnz .LBB121_23
; %bb.24:
	s_or_b32 exec_lo, exec_lo, s1
.LBB121_25:
	s_delay_alu instid0(SALU_CYCLE_1)
	s_or_b32 exec_lo, exec_lo, s62
	v_mov_b32_e32 v121, 0
	ds_load_b32 v121, v121 offset:216
	s_wait_dscnt 0x0
	v_mul_f32_e32 v120, v120, v121
	scratch_store_b32 off, v120, off offset:216
.LBB121_26:
	s_wait_xcnt 0x0
	s_or_b32 exec_lo, exec_lo, s61
	scratch_load_b32 v120, off, off offset:212
	v_cmp_lt_u32_e64 s1, 53, v0
	s_wait_loadcnt 0x0
	ds_store_b32 v1, v120
	s_wait_storecnt_dscnt 0x0
	s_barrier_signal -1
	s_barrier_wait -1
	s_wait_xcnt 0x0
	s_and_saveexec_b32 s60, s1
	s_cbranch_execz .LBB121_36
; %bb.27:
	s_and_not1_b32 vcc_lo, exec_lo, s3
	s_cbranch_vccnz .LBB121_29
; %bb.28:
	scratch_load_b32 v120, v7, off
	ds_load_b32 v121, v1
	s_wait_loadcnt_dscnt 0x0
	v_mul_f32_e32 v120, v120, v121
	s_cbranch_execz .LBB121_30
	s_branch .LBB121_31
.LBB121_29:
                                        ; implicit-def: $vgpr120
.LBB121_30:
	ds_load_b32 v120, v1
.LBB121_31:
	s_and_saveexec_b32 s61, s0
	s_cbranch_execz .LBB121_35
; %bb.32:
	v_subrev_nc_u32_e32 v121, 54, v0
	s_movk_i32 s62, 0x1c8
	s_mov_b32 s0, 0
.LBB121_33:                             ; =>This Inner Loop Header: Depth=1
	scratch_load_b32 v122, off, s59
	v_dual_mov_b32 v123, s62 :: v_dual_add_nc_u32 v121, -1, v121
	s_add_co_i32 s62, s62, 4
	s_wait_xcnt 0x0
	s_add_co_i32 s59, s59, 4
	ds_load_b32 v123, v123
	v_cmp_eq_u32_e32 vcc_lo, 0, v121
	s_or_b32 s0, vcc_lo, s0
	s_wait_loadcnt_dscnt 0x0
	v_fmac_f32_e32 v120, v122, v123
	s_and_not1_b32 exec_lo, exec_lo, s0
	s_cbranch_execnz .LBB121_33
; %bb.34:
	s_or_b32 exec_lo, exec_lo, s0
.LBB121_35:
	s_delay_alu instid0(SALU_CYCLE_1)
	s_or_b32 exec_lo, exec_lo, s61
	v_mov_b32_e32 v121, 0
	ds_load_b32 v121, v121 offset:212
	s_wait_dscnt 0x0
	v_mul_f32_e32 v120, v120, v121
	scratch_store_b32 off, v120, off offset:212
.LBB121_36:
	;; [unrolled: 57-line block ×8, first 2 shown]
	s_wait_xcnt 0x0
	s_or_b32 exec_lo, exec_lo, s54
	scratch_load_b32 v120, off, off offset:184
	v_cmp_lt_u32_e64 s0, 46, v0
	s_wait_loadcnt 0x0
	ds_store_b32 v1, v120
	s_wait_storecnt_dscnt 0x0
	s_barrier_signal -1
	s_barrier_wait -1
	s_wait_xcnt 0x0
	s_and_saveexec_b32 s53, s0
	s_cbranch_execz .LBB121_106
; %bb.97:
	s_and_not1_b32 vcc_lo, exec_lo, s3
	s_cbranch_vccnz .LBB121_99
; %bb.98:
	scratch_load_b32 v120, v7, off
	ds_load_b32 v121, v1
	s_wait_loadcnt_dscnt 0x0
	v_mul_f32_e32 v120, v120, v121
	s_cbranch_execz .LBB121_100
	s_branch .LBB121_101
.LBB121_99:
                                        ; implicit-def: $vgpr120
.LBB121_100:
	ds_load_b32 v120, v1
.LBB121_101:
	s_and_saveexec_b32 s54, s1
	s_cbranch_execz .LBB121_105
; %bb.102:
	v_subrev_nc_u32_e32 v121, 47, v0
	s_movk_i32 s55, 0x1ac
	s_mov_b32 s1, 0
.LBB121_103:                            ; =>This Inner Loop Header: Depth=1
	scratch_load_b32 v122, off, s52
	v_dual_mov_b32 v123, s55 :: v_dual_add_nc_u32 v121, -1, v121
	s_add_co_i32 s55, s55, 4
	s_wait_xcnt 0x0
	s_add_co_i32 s52, s52, 4
	ds_load_b32 v123, v123
	v_cmp_eq_u32_e32 vcc_lo, 0, v121
	s_or_b32 s1, vcc_lo, s1
	s_wait_loadcnt_dscnt 0x0
	v_fmac_f32_e32 v120, v122, v123
	s_and_not1_b32 exec_lo, exec_lo, s1
	s_cbranch_execnz .LBB121_103
; %bb.104:
	s_or_b32 exec_lo, exec_lo, s1
.LBB121_105:
	s_delay_alu instid0(SALU_CYCLE_1)
	s_or_b32 exec_lo, exec_lo, s54
	v_mov_b32_e32 v121, 0
	ds_load_b32 v121, v121 offset:184
	s_wait_dscnt 0x0
	v_mul_f32_e32 v120, v120, v121
	scratch_store_b32 off, v120, off offset:184
.LBB121_106:
	s_wait_xcnt 0x0
	s_or_b32 exec_lo, exec_lo, s53
	scratch_load_b32 v120, off, off offset:180
	v_cmp_lt_u32_e64 s1, 45, v0
	s_wait_loadcnt 0x0
	ds_store_b32 v1, v120
	s_wait_storecnt_dscnt 0x0
	s_barrier_signal -1
	s_barrier_wait -1
	s_wait_xcnt 0x0
	s_and_saveexec_b32 s52, s1
	s_cbranch_execz .LBB121_116
; %bb.107:
	s_and_not1_b32 vcc_lo, exec_lo, s3
	s_cbranch_vccnz .LBB121_109
; %bb.108:
	scratch_load_b32 v120, v7, off
	ds_load_b32 v121, v1
	s_wait_loadcnt_dscnt 0x0
	v_mul_f32_e32 v120, v120, v121
	s_cbranch_execz .LBB121_110
	s_branch .LBB121_111
.LBB121_109:
                                        ; implicit-def: $vgpr120
.LBB121_110:
	ds_load_b32 v120, v1
.LBB121_111:
	s_and_saveexec_b32 s53, s0
	s_cbranch_execz .LBB121_115
; %bb.112:
	v_subrev_nc_u32_e32 v121, 46, v0
	s_movk_i32 s54, 0x1a8
	s_mov_b32 s0, 0
.LBB121_113:                            ; =>This Inner Loop Header: Depth=1
	scratch_load_b32 v122, off, s51
	v_dual_mov_b32 v123, s54 :: v_dual_add_nc_u32 v121, -1, v121
	s_add_co_i32 s54, s54, 4
	s_wait_xcnt 0x0
	s_add_co_i32 s51, s51, 4
	ds_load_b32 v123, v123
	v_cmp_eq_u32_e32 vcc_lo, 0, v121
	s_or_b32 s0, vcc_lo, s0
	s_wait_loadcnt_dscnt 0x0
	v_fmac_f32_e32 v120, v122, v123
	s_and_not1_b32 exec_lo, exec_lo, s0
	s_cbranch_execnz .LBB121_113
; %bb.114:
	s_or_b32 exec_lo, exec_lo, s0
.LBB121_115:
	s_delay_alu instid0(SALU_CYCLE_1)
	s_or_b32 exec_lo, exec_lo, s53
	v_mov_b32_e32 v121, 0
	ds_load_b32 v121, v121 offset:180
	s_wait_dscnt 0x0
	v_mul_f32_e32 v120, v120, v121
	scratch_store_b32 off, v120, off offset:180
.LBB121_116:
	;; [unrolled: 57-line block ×31, first 2 shown]
	s_wait_xcnt 0x0
	s_or_b32 exec_lo, exec_lo, s22
	scratch_load_b32 v120, off, off offset:60
	v_cmp_lt_u32_e64 s1, 15, v0
	s_wait_loadcnt 0x0
	ds_store_b32 v1, v120
	s_wait_storecnt_dscnt 0x0
	s_barrier_signal -1
	s_barrier_wait -1
	s_wait_xcnt 0x0
	s_and_saveexec_b32 s21, s1
	s_cbranch_execz .LBB121_416
; %bb.407:
	s_and_not1_b32 vcc_lo, exec_lo, s3
	s_cbranch_vccnz .LBB121_409
; %bb.408:
	scratch_load_b32 v120, v7, off
	ds_load_b32 v121, v1
	s_wait_loadcnt_dscnt 0x0
	v_mul_f32_e32 v120, v120, v121
	s_cbranch_execz .LBB121_410
	s_branch .LBB121_411
.LBB121_409:
                                        ; implicit-def: $vgpr120
.LBB121_410:
	ds_load_b32 v120, v1
.LBB121_411:
	s_and_saveexec_b32 s22, s0
	s_cbranch_execz .LBB121_415
; %bb.412:
	v_add_nc_u32_e32 v121, -16, v0
	s_movk_i32 s23, 0x130
	s_mov_b32 s0, 0
.LBB121_413:                            ; =>This Inner Loop Header: Depth=1
	scratch_load_b32 v122, off, s20
	v_dual_mov_b32 v123, s23 :: v_dual_add_nc_u32 v121, -1, v121
	s_add_co_i32 s23, s23, 4
	s_wait_xcnt 0x0
	s_add_co_i32 s20, s20, 4
	ds_load_b32 v123, v123
	v_cmp_eq_u32_e32 vcc_lo, 0, v121
	s_or_b32 s0, vcc_lo, s0
	s_wait_loadcnt_dscnt 0x0
	v_fmac_f32_e32 v120, v122, v123
	s_and_not1_b32 exec_lo, exec_lo, s0
	s_cbranch_execnz .LBB121_413
; %bb.414:
	s_or_b32 exec_lo, exec_lo, s0
.LBB121_415:
	s_delay_alu instid0(SALU_CYCLE_1)
	s_or_b32 exec_lo, exec_lo, s22
	v_mov_b32_e32 v121, 0
	ds_load_b32 v121, v121 offset:60
	s_wait_dscnt 0x0
	v_mul_f32_e32 v120, v120, v121
	scratch_store_b32 off, v120, off offset:60
.LBB121_416:
	s_wait_xcnt 0x0
	s_or_b32 exec_lo, exec_lo, s21
	scratch_load_b32 v120, off, off offset:56
	v_cmp_lt_u32_e64 s0, 14, v0
	s_wait_loadcnt 0x0
	ds_store_b32 v1, v120
	s_wait_storecnt_dscnt 0x0
	s_barrier_signal -1
	s_barrier_wait -1
	s_wait_xcnt 0x0
	s_and_saveexec_b32 s20, s0
	s_cbranch_execz .LBB121_426
; %bb.417:
	s_and_not1_b32 vcc_lo, exec_lo, s3
	s_cbranch_vccnz .LBB121_419
; %bb.418:
	scratch_load_b32 v120, v7, off
	ds_load_b32 v121, v1
	s_wait_loadcnt_dscnt 0x0
	v_mul_f32_e32 v120, v120, v121
	s_cbranch_execz .LBB121_420
	s_branch .LBB121_421
.LBB121_419:
                                        ; implicit-def: $vgpr120
.LBB121_420:
	ds_load_b32 v120, v1
.LBB121_421:
	s_and_saveexec_b32 s21, s1
	s_cbranch_execz .LBB121_425
; %bb.422:
	v_add_nc_u32_e32 v121, -15, v0
	s_movk_i32 s22, 0x12c
	s_mov_b32 s1, 0
.LBB121_423:                            ; =>This Inner Loop Header: Depth=1
	scratch_load_b32 v122, off, s19
	v_dual_mov_b32 v123, s22 :: v_dual_add_nc_u32 v121, -1, v121
	s_add_co_i32 s22, s22, 4
	s_wait_xcnt 0x0
	s_add_co_i32 s19, s19, 4
	ds_load_b32 v123, v123
	v_cmp_eq_u32_e32 vcc_lo, 0, v121
	s_or_b32 s1, vcc_lo, s1
	s_wait_loadcnt_dscnt 0x0
	v_fmac_f32_e32 v120, v122, v123
	s_and_not1_b32 exec_lo, exec_lo, s1
	s_cbranch_execnz .LBB121_423
; %bb.424:
	s_or_b32 exec_lo, exec_lo, s1
.LBB121_425:
	s_delay_alu instid0(SALU_CYCLE_1)
	s_or_b32 exec_lo, exec_lo, s21
	v_mov_b32_e32 v121, 0
	ds_load_b32 v121, v121 offset:56
	s_wait_dscnt 0x0
	v_mul_f32_e32 v120, v120, v121
	scratch_store_b32 off, v120, off offset:56
.LBB121_426:
	;; [unrolled: 57-line block ×15, first 2 shown]
	s_wait_xcnt 0x0
	s_or_b32 exec_lo, exec_lo, s1
	scratch_load_b32 v120, off, off
	s_mov_b32 s2, 0
	s_mov_b32 s1, exec_lo
	s_wait_loadcnt 0x0
	ds_store_b32 v1, v120
	s_wait_storecnt_dscnt 0x0
	s_barrier_signal -1
	s_barrier_wait -1
	s_wait_xcnt 0x0
	v_cmpx_ne_u32_e32 0, v0
	s_cbranch_execz .LBB121_566
; %bb.557:
	s_and_not1_b32 vcc_lo, exec_lo, s3
	s_cbranch_vccnz .LBB121_559
; %bb.558:
	scratch_load_b32 v120, v7, off
	ds_load_b32 v121, v1
	s_wait_loadcnt_dscnt 0x0
	v_mul_f32_e32 v120, v120, v121
	s_cbranch_execz .LBB121_560
	s_branch .LBB121_561
.LBB121_559:
                                        ; implicit-def: $vgpr120
.LBB121_560:
	ds_load_b32 v120, v1
.LBB121_561:
	s_and_saveexec_b32 s5, s0
	s_cbranch_execz .LBB121_565
; %bb.562:
	v_add_nc_u32_e32 v121, -1, v0
	s_movk_i32 s8, 0xf4
	s_mov_b32 s0, 0
.LBB121_563:                            ; =>This Inner Loop Header: Depth=1
	scratch_load_b32 v122, off, s4
	v_dual_mov_b32 v123, s8 :: v_dual_add_nc_u32 v121, -1, v121
	s_add_co_i32 s8, s8, 4
	s_wait_xcnt 0x0
	s_add_co_i32 s4, s4, 4
	ds_load_b32 v123, v123
	v_cmp_eq_u32_e32 vcc_lo, 0, v121
	s_or_b32 s0, vcc_lo, s0
	s_wait_loadcnt_dscnt 0x0
	v_fmac_f32_e32 v120, v122, v123
	s_and_not1_b32 exec_lo, exec_lo, s0
	s_cbranch_execnz .LBB121_563
; %bb.564:
	s_or_b32 exec_lo, exec_lo, s0
.LBB121_565:
	s_delay_alu instid0(SALU_CYCLE_1)
	s_or_b32 exec_lo, exec_lo, s5
	v_mov_b32_e32 v121, 0
	ds_load_b32 v121, v121
	s_wait_dscnt 0x0
	v_mul_f32_e32 v120, v120, v121
	scratch_store_b32 off, v120, off
.LBB121_566:
	s_wait_xcnt 0x0
	s_or_b32 exec_lo, exec_lo, s1
.LBB121_567:
	v_lshl_add_u64 v[174:175], v[8:9], 2, s[6:7]
	v_lshl_add_u64 v[172:173], v[10:11], 2, s[6:7]
	;; [unrolled: 1-line block ×56, first 2 shown]
	s_and_b32 vcc_lo, exec_lo, s2
	s_cbranch_vccz .LBB121_1129
; %bb.568:
	scratch_load_b32 v64, off, off offset:4
	v_cmp_eq_u32_e64 s0, 0, v0
	s_wait_loadcnt 0x0
	ds_store_b32 v1, v64
	s_wait_storecnt_dscnt 0x0
	s_barrier_signal -1
	s_barrier_wait -1
	s_wait_xcnt 0x0
	s_and_saveexec_b32 s1, s0
	s_cbranch_execz .LBB121_574
; %bb.569:
	s_and_b32 vcc_lo, exec_lo, s3
	s_cbranch_vccz .LBB121_571
; %bb.570:
	scratch_load_b32 v64, v7, off
	ds_load_b32 v65, v1
	s_wait_loadcnt_dscnt 0x0
	v_mul_f32_e32 v64, v64, v65
	s_cbranch_execz .LBB121_572
	s_branch .LBB121_573
.LBB121_571:
                                        ; implicit-def: $vgpr64
.LBB121_572:
	ds_load_b32 v64, v1
.LBB121_573:
	v_mov_b32_e32 v65, 0
	ds_load_b32 v65, v65 offset:4
	s_wait_dscnt 0x0
	v_mul_f32_e32 v64, v64, v65
	scratch_store_b32 off, v64, off offset:4
.LBB121_574:
	s_wait_xcnt 0x0
	s_or_b32 exec_lo, exec_lo, s1
	scratch_load_b32 v65, off, off offset:8
	v_cndmask_b32_e64 v64, 0, 1, s3
	s_mov_b32 s1, exec_lo
	s_wait_loadcnt 0x0
	ds_store_b32 v1, v65
	s_wait_storecnt_dscnt 0x0
	s_barrier_signal -1
	s_barrier_wait -1
	s_wait_xcnt 0x0
	v_cmpx_gt_u32_e32 2, v0
	s_cbranch_execz .LBB121_580
; %bb.575:
	s_and_not1_b32 vcc_lo, exec_lo, s3
	s_cbranch_vccnz .LBB121_577
; %bb.576:
	scratch_load_b32 v65, v7, off
	ds_load_b32 v66, v1
	s_wait_loadcnt_dscnt 0x0
	v_mul_f32_e32 v65, v65, v66
	s_cbranch_execz .LBB121_578
	s_branch .LBB121_579
.LBB121_577:
                                        ; implicit-def: $vgpr65
.LBB121_578:
	ds_load_b32 v65, v1
.LBB121_579:
	scratch_load_b32 v68, off, off offset:4
	v_mov_b32_e32 v66, 0
	ds_load_2addr_b32 v[66:67], v66 offset0:2 offset1:61
	s_wait_loadcnt_dscnt 0x0
	v_fma_f32 v67, v68, v67, v65
	s_delay_alu instid0(VALU_DEP_1) | instskip(NEXT) | instid1(VALU_DEP_1)
	v_cndmask_b32_e64 v65, v65, v67, s0
	v_mul_f32_e32 v65, v65, v66
	scratch_store_b32 off, v65, off offset:8
.LBB121_580:
	s_wait_xcnt 0x0
	s_or_b32 exec_lo, exec_lo, s1
	scratch_load_b32 v65, off, off offset:12
	s_mov_b32 s1, exec_lo
	s_wait_loadcnt 0x0
	ds_store_b32 v1, v65
	s_wait_storecnt_dscnt 0x0
	s_barrier_signal -1
	s_barrier_wait -1
	s_wait_xcnt 0x0
	v_cmpx_gt_u32_e32 3, v0
	s_cbranch_execz .LBB121_588
; %bb.581:
	v_cmp_ne_u32_e32 vcc_lo, 1, v64
	s_cbranch_vccnz .LBB121_583
; %bb.582:
	scratch_load_b32 v65, v7, off
	ds_load_b32 v66, v1
	s_wait_loadcnt_dscnt 0x0
	v_mul_f32_e32 v65, v65, v66
	s_cbranch_execz .LBB121_584
	s_branch .LBB121_585
.LBB121_583:
                                        ; implicit-def: $vgpr65
.LBB121_584:
	ds_load_b32 v65, v1
.LBB121_585:
	s_mov_b32 s2, exec_lo
	v_cmpx_ne_u32_e32 2, v0
	s_cbranch_execz .LBB121_587
; %bb.586:
	scratch_load_b32 v66, v7, off offset:4
	scratch_load_b32 v67, off, off offset:8
	ds_load_b32 v68, v1 offset:4
	v_mov_b32_e32 v69, 0
	ds_load_b32 v69, v69 offset:248
	s_wait_loadcnt_dscnt 0x101
	v_fmac_f32_e32 v65, v66, v68
	s_wait_loadcnt_dscnt 0x0
	s_delay_alu instid0(VALU_DEP_1) | instskip(NEXT) | instid1(VALU_DEP_1)
	v_fma_f32 v66, v67, v69, v65
	v_cndmask_b32_e64 v65, v65, v66, s0
.LBB121_587:
	s_or_b32 exec_lo, exec_lo, s2
	v_mov_b32_e32 v66, 0
	ds_load_b32 v66, v66 offset:12
	s_wait_dscnt 0x0
	v_mul_f32_e32 v65, v65, v66
	scratch_store_b32 off, v65, off offset:12
.LBB121_588:
	s_wait_xcnt 0x0
	s_or_b32 exec_lo, exec_lo, s1
	scratch_load_b32 v65, off, off offset:16
	s_mov_b32 s0, exec_lo
	s_wait_loadcnt 0x0
	ds_store_b32 v1, v65
	s_wait_storecnt_dscnt 0x0
	s_barrier_signal -1
	s_barrier_wait -1
	s_wait_xcnt 0x0
	v_cmpx_gt_u32_e32 4, v0
	s_cbranch_execz .LBB121_598
; %bb.589:
	v_cmp_ne_u32_e32 vcc_lo, 1, v64
	s_cbranch_vccnz .LBB121_591
; %bb.590:
	scratch_load_b32 v65, v7, off
	ds_load_b32 v66, v1
	s_wait_loadcnt_dscnt 0x0
	v_mul_f32_e32 v65, v65, v66
	s_cbranch_execz .LBB121_592
	s_branch .LBB121_593
.LBB121_591:
                                        ; implicit-def: $vgpr65
.LBB121_592:
	ds_load_b32 v65, v1
.LBB121_593:
	s_mov_b32 s1, exec_lo
	v_cmpx_ne_u32_e32 3, v0
	s_cbranch_execz .LBB121_597
; %bb.594:
	v_add_nc_u32_e32 v66, 0xf4, v6
	v_add3_u32 v67, 0, v6, 4
	v_mov_b32_e32 v68, v0
	s_mov_b32 s2, 0
.LBB121_595:                            ; =>This Inner Loop Header: Depth=1
	scratch_load_b32 v69, v67, off
	ds_load_b32 v70, v66
	v_dual_add_nc_u32 v68, 1, v68 :: v_dual_add_nc_u32 v66, 4, v66
	s_wait_xcnt 0x0
	v_add_nc_u32_e32 v67, 4, v67
	s_delay_alu instid0(VALU_DEP_2)
	v_cmp_lt_u32_e32 vcc_lo, 2, v68
	s_or_b32 s2, vcc_lo, s2
	s_wait_loadcnt_dscnt 0x0
	v_fmac_f32_e32 v65, v69, v70
	s_and_not1_b32 exec_lo, exec_lo, s2
	s_cbranch_execnz .LBB121_595
; %bb.596:
	s_or_b32 exec_lo, exec_lo, s2
.LBB121_597:
	s_delay_alu instid0(SALU_CYCLE_1)
	s_or_b32 exec_lo, exec_lo, s1
	v_mov_b32_e32 v66, 0
	ds_load_b32 v66, v66 offset:16
	s_wait_dscnt 0x0
	v_mul_f32_e32 v65, v65, v66
	scratch_store_b32 off, v65, off offset:16
.LBB121_598:
	s_wait_xcnt 0x0
	s_or_b32 exec_lo, exec_lo, s0
	scratch_load_b32 v65, off, off offset:20
	s_mov_b32 s0, exec_lo
	s_wait_loadcnt 0x0
	ds_store_b32 v1, v65
	s_wait_storecnt_dscnt 0x0
	s_barrier_signal -1
	s_barrier_wait -1
	s_wait_xcnt 0x0
	v_cmpx_gt_u32_e32 5, v0
	s_cbranch_execz .LBB121_608
; %bb.599:
	v_cmp_ne_u32_e32 vcc_lo, 1, v64
	s_cbranch_vccnz .LBB121_601
; %bb.600:
	scratch_load_b32 v65, v7, off
	ds_load_b32 v66, v1
	s_wait_loadcnt_dscnt 0x0
	v_mul_f32_e32 v65, v65, v66
	s_cbranch_execz .LBB121_602
	s_branch .LBB121_603
.LBB121_601:
                                        ; implicit-def: $vgpr65
.LBB121_602:
	ds_load_b32 v65, v1
.LBB121_603:
	s_mov_b32 s1, exec_lo
	v_cmpx_ne_u32_e32 4, v0
	s_cbranch_execz .LBB121_607
; %bb.604:
	v_add_nc_u32_e32 v66, 0xf4, v6
	v_add3_u32 v67, 0, v6, 4
	v_mov_b32_e32 v68, v0
	s_mov_b32 s2, 0
.LBB121_605:                            ; =>This Inner Loop Header: Depth=1
	scratch_load_b32 v69, v67, off
	ds_load_b32 v70, v66
	v_dual_add_nc_u32 v68, 1, v68 :: v_dual_add_nc_u32 v66, 4, v66
	s_wait_xcnt 0x0
	v_add_nc_u32_e32 v67, 4, v67
	s_delay_alu instid0(VALU_DEP_2)
	v_cmp_lt_u32_e32 vcc_lo, 3, v68
	s_or_b32 s2, vcc_lo, s2
	s_wait_loadcnt_dscnt 0x0
	v_fmac_f32_e32 v65, v69, v70
	s_and_not1_b32 exec_lo, exec_lo, s2
	s_cbranch_execnz .LBB121_605
; %bb.606:
	s_or_b32 exec_lo, exec_lo, s2
.LBB121_607:
	s_delay_alu instid0(SALU_CYCLE_1)
	s_or_b32 exec_lo, exec_lo, s1
	v_mov_b32_e32 v66, 0
	ds_load_b32 v66, v66 offset:20
	s_wait_dscnt 0x0
	v_mul_f32_e32 v65, v65, v66
	scratch_store_b32 off, v65, off offset:20
.LBB121_608:
	;; [unrolled: 59-line block ×41, first 2 shown]
	s_wait_xcnt 0x0
	s_or_b32 exec_lo, exec_lo, s0
	scratch_load_b32 v65, off, off offset:180
	s_mov_b32 s0, exec_lo
	s_wait_loadcnt 0x0
	ds_store_b32 v1, v65
	s_wait_storecnt_dscnt 0x0
	s_barrier_signal -1
	s_barrier_wait -1
	s_wait_xcnt 0x0
	v_cmpx_gt_u32_e32 45, v0
	s_cbranch_execz .LBB121_1008
; %bb.999:
	v_cmp_ne_u32_e32 vcc_lo, 1, v64
	s_cbranch_vccnz .LBB121_1001
; %bb.1000:
	scratch_load_b32 v65, v7, off
	ds_load_b32 v66, v1
	s_wait_loadcnt_dscnt 0x0
	v_mul_f32_e32 v65, v65, v66
	s_cbranch_execz .LBB121_1002
	s_branch .LBB121_1003
.LBB121_1001:
                                        ; implicit-def: $vgpr65
.LBB121_1002:
	ds_load_b32 v65, v1
.LBB121_1003:
	s_mov_b32 s1, exec_lo
	v_cmpx_ne_u32_e32 44, v0
	s_cbranch_execz .LBB121_1007
; %bb.1004:
	v_add_nc_u32_e32 v66, 0xf4, v6
	v_add3_u32 v67, 0, v6, 4
	v_mov_b32_e32 v68, v0
	s_mov_b32 s2, 0
.LBB121_1005:                           ; =>This Inner Loop Header: Depth=1
	scratch_load_b32 v69, v67, off
	ds_load_b32 v70, v66
	v_dual_add_nc_u32 v68, 1, v68 :: v_dual_add_nc_u32 v66, 4, v66
	s_wait_xcnt 0x0
	v_add_nc_u32_e32 v67, 4, v67
	s_delay_alu instid0(VALU_DEP_2)
	v_cmp_lt_u32_e32 vcc_lo, 43, v68
	s_or_b32 s2, vcc_lo, s2
	s_wait_loadcnt_dscnt 0x0
	v_fmac_f32_e32 v65, v69, v70
	s_and_not1_b32 exec_lo, exec_lo, s2
	s_cbranch_execnz .LBB121_1005
; %bb.1006:
	s_or_b32 exec_lo, exec_lo, s2
.LBB121_1007:
	s_delay_alu instid0(SALU_CYCLE_1)
	s_or_b32 exec_lo, exec_lo, s1
	v_mov_b32_e32 v66, 0
	ds_load_b32 v66, v66 offset:180
	s_wait_dscnt 0x0
	v_mul_f32_e32 v65, v65, v66
	scratch_store_b32 off, v65, off offset:180
.LBB121_1008:
	s_wait_xcnt 0x0
	s_or_b32 exec_lo, exec_lo, s0
	scratch_load_b32 v65, off, off offset:184
	s_mov_b32 s0, exec_lo
	s_wait_loadcnt 0x0
	ds_store_b32 v1, v65
	s_wait_storecnt_dscnt 0x0
	s_barrier_signal -1
	s_barrier_wait -1
	s_wait_xcnt 0x0
	v_cmpx_gt_u32_e32 46, v0
	s_cbranch_execz .LBB121_1018
; %bb.1009:
	v_cmp_ne_u32_e32 vcc_lo, 1, v64
	s_cbranch_vccnz .LBB121_1011
; %bb.1010:
	scratch_load_b32 v65, v7, off
	ds_load_b32 v66, v1
	s_wait_loadcnt_dscnt 0x0
	v_mul_f32_e32 v65, v65, v66
	s_cbranch_execz .LBB121_1012
	s_branch .LBB121_1013
.LBB121_1011:
                                        ; implicit-def: $vgpr65
.LBB121_1012:
	ds_load_b32 v65, v1
.LBB121_1013:
	s_mov_b32 s1, exec_lo
	v_cmpx_ne_u32_e32 45, v0
	s_cbranch_execz .LBB121_1017
; %bb.1014:
	v_add_nc_u32_e32 v66, 0xf4, v6
	v_add3_u32 v67, 0, v6, 4
	v_mov_b32_e32 v68, v0
	s_mov_b32 s2, 0
.LBB121_1015:                           ; =>This Inner Loop Header: Depth=1
	scratch_load_b32 v69, v67, off
	ds_load_b32 v70, v66
	v_dual_add_nc_u32 v68, 1, v68 :: v_dual_add_nc_u32 v66, 4, v66
	s_wait_xcnt 0x0
	v_add_nc_u32_e32 v67, 4, v67
	s_delay_alu instid0(VALU_DEP_2)
	v_cmp_lt_u32_e32 vcc_lo, 44, v68
	s_or_b32 s2, vcc_lo, s2
	s_wait_loadcnt_dscnt 0x0
	v_fmac_f32_e32 v65, v69, v70
	s_and_not1_b32 exec_lo, exec_lo, s2
	s_cbranch_execnz .LBB121_1015
; %bb.1016:
	s_or_b32 exec_lo, exec_lo, s2
.LBB121_1017:
	s_delay_alu instid0(SALU_CYCLE_1)
	s_or_b32 exec_lo, exec_lo, s1
	v_mov_b32_e32 v66, 0
	ds_load_b32 v66, v66 offset:184
	s_wait_dscnt 0x0
	v_mul_f32_e32 v65, v65, v66
	scratch_store_b32 off, v65, off offset:184
.LBB121_1018:
	;; [unrolled: 59-line block ×11, first 2 shown]
	s_wait_xcnt 0x0
	s_or_b32 exec_lo, exec_lo, s0
	scratch_load_b32 v65, off, off offset:224
	v_cmp_gt_u32_e64 s0, 56, v0
	s_wait_loadcnt 0x0
	ds_store_b32 v1, v65
	s_wait_storecnt_dscnt 0x0
	s_barrier_signal -1
	s_barrier_wait -1
	s_wait_xcnt 0x0
	s_and_saveexec_b32 s1, s0
	s_cbranch_execz .LBB121_1118
; %bb.1109:
	v_cmp_ne_u32_e32 vcc_lo, 1, v64
	s_cbranch_vccnz .LBB121_1111
; %bb.1110:
	scratch_load_b32 v65, v7, off
	ds_load_b32 v66, v1
	s_wait_loadcnt_dscnt 0x0
	v_mul_f32_e32 v65, v65, v66
	s_cbranch_execz .LBB121_1112
	s_branch .LBB121_1113
.LBB121_1111:
                                        ; implicit-def: $vgpr65
.LBB121_1112:
	ds_load_b32 v65, v1
.LBB121_1113:
	s_mov_b32 s2, exec_lo
	v_cmpx_ne_u32_e32 55, v0
	s_cbranch_execz .LBB121_1117
; %bb.1114:
	v_add_nc_u32_e32 v66, 0xf4, v6
	v_add3_u32 v67, 0, v6, 4
	v_mov_b32_e32 v68, v0
	s_mov_b32 s3, 0
.LBB121_1115:                           ; =>This Inner Loop Header: Depth=1
	scratch_load_b32 v69, v67, off
	ds_load_b32 v70, v66
	v_dual_add_nc_u32 v68, 1, v68 :: v_dual_add_nc_u32 v66, 4, v66
	s_wait_xcnt 0x0
	v_add_nc_u32_e32 v67, 4, v67
	s_delay_alu instid0(VALU_DEP_2)
	v_cmp_lt_u32_e32 vcc_lo, 54, v68
	s_or_b32 s3, vcc_lo, s3
	s_wait_loadcnt_dscnt 0x0
	v_fmac_f32_e32 v65, v69, v70
	s_and_not1_b32 exec_lo, exec_lo, s3
	s_cbranch_execnz .LBB121_1115
; %bb.1116:
	s_or_b32 exec_lo, exec_lo, s3
.LBB121_1117:
	s_delay_alu instid0(SALU_CYCLE_1)
	s_or_b32 exec_lo, exec_lo, s2
	v_mov_b32_e32 v66, 0
	ds_load_b32 v66, v66 offset:224
	s_wait_dscnt 0x0
	v_mul_f32_e32 v65, v65, v66
	scratch_store_b32 off, v65, off offset:224
.LBB121_1118:
	s_wait_xcnt 0x0
	s_or_b32 exec_lo, exec_lo, s1
	scratch_load_b32 v65, off, off offset:228
	s_mov_b32 s1, exec_lo
	s_wait_loadcnt 0x0
	ds_store_b32 v1, v65
	s_wait_storecnt_dscnt 0x0
	s_barrier_signal -1
	s_barrier_wait -1
	s_wait_xcnt 0x0
	v_cmpx_ne_u32_e32 57, v0
	s_cbranch_execz .LBB121_1128
; %bb.1119:
	v_cmp_ne_u32_e32 vcc_lo, 1, v64
	s_cbranch_vccnz .LBB121_1121
; %bb.1120:
	scratch_load_b32 v7, v7, off
	ds_load_b32 v64, v1
	s_wait_loadcnt_dscnt 0x0
	v_mul_f32_e32 v7, v7, v64
	s_cbranch_execz .LBB121_1122
	s_branch .LBB121_1123
.LBB121_1121:
                                        ; implicit-def: $vgpr7
.LBB121_1122:
	ds_load_b32 v7, v1
.LBB121_1123:
	s_and_saveexec_b32 s2, s0
	s_cbranch_execz .LBB121_1127
; %bb.1124:
	v_add_nc_u32_e32 v1, 0xf4, v6
	v_add3_u32 v6, 0, v6, 4
	s_mov_b32 s0, 0
.LBB121_1125:                           ; =>This Inner Loop Header: Depth=1
	scratch_load_b32 v64, v6, off
	ds_load_b32 v65, v1
	v_dual_add_nc_u32 v0, 1, v0 :: v_dual_add_nc_u32 v1, 4, v1
	s_wait_xcnt 0x0
	v_add_nc_u32_e32 v6, 4, v6
	s_delay_alu instid0(VALU_DEP_2)
	v_cmp_lt_u32_e32 vcc_lo, 55, v0
	s_or_b32 s0, vcc_lo, s0
	s_wait_loadcnt_dscnt 0x0
	v_fmac_f32_e32 v7, v64, v65
	s_and_not1_b32 exec_lo, exec_lo, s0
	s_cbranch_execnz .LBB121_1125
; %bb.1126:
	s_or_b32 exec_lo, exec_lo, s0
.LBB121_1127:
	s_delay_alu instid0(SALU_CYCLE_1)
	s_or_b32 exec_lo, exec_lo, s2
	v_mov_b32_e32 v0, 0
	ds_load_b32 v0, v0 offset:228
	s_wait_dscnt 0x0
	v_mul_f32_e32 v0, v7, v0
	scratch_store_b32 off, v0, off offset:228
.LBB121_1128:
	s_wait_xcnt 0x0
	s_or_b32 exec_lo, exec_lo, s1
.LBB121_1129:
	scratch_load_b32 v0, off, off
	s_wait_loadcnt 0x0
	flat_store_b32 v[2:3], v0
	scratch_load_b32 v0, off, off offset:4
	s_wait_loadcnt 0x0
	flat_store_b32 v[4:5], v0
	scratch_load_b32 v0, off, off offset:8
	s_wait_loadcnt 0x0
	flat_store_b32 v[174:175], v0
	scratch_load_b32 v0, off, off offset:12
	s_wait_loadcnt 0x0
	flat_store_b32 v[172:173], v0
	scratch_load_b32 v0, off, off offset:16
	s_wait_loadcnt 0x0
	flat_store_b32 v[170:171], v0
	scratch_load_b32 v0, off, off offset:20
	s_wait_loadcnt 0x0
	flat_store_b32 v[168:169], v0
	scratch_load_b32 v0, off, off offset:24
	s_wait_loadcnt 0x0
	flat_store_b32 v[166:167], v0
	scratch_load_b32 v0, off, off offset:28
	s_wait_loadcnt 0x0
	flat_store_b32 v[164:165], v0
	scratch_load_b32 v0, off, off offset:32
	s_wait_loadcnt 0x0
	flat_store_b32 v[162:163], v0
	scratch_load_b32 v0, off, off offset:36
	s_wait_loadcnt 0x0
	flat_store_b32 v[160:161], v0
	scratch_load_b32 v0, off, off offset:40
	s_wait_loadcnt 0x0
	flat_store_b32 v[158:159], v0
	scratch_load_b32 v0, off, off offset:44
	s_wait_loadcnt 0x0
	flat_store_b32 v[156:157], v0
	scratch_load_b32 v0, off, off offset:48
	s_wait_loadcnt 0x0
	flat_store_b32 v[154:155], v0
	scratch_load_b32 v0, off, off offset:52
	s_wait_loadcnt 0x0
	flat_store_b32 v[152:153], v0
	scratch_load_b32 v0, off, off offset:56
	s_wait_loadcnt 0x0
	flat_store_b32 v[150:151], v0
	scratch_load_b32 v0, off, off offset:60
	s_wait_loadcnt 0x0
	flat_store_b32 v[148:149], v0
	scratch_load_b32 v0, off, off offset:64
	s_wait_loadcnt 0x0
	flat_store_b32 v[146:147], v0
	scratch_load_b32 v0, off, off offset:68
	s_wait_loadcnt 0x0
	flat_store_b32 v[144:145], v0
	scratch_load_b32 v0, off, off offset:72
	s_wait_loadcnt 0x0
	flat_store_b32 v[142:143], v0
	scratch_load_b32 v0, off, off offset:76
	s_wait_loadcnt 0x0
	flat_store_b32 v[140:141], v0
	scratch_load_b32 v0, off, off offset:80
	s_wait_loadcnt 0x0
	flat_store_b32 v[138:139], v0
	scratch_load_b32 v0, off, off offset:84
	s_wait_loadcnt 0x0
	flat_store_b32 v[136:137], v0
	scratch_load_b32 v0, off, off offset:88
	s_wait_loadcnt 0x0
	flat_store_b32 v[134:135], v0
	scratch_load_b32 v0, off, off offset:92
	s_wait_loadcnt 0x0
	flat_store_b32 v[132:133], v0
	scratch_load_b32 v0, off, off offset:96
	s_wait_loadcnt 0x0
	flat_store_b32 v[130:131], v0
	scratch_load_b32 v0, off, off offset:100
	s_wait_loadcnt 0x0
	flat_store_b32 v[128:129], v0
	scratch_load_b32 v0, off, off offset:104
	s_wait_loadcnt 0x0
	flat_store_b32 v[126:127], v0
	scratch_load_b32 v0, off, off offset:108
	s_wait_loadcnt 0x0
	flat_store_b32 v[124:125], v0
	scratch_load_b32 v0, off, off offset:112
	s_wait_loadcnt 0x0
	flat_store_b32 v[122:123], v0
	scratch_load_b32 v0, off, off offset:116
	s_wait_loadcnt 0x0
	flat_store_b32 v[120:121], v0
	scratch_load_b32 v0, off, off offset:120
	s_wait_loadcnt 0x0
	flat_store_b32 v[62:63], v0
	scratch_load_b32 v0, off, off offset:124
	s_wait_loadcnt 0x0
	flat_store_b32 v[60:61], v0
	scratch_load_b32 v0, off, off offset:128
	s_wait_loadcnt 0x0
	flat_store_b32 v[58:59], v0
	scratch_load_b32 v0, off, off offset:132
	s_wait_loadcnt 0x0
	flat_store_b32 v[56:57], v0
	scratch_load_b32 v0, off, off offset:136
	s_wait_loadcnt 0x0
	flat_store_b32 v[54:55], v0
	scratch_load_b32 v0, off, off offset:140
	s_wait_loadcnt 0x0
	flat_store_b32 v[52:53], v0
	scratch_load_b32 v0, off, off offset:144
	s_wait_loadcnt 0x0
	flat_store_b32 v[50:51], v0
	scratch_load_b32 v0, off, off offset:148
	s_wait_loadcnt 0x0
	flat_store_b32 v[48:49], v0
	scratch_load_b32 v0, off, off offset:152
	s_wait_loadcnt 0x0
	flat_store_b32 v[46:47], v0
	scratch_load_b32 v0, off, off offset:156
	s_wait_loadcnt 0x0
	flat_store_b32 v[44:45], v0
	scratch_load_b32 v0, off, off offset:160
	s_wait_loadcnt 0x0
	flat_store_b32 v[42:43], v0
	scratch_load_b32 v0, off, off offset:164
	s_wait_loadcnt 0x0
	flat_store_b32 v[40:41], v0
	scratch_load_b32 v0, off, off offset:168
	s_wait_loadcnt 0x0
	flat_store_b32 v[38:39], v0
	scratch_load_b32 v0, off, off offset:172
	s_wait_loadcnt 0x0
	flat_store_b32 v[36:37], v0
	scratch_load_b32 v0, off, off offset:176
	s_wait_loadcnt 0x0
	flat_store_b32 v[34:35], v0
	scratch_load_b32 v0, off, off offset:180
	s_wait_loadcnt 0x0
	flat_store_b32 v[32:33], v0
	scratch_load_b32 v0, off, off offset:184
	s_wait_loadcnt 0x0
	flat_store_b32 v[30:31], v0
	scratch_load_b32 v0, off, off offset:188
	s_wait_loadcnt 0x0
	flat_store_b32 v[28:29], v0
	scratch_load_b32 v0, off, off offset:192
	s_wait_loadcnt 0x0
	flat_store_b32 v[26:27], v0
	scratch_load_b32 v0, off, off offset:196
	s_wait_loadcnt 0x0
	flat_store_b32 v[24:25], v0
	scratch_load_b32 v0, off, off offset:200
	s_wait_loadcnt 0x0
	flat_store_b32 v[22:23], v0
	scratch_load_b32 v0, off, off offset:204
	s_wait_loadcnt 0x0
	flat_store_b32 v[20:21], v0
	scratch_load_b32 v0, off, off offset:208
	s_wait_loadcnt 0x0
	flat_store_b32 v[18:19], v0
	scratch_load_b32 v0, off, off offset:212
	s_wait_loadcnt 0x0
	flat_store_b32 v[16:17], v0
	scratch_load_b32 v0, off, off offset:216
	s_wait_loadcnt 0x0
	flat_store_b32 v[14:15], v0
	scratch_load_b32 v0, off, off offset:220
	s_wait_loadcnt 0x0
	flat_store_b32 v[12:13], v0
	scratch_load_b32 v0, off, off offset:224
	s_wait_loadcnt 0x0
	flat_store_b32 v[10:11], v0
	scratch_load_b32 v0, off, off offset:228
	s_wait_loadcnt 0x0
	flat_store_b32 v[8:9], v0
.LBB121_1130:
	s_sendmsg sendmsg(MSG_DEALLOC_VGPRS)
	s_endpgm
	.section	.rodata,"a",@progbits
	.p2align	6, 0x0
	.amdhsa_kernel _ZN9rocsolver6v33100L18trti2_kernel_smallILi58EfPKPfEEv13rocblas_fill_17rocblas_diagonal_T1_iil
		.amdhsa_group_segment_fixed_size 472
		.amdhsa_private_segment_fixed_size 240
		.amdhsa_kernarg_size 32
		.amdhsa_user_sgpr_count 2
		.amdhsa_user_sgpr_dispatch_ptr 0
		.amdhsa_user_sgpr_queue_ptr 0
		.amdhsa_user_sgpr_kernarg_segment_ptr 1
		.amdhsa_user_sgpr_dispatch_id 0
		.amdhsa_user_sgpr_kernarg_preload_length 0
		.amdhsa_user_sgpr_kernarg_preload_offset 0
		.amdhsa_user_sgpr_private_segment_size 0
		.amdhsa_wavefront_size32 1
		.amdhsa_uses_dynamic_stack 0
		.amdhsa_enable_private_segment 1
		.amdhsa_system_sgpr_workgroup_id_x 1
		.amdhsa_system_sgpr_workgroup_id_y 0
		.amdhsa_system_sgpr_workgroup_id_z 0
		.amdhsa_system_sgpr_workgroup_info 0
		.amdhsa_system_vgpr_workitem_id 0
		.amdhsa_next_free_vgpr 176
		.amdhsa_next_free_sgpr 64
		.amdhsa_named_barrier_count 0
		.amdhsa_reserve_vcc 1
		.amdhsa_float_round_mode_32 0
		.amdhsa_float_round_mode_16_64 0
		.amdhsa_float_denorm_mode_32 3
		.amdhsa_float_denorm_mode_16_64 3
		.amdhsa_fp16_overflow 0
		.amdhsa_memory_ordered 1
		.amdhsa_forward_progress 1
		.amdhsa_inst_pref_size 255
		.amdhsa_round_robin_scheduling 0
		.amdhsa_exception_fp_ieee_invalid_op 0
		.amdhsa_exception_fp_denorm_src 0
		.amdhsa_exception_fp_ieee_div_zero 0
		.amdhsa_exception_fp_ieee_overflow 0
		.amdhsa_exception_fp_ieee_underflow 0
		.amdhsa_exception_fp_ieee_inexact 0
		.amdhsa_exception_int_div_zero 0
	.end_amdhsa_kernel
	.section	.text._ZN9rocsolver6v33100L18trti2_kernel_smallILi58EfPKPfEEv13rocblas_fill_17rocblas_diagonal_T1_iil,"axG",@progbits,_ZN9rocsolver6v33100L18trti2_kernel_smallILi58EfPKPfEEv13rocblas_fill_17rocblas_diagonal_T1_iil,comdat
.Lfunc_end121:
	.size	_ZN9rocsolver6v33100L18trti2_kernel_smallILi58EfPKPfEEv13rocblas_fill_17rocblas_diagonal_T1_iil, .Lfunc_end121-_ZN9rocsolver6v33100L18trti2_kernel_smallILi58EfPKPfEEv13rocblas_fill_17rocblas_diagonal_T1_iil
                                        ; -- End function
	.set _ZN9rocsolver6v33100L18trti2_kernel_smallILi58EfPKPfEEv13rocblas_fill_17rocblas_diagonal_T1_iil.num_vgpr, 176
	.set _ZN9rocsolver6v33100L18trti2_kernel_smallILi58EfPKPfEEv13rocblas_fill_17rocblas_diagonal_T1_iil.num_agpr, 0
	.set _ZN9rocsolver6v33100L18trti2_kernel_smallILi58EfPKPfEEv13rocblas_fill_17rocblas_diagonal_T1_iil.numbered_sgpr, 64
	.set _ZN9rocsolver6v33100L18trti2_kernel_smallILi58EfPKPfEEv13rocblas_fill_17rocblas_diagonal_T1_iil.num_named_barrier, 0
	.set _ZN9rocsolver6v33100L18trti2_kernel_smallILi58EfPKPfEEv13rocblas_fill_17rocblas_diagonal_T1_iil.private_seg_size, 240
	.set _ZN9rocsolver6v33100L18trti2_kernel_smallILi58EfPKPfEEv13rocblas_fill_17rocblas_diagonal_T1_iil.uses_vcc, 1
	.set _ZN9rocsolver6v33100L18trti2_kernel_smallILi58EfPKPfEEv13rocblas_fill_17rocblas_diagonal_T1_iil.uses_flat_scratch, 0
	.set _ZN9rocsolver6v33100L18trti2_kernel_smallILi58EfPKPfEEv13rocblas_fill_17rocblas_diagonal_T1_iil.has_dyn_sized_stack, 0
	.set _ZN9rocsolver6v33100L18trti2_kernel_smallILi58EfPKPfEEv13rocblas_fill_17rocblas_diagonal_T1_iil.has_recursion, 0
	.set _ZN9rocsolver6v33100L18trti2_kernel_smallILi58EfPKPfEEv13rocblas_fill_17rocblas_diagonal_T1_iil.has_indirect_call, 0
	.section	.AMDGPU.csdata,"",@progbits
; Kernel info:
; codeLenInByte = 33580
; TotalNumSgprs: 66
; NumVgprs: 176
; ScratchSize: 240
; MemoryBound: 0
; FloatMode: 240
; IeeeMode: 1
; LDSByteSize: 472 bytes/workgroup (compile time only)
; SGPRBlocks: 0
; VGPRBlocks: 10
; NumSGPRsForWavesPerEU: 66
; NumVGPRsForWavesPerEU: 176
; NamedBarCnt: 0
; Occupancy: 5
; WaveLimiterHint : 1
; COMPUTE_PGM_RSRC2:SCRATCH_EN: 1
; COMPUTE_PGM_RSRC2:USER_SGPR: 2
; COMPUTE_PGM_RSRC2:TRAP_HANDLER: 0
; COMPUTE_PGM_RSRC2:TGID_X_EN: 1
; COMPUTE_PGM_RSRC2:TGID_Y_EN: 0
; COMPUTE_PGM_RSRC2:TGID_Z_EN: 0
; COMPUTE_PGM_RSRC2:TIDIG_COMP_CNT: 0
	.section	.text._ZN9rocsolver6v33100L18trti2_kernel_smallILi59EfPKPfEEv13rocblas_fill_17rocblas_diagonal_T1_iil,"axG",@progbits,_ZN9rocsolver6v33100L18trti2_kernel_smallILi59EfPKPfEEv13rocblas_fill_17rocblas_diagonal_T1_iil,comdat
	.globl	_ZN9rocsolver6v33100L18trti2_kernel_smallILi59EfPKPfEEv13rocblas_fill_17rocblas_diagonal_T1_iil ; -- Begin function _ZN9rocsolver6v33100L18trti2_kernel_smallILi59EfPKPfEEv13rocblas_fill_17rocblas_diagonal_T1_iil
	.p2align	8
	.type	_ZN9rocsolver6v33100L18trti2_kernel_smallILi59EfPKPfEEv13rocblas_fill_17rocblas_diagonal_T1_iil,@function
_ZN9rocsolver6v33100L18trti2_kernel_smallILi59EfPKPfEEv13rocblas_fill_17rocblas_diagonal_T1_iil: ; @_ZN9rocsolver6v33100L18trti2_kernel_smallILi59EfPKPfEEv13rocblas_fill_17rocblas_diagonal_T1_iil
; %bb.0:
	s_mov_b32 s2, exec_lo
	v_cmpx_gt_u32_e32 59, v0
	s_cbranch_execz .LBB122_1150
; %bb.1:
	s_clause 0x1
	s_load_b64 s[8:9], s[0:1], 0x10
	s_load_b128 s[4:7], s[0:1], 0x0
	s_wait_xcnt 0x0
	s_bfe_u32 s0, ttmp6, 0x4000c
	s_and_b32 s1, ttmp6, 15
	s_add_co_i32 s0, s0, 1
	s_getreg_b32 s2, hwreg(HW_REG_IB_STS2, 6, 4)
	s_mul_i32 s0, ttmp9, s0
	v_dual_mov_b32 v7, 0 :: v_dual_lshlrev_b32 v6, 2, v0
	s_add_co_i32 s0, s1, s0
	v_mov_b32_e32 v122, -1.0
	s_wait_kmcnt 0x0
	s_ashr_i32 s1, s8, 31
	s_cmp_eq_u32 s2, 0
	v_add3_u32 v8, s9, s9, v0
	s_cselect_b32 s2, ttmp9, s0
	s_mov_b32 s0, s8
	s_ashr_i32 s3, s2, 31
	s_lshl_b64 s[0:1], s[0:1], 2
	s_lshl_b64 s[2:3], s[2:3], 3
	v_add_nc_u32_e32 v10, s9, v8
	s_add_nc_u64 s[2:3], s[6:7], s[2:3]
	v_ashrrev_i32_e32 v9, 31, v8
	s_load_b64 s[2:3], s[2:3], 0x0
	s_delay_alu instid0(VALU_DEP_2) | instskip(NEXT) | instid1(VALU_DEP_1)
	v_add_nc_u32_e32 v12, s9, v10
	v_add_nc_u32_e32 v14, s9, v12
	s_delay_alu instid0(VALU_DEP_1) | instskip(NEXT) | instid1(VALU_DEP_1)
	v_add_nc_u32_e32 v16, s9, v14
	v_dual_ashrrev_i32 v11, 31, v10 :: v_dual_add_nc_u32 v18, s9, v16
	v_ashrrev_i32_e32 v17, 31, v16
	s_wait_kmcnt 0x0
	s_add_nc_u64 s[2:3], s[2:3], s[0:1]
	s_mov_b32 s0, s9
	flat_load_b32 v1, v0, s[2:3] scale_offset
	v_add_nc_u64_e32 v[2:3], s[2:3], v[6:7]
	s_ashr_i32 s1, s9, 31
	v_dual_add_nc_u32 v20, s9, v18 :: v_dual_ashrrev_i32 v13, 31, v12
	v_ashrrev_i32_e32 v15, 31, v14
	v_ashrrev_i32_e32 v19, 31, v18
	s_cmp_lg_u32 s5, 0x84
	s_delay_alu instid0(VALU_DEP_4) | instskip(SKIP_4) | instid1(VALU_DEP_1)
	v_lshl_add_u64 v[4:5], s[0:1], 2, v[2:3]
	v_add_nc_u32_e32 v22, s9, v20
	s_cselect_b32 s6, -1, 0
	s_cmp_eq_u32 s5, 0x84
	s_movk_i32 s1, 0x84
	v_add_nc_u32_e32 v24, s9, v22
	s_delay_alu instid0(VALU_DEP_1) | instskip(NEXT) | instid1(VALU_DEP_1)
	v_add_nc_u32_e32 v26, s9, v24
	v_dual_add_nc_u32 v28, s9, v26 :: v_dual_ashrrev_i32 v21, 31, v20
	s_delay_alu instid0(VALU_DEP_1) | instskip(NEXT) | instid1(VALU_DEP_1)
	v_dual_ashrrev_i32 v23, 31, v22 :: v_dual_add_nc_u32 v30, s9, v28
	v_dual_ashrrev_i32 v29, 31, v28 :: v_dual_ashrrev_i32 v31, 31, v30
	v_dual_add_nc_u32 v32, s9, v30 :: v_dual_ashrrev_i32 v25, 31, v24
	s_delay_alu instid0(VALU_DEP_1) | instskip(NEXT) | instid1(VALU_DEP_1)
	v_dual_ashrrev_i32 v27, 31, v26 :: v_dual_add_nc_u32 v34, s9, v32
	v_add_nc_u32_e32 v36, s9, v34
	s_delay_alu instid0(VALU_DEP_1) | instskip(NEXT) | instid1(VALU_DEP_1)
	v_add_nc_u32_e32 v38, s9, v36
	v_dual_add_nc_u32 v40, s9, v38 :: v_dual_ashrrev_i32 v33, 31, v32
	s_delay_alu instid0(VALU_DEP_1) | instskip(NEXT) | instid1(VALU_DEP_1)
	v_dual_ashrrev_i32 v35, 31, v34 :: v_dual_add_nc_u32 v42, s9, v40
	v_dual_ashrrev_i32 v41, 31, v40 :: v_dual_ashrrev_i32 v43, 31, v42
	v_dual_add_nc_u32 v44, s9, v42 :: v_dual_ashrrev_i32 v37, 31, v36
	s_delay_alu instid0(VALU_DEP_1) | instskip(NEXT) | instid1(VALU_DEP_1)
	v_dual_ashrrev_i32 v39, 31, v38 :: v_dual_add_nc_u32 v46, s9, v44
	v_add_nc_u32_e32 v48, s9, v46
	s_delay_alu instid0(VALU_DEP_1) | instskip(NEXT) | instid1(VALU_DEP_1)
	v_add_nc_u32_e32 v50, s9, v48
	v_dual_add_nc_u32 v52, s9, v50 :: v_dual_ashrrev_i32 v45, 31, v44
	s_delay_alu instid0(VALU_DEP_1) | instskip(NEXT) | instid1(VALU_DEP_1)
	v_dual_ashrrev_i32 v47, 31, v46 :: v_dual_add_nc_u32 v54, s9, v52
	v_dual_ashrrev_i32 v53, 31, v52 :: v_dual_ashrrev_i32 v55, 31, v54
	v_dual_add_nc_u32 v56, s9, v54 :: v_dual_ashrrev_i32 v49, 31, v48
	s_delay_alu instid0(VALU_DEP_1) | instskip(NEXT) | instid1(VALU_DEP_1)
	v_dual_ashrrev_i32 v51, 31, v50 :: v_dual_add_nc_u32 v58, s9, v56
	v_add_nc_u32_e32 v60, s9, v58
	s_delay_alu instid0(VALU_DEP_1) | instskip(NEXT) | instid1(VALU_DEP_1)
	v_add_nc_u32_e32 v62, s9, v60
	v_dual_add_nc_u32 v64, s9, v62 :: v_dual_ashrrev_i32 v57, 31, v56
	s_delay_alu instid0(VALU_DEP_1) | instskip(NEXT) | instid1(VALU_DEP_1)
	v_dual_ashrrev_i32 v59, 31, v58 :: v_dual_add_nc_u32 v66, s9, v64
	v_dual_ashrrev_i32 v65, 31, v64 :: v_dual_ashrrev_i32 v67, 31, v66
	v_dual_add_nc_u32 v68, s9, v66 :: v_dual_ashrrev_i32 v61, 31, v60
	s_delay_alu instid0(VALU_DEP_1) | instskip(NEXT) | instid1(VALU_DEP_1)
	v_dual_ashrrev_i32 v63, 31, v62 :: v_dual_add_nc_u32 v70, s9, v68
	v_add_nc_u32_e32 v72, s9, v70
	s_delay_alu instid0(VALU_DEP_1) | instskip(NEXT) | instid1(VALU_DEP_1)
	v_add_nc_u32_e32 v74, s9, v72
	v_dual_add_nc_u32 v76, s9, v74 :: v_dual_ashrrev_i32 v69, 31, v68
	s_delay_alu instid0(VALU_DEP_1) | instskip(NEXT) | instid1(VALU_DEP_1)
	v_dual_ashrrev_i32 v71, 31, v70 :: v_dual_add_nc_u32 v78, s9, v76
	v_dual_ashrrev_i32 v77, 31, v76 :: v_dual_ashrrev_i32 v79, 31, v78
	v_dual_add_nc_u32 v80, s9, v78 :: v_dual_ashrrev_i32 v73, 31, v72
	s_delay_alu instid0(VALU_DEP_1) | instskip(NEXT) | instid1(VALU_DEP_1)
	v_dual_ashrrev_i32 v75, 31, v74 :: v_dual_add_nc_u32 v82, s9, v80
	v_add_nc_u32_e32 v84, s9, v82
	s_delay_alu instid0(VALU_DEP_1) | instskip(NEXT) | instid1(VALU_DEP_1)
	v_add_nc_u32_e32 v86, s9, v84
	v_dual_add_nc_u32 v88, s9, v86 :: v_dual_ashrrev_i32 v81, 31, v80
	s_delay_alu instid0(VALU_DEP_1) | instskip(NEXT) | instid1(VALU_DEP_1)
	v_dual_ashrrev_i32 v83, 31, v82 :: v_dual_add_nc_u32 v90, s9, v88
	v_dual_ashrrev_i32 v89, 31, v88 :: v_dual_ashrrev_i32 v91, 31, v90
	v_dual_add_nc_u32 v92, s9, v90 :: v_dual_ashrrev_i32 v85, 31, v84
	s_delay_alu instid0(VALU_DEP_1) | instskip(NEXT) | instid1(VALU_DEP_1)
	v_dual_ashrrev_i32 v87, 31, v86 :: v_dual_add_nc_u32 v94, s9, v92
	v_add_nc_u32_e32 v96, s9, v94
	s_delay_alu instid0(VALU_DEP_1) | instskip(NEXT) | instid1(VALU_DEP_1)
	v_add_nc_u32_e32 v98, s9, v96
	v_dual_add_nc_u32 v100, s9, v98 :: v_dual_ashrrev_i32 v93, 31, v92
	s_delay_alu instid0(VALU_DEP_1) | instskip(NEXT) | instid1(VALU_DEP_1)
	v_dual_ashrrev_i32 v95, 31, v94 :: v_dual_add_nc_u32 v102, s9, v100
	v_dual_ashrrev_i32 v101, 31, v100 :: v_dual_ashrrev_i32 v103, 31, v102
	v_dual_add_nc_u32 v104, s9, v102 :: v_dual_ashrrev_i32 v97, 31, v96
	s_delay_alu instid0(VALU_DEP_1) | instskip(NEXT) | instid1(VALU_DEP_1)
	v_dual_ashrrev_i32 v99, 31, v98 :: v_dual_add_nc_u32 v106, s9, v104
	v_add_nc_u32_e32 v108, s9, v106
	s_delay_alu instid0(VALU_DEP_1) | instskip(NEXT) | instid1(VALU_DEP_1)
	v_add_nc_u32_e32 v110, s9, v108
	v_dual_add_nc_u32 v112, s9, v110 :: v_dual_ashrrev_i32 v105, 31, v104
	s_delay_alu instid0(VALU_DEP_1) | instskip(NEXT) | instid1(VALU_DEP_1)
	v_dual_ashrrev_i32 v107, 31, v106 :: v_dual_add_nc_u32 v114, s9, v112
	v_dual_ashrrev_i32 v113, 31, v112 :: v_dual_ashrrev_i32 v115, 31, v114
	v_dual_add_nc_u32 v116, s9, v114 :: v_dual_ashrrev_i32 v109, 31, v108
	s_delay_alu instid0(VALU_DEP_1) | instskip(NEXT) | instid1(VALU_DEP_1)
	v_dual_ashrrev_i32 v111, 31, v110 :: v_dual_add_nc_u32 v118, s9, v116
	v_dual_ashrrev_i32 v117, 31, v116 :: v_dual_ashrrev_i32 v119, 31, v118
	v_add_nc_u32_e32 v120, s9, v118
	s_delay_alu instid0(VALU_DEP_1)
	v_ashrrev_i32_e32 v121, 31, v120
	s_wait_loadcnt_dscnt 0x0
	scratch_store_b32 off, v1, off
	flat_load_b32 v1, v[4:5]
	s_wait_loadcnt_dscnt 0x0
	scratch_store_b32 off, v1, off offset:4
	flat_load_b32 v1, v8, s[2:3] scale_offset
	s_wait_loadcnt_dscnt 0x0
	scratch_store_b32 off, v1, off offset:8
	flat_load_b32 v1, v10, s[2:3] scale_offset
	;; [unrolled: 3-line block ×57, first 2 shown]
	s_wait_loadcnt_dscnt 0x0
	scratch_store_b32 off, v1, off offset:232
	s_cbranch_scc1 .LBB122_3
; %bb.2:
	scratch_load_b32 v1, v0, off scale_offset
	s_wait_loadcnt 0x0
	v_div_scale_f32 v7, null, v1, v1, 1.0
	s_delay_alu instid0(VALU_DEP_1) | instskip(SKIP_1) | instid1(TRANS32_DEP_1)
	v_rcp_f32_e32 v122, v7
	v_nop
	v_fma_f32 v123, -v7, v122, 1.0
	s_delay_alu instid0(VALU_DEP_1) | instskip(SKIP_1) | instid1(VALU_DEP_1)
	v_fmac_f32_e32 v122, v123, v122
	v_div_scale_f32 v123, vcc_lo, 1.0, v1, 1.0
	v_mul_f32_e32 v124, v123, v122
	s_delay_alu instid0(VALU_DEP_1) | instskip(NEXT) | instid1(VALU_DEP_1)
	v_fma_f32 v125, -v7, v124, v123
	v_fmac_f32_e32 v124, v125, v122
	s_delay_alu instid0(VALU_DEP_1) | instskip(NEXT) | instid1(VALU_DEP_1)
	v_fma_f32 v7, -v7, v124, v123
	v_div_fmas_f32 v7, v7, v122, v124
	s_delay_alu instid0(VALU_DEP_1) | instskip(NEXT) | instid1(VALU_DEP_1)
	v_div_fixup_f32 v1, v7, v1, 1.0
	v_xor_b32_e32 v122, 0x80000000, v1
	scratch_store_b32 v0, v1, off scale_offset
.LBB122_3:
	s_wait_xcnt 0x0
	v_add_nc_u32_e32 v1, 0xf0, v6
	v_mov_b32_e32 v7, v6
	s_cmp_eq_u32 s4, 0x79
	s_mov_b32 s5, -1
	ds_store_b32 v6, v122
	s_cbranch_scc1 .LBB122_577
; %bb.4:
	scratch_load_b32 v122, off, off offset:228
	v_cmp_eq_u32_e64 s0, 58, v0
	s_movk_i32 s21, 0x44
	s_movk_i32 s22, 0x48
	;; [unrolled: 1-line block ×39, first 2 shown]
	s_wait_loadcnt 0x0
	ds_store_b32 v1, v122
	s_wait_storecnt_dscnt 0x0
	s_barrier_signal -1
	s_barrier_wait -1
	s_wait_xcnt 0x0
	s_and_saveexec_b32 s4, s0
	s_cbranch_execz .LBB122_10
; %bb.5:
	s_and_b32 vcc_lo, exec_lo, s6
	s_cbranch_vccz .LBB122_7
; %bb.6:
	scratch_load_b32 v122, v7, off
	ds_load_b32 v123, v1
	s_wait_loadcnt_dscnt 0x0
	v_mul_f32_e32 v122, v122, v123
	s_cbranch_execz .LBB122_8
	s_branch .LBB122_9
.LBB122_7:
                                        ; implicit-def: $vgpr122
	s_and_not1_b32 vcc_lo, exec_lo, s5
	s_cbranch_vccnz .LBB122_9
.LBB122_8:
	ds_load_b32 v122, v1
.LBB122_9:
	v_mov_b32_e32 v123, 0
	ds_load_b32 v123, v123 offset:228
	s_wait_dscnt 0x0
	v_mul_f32_e32 v122, v122, v123
	scratch_store_b32 off, v122, off offset:228
.LBB122_10:
	s_wait_xcnt 0x0
	s_or_b32 exec_lo, exec_lo, s4
	scratch_load_b32 v122, off, off offset:224
	s_mov_b32 s38, s1
	v_cmp_lt_u32_e64 s1, 56, v0
	s_or_b32 s4, 0, 4
	s_or_b32 s5, 0, 8
	;; [unrolled: 1-line block ×3, first 2 shown]
	s_mov_b32 s8, 16
	s_mov_b32 s9, 20
	;; [unrolled: 1-line block ×13, first 2 shown]
	s_wait_loadcnt 0x0
	ds_store_b32 v1, v122
	s_wait_storecnt_dscnt 0x0
	s_barrier_signal -1
	s_barrier_wait -1
	s_wait_xcnt 0x0
	s_and_saveexec_b32 s62, s1
	s_cbranch_execz .LBB122_16
; %bb.11:
	s_and_not1_b32 vcc_lo, exec_lo, s6
	s_cbranch_vccnz .LBB122_13
; %bb.12:
	scratch_load_b32 v122, v7, off
	ds_load_b32 v123, v1
	s_wait_loadcnt_dscnt 0x0
	v_mul_f32_e32 v122, v122, v123
	s_cbranch_execz .LBB122_14
	s_branch .LBB122_15
.LBB122_13:
                                        ; implicit-def: $vgpr122
.LBB122_14:
	ds_load_b32 v122, v1
.LBB122_15:
	scratch_load_b32 v123, off, off offset:228
	v_mov_b32_e32 v124, 0
	ds_load_2addr_b32 v[124:125], v124 offset0:56 offset1:117
	s_wait_loadcnt_dscnt 0x0
	v_fma_f32 v123, v123, v125, v122
	s_delay_alu instid0(VALU_DEP_1) | instskip(NEXT) | instid1(VALU_DEP_1)
	v_cndmask_b32_e64 v122, v122, v123, s0
	v_mul_f32_e32 v122, v122, v124
	scratch_store_b32 off, v122, off offset:224
.LBB122_16:
	s_wait_xcnt 0x0
	s_or_b32 exec_lo, exec_lo, s62
	scratch_load_b32 v122, off, off offset:220
	v_cmp_lt_u32_e64 s0, 55, v0
	s_wait_loadcnt 0x0
	ds_store_b32 v1, v122
	s_wait_storecnt_dscnt 0x0
	s_barrier_signal -1
	s_barrier_wait -1
	s_wait_xcnt 0x0
	s_and_saveexec_b32 s62, s0
	s_cbranch_execz .LBB122_26
; %bb.17:
	s_and_not1_b32 vcc_lo, exec_lo, s6
	s_cbranch_vccnz .LBB122_19
; %bb.18:
	scratch_load_b32 v122, v7, off
	ds_load_b32 v123, v1
	s_wait_loadcnt_dscnt 0x0
	v_mul_f32_e32 v122, v122, v123
	s_cbranch_execz .LBB122_20
	s_branch .LBB122_21
.LBB122_19:
                                        ; implicit-def: $vgpr122
.LBB122_20:
	ds_load_b32 v122, v1
.LBB122_21:
	s_and_saveexec_b32 s63, s1
	s_cbranch_execz .LBB122_25
; %bb.22:
	v_subrev_nc_u32_e32 v123, 56, v0
	s_movk_i32 s64, 0x1d0
	s_mov_b32 s1, 0
.LBB122_23:                             ; =>This Inner Loop Header: Depth=1
	scratch_load_b32 v124, off, s61
	v_dual_mov_b32 v125, s64 :: v_dual_add_nc_u32 v123, -1, v123
	s_add_co_i32 s64, s64, 4
	s_wait_xcnt 0x0
	s_add_co_i32 s61, s61, 4
	ds_load_b32 v125, v125
	v_cmp_eq_u32_e32 vcc_lo, 0, v123
	s_or_b32 s1, vcc_lo, s1
	s_wait_loadcnt_dscnt 0x0
	v_fmac_f32_e32 v122, v124, v125
	s_and_not1_b32 exec_lo, exec_lo, s1
	s_cbranch_execnz .LBB122_23
; %bb.24:
	s_or_b32 exec_lo, exec_lo, s1
.LBB122_25:
	s_delay_alu instid0(SALU_CYCLE_1)
	s_or_b32 exec_lo, exec_lo, s63
	v_mov_b32_e32 v123, 0
	ds_load_b32 v123, v123 offset:220
	s_wait_dscnt 0x0
	v_mul_f32_e32 v122, v122, v123
	scratch_store_b32 off, v122, off offset:220
.LBB122_26:
	s_wait_xcnt 0x0
	s_or_b32 exec_lo, exec_lo, s62
	scratch_load_b32 v122, off, off offset:216
	v_cmp_lt_u32_e64 s1, 54, v0
	s_wait_loadcnt 0x0
	ds_store_b32 v1, v122
	s_wait_storecnt_dscnt 0x0
	s_barrier_signal -1
	s_barrier_wait -1
	s_wait_xcnt 0x0
	s_and_saveexec_b32 s61, s1
	s_cbranch_execz .LBB122_36
; %bb.27:
	s_and_not1_b32 vcc_lo, exec_lo, s6
	s_cbranch_vccnz .LBB122_29
; %bb.28:
	scratch_load_b32 v122, v7, off
	ds_load_b32 v123, v1
	s_wait_loadcnt_dscnt 0x0
	v_mul_f32_e32 v122, v122, v123
	s_cbranch_execz .LBB122_30
	s_branch .LBB122_31
.LBB122_29:
                                        ; implicit-def: $vgpr122
.LBB122_30:
	ds_load_b32 v122, v1
.LBB122_31:
	s_and_saveexec_b32 s62, s0
	s_cbranch_execz .LBB122_35
; %bb.32:
	v_subrev_nc_u32_e32 v123, 55, v0
	s_movk_i32 s63, 0x1cc
	s_mov_b32 s0, 0
.LBB122_33:                             ; =>This Inner Loop Header: Depth=1
	scratch_load_b32 v124, off, s60
	v_dual_mov_b32 v125, s63 :: v_dual_add_nc_u32 v123, -1, v123
	s_add_co_i32 s63, s63, 4
	s_wait_xcnt 0x0
	s_add_co_i32 s60, s60, 4
	ds_load_b32 v125, v125
	v_cmp_eq_u32_e32 vcc_lo, 0, v123
	s_or_b32 s0, vcc_lo, s0
	s_wait_loadcnt_dscnt 0x0
	v_fmac_f32_e32 v122, v124, v125
	s_and_not1_b32 exec_lo, exec_lo, s0
	s_cbranch_execnz .LBB122_33
; %bb.34:
	s_or_b32 exec_lo, exec_lo, s0
.LBB122_35:
	s_delay_alu instid0(SALU_CYCLE_1)
	s_or_b32 exec_lo, exec_lo, s62
	v_mov_b32_e32 v123, 0
	ds_load_b32 v123, v123 offset:216
	s_wait_dscnt 0x0
	v_mul_f32_e32 v122, v122, v123
	scratch_store_b32 off, v122, off offset:216
.LBB122_36:
	;; [unrolled: 57-line block ×8, first 2 shown]
	s_wait_xcnt 0x0
	s_or_b32 exec_lo, exec_lo, s55
	scratch_load_b32 v122, off, off offset:188
	v_cmp_lt_u32_e64 s0, 47, v0
	s_wait_loadcnt 0x0
	ds_store_b32 v1, v122
	s_wait_storecnt_dscnt 0x0
	s_barrier_signal -1
	s_barrier_wait -1
	s_wait_xcnt 0x0
	s_and_saveexec_b32 s54, s0
	s_cbranch_execz .LBB122_106
; %bb.97:
	s_and_not1_b32 vcc_lo, exec_lo, s6
	s_cbranch_vccnz .LBB122_99
; %bb.98:
	scratch_load_b32 v122, v7, off
	ds_load_b32 v123, v1
	s_wait_loadcnt_dscnt 0x0
	v_mul_f32_e32 v122, v122, v123
	s_cbranch_execz .LBB122_100
	s_branch .LBB122_101
.LBB122_99:
                                        ; implicit-def: $vgpr122
.LBB122_100:
	ds_load_b32 v122, v1
.LBB122_101:
	s_and_saveexec_b32 s55, s1
	s_cbranch_execz .LBB122_105
; %bb.102:
	v_subrev_nc_u32_e32 v123, 48, v0
	s_movk_i32 s56, 0x1b0
	s_mov_b32 s1, 0
.LBB122_103:                            ; =>This Inner Loop Header: Depth=1
	scratch_load_b32 v124, off, s53
	v_dual_mov_b32 v125, s56 :: v_dual_add_nc_u32 v123, -1, v123
	s_add_co_i32 s56, s56, 4
	s_wait_xcnt 0x0
	s_add_co_i32 s53, s53, 4
	ds_load_b32 v125, v125
	v_cmp_eq_u32_e32 vcc_lo, 0, v123
	s_or_b32 s1, vcc_lo, s1
	s_wait_loadcnt_dscnt 0x0
	v_fmac_f32_e32 v122, v124, v125
	s_and_not1_b32 exec_lo, exec_lo, s1
	s_cbranch_execnz .LBB122_103
; %bb.104:
	s_or_b32 exec_lo, exec_lo, s1
.LBB122_105:
	s_delay_alu instid0(SALU_CYCLE_1)
	s_or_b32 exec_lo, exec_lo, s55
	v_mov_b32_e32 v123, 0
	ds_load_b32 v123, v123 offset:188
	s_wait_dscnt 0x0
	v_mul_f32_e32 v122, v122, v123
	scratch_store_b32 off, v122, off offset:188
.LBB122_106:
	s_wait_xcnt 0x0
	s_or_b32 exec_lo, exec_lo, s54
	scratch_load_b32 v122, off, off offset:184
	v_cmp_lt_u32_e64 s1, 46, v0
	s_wait_loadcnt 0x0
	ds_store_b32 v1, v122
	s_wait_storecnt_dscnt 0x0
	s_barrier_signal -1
	s_barrier_wait -1
	s_wait_xcnt 0x0
	s_and_saveexec_b32 s53, s1
	s_cbranch_execz .LBB122_116
; %bb.107:
	s_and_not1_b32 vcc_lo, exec_lo, s6
	s_cbranch_vccnz .LBB122_109
; %bb.108:
	scratch_load_b32 v122, v7, off
	ds_load_b32 v123, v1
	s_wait_loadcnt_dscnt 0x0
	v_mul_f32_e32 v122, v122, v123
	s_cbranch_execz .LBB122_110
	s_branch .LBB122_111
.LBB122_109:
                                        ; implicit-def: $vgpr122
.LBB122_110:
	ds_load_b32 v122, v1
.LBB122_111:
	s_and_saveexec_b32 s54, s0
	s_cbranch_execz .LBB122_115
; %bb.112:
	v_subrev_nc_u32_e32 v123, 47, v0
	s_movk_i32 s55, 0x1ac
	s_mov_b32 s0, 0
.LBB122_113:                            ; =>This Inner Loop Header: Depth=1
	scratch_load_b32 v124, off, s52
	v_dual_mov_b32 v125, s55 :: v_dual_add_nc_u32 v123, -1, v123
	s_add_co_i32 s55, s55, 4
	s_wait_xcnt 0x0
	s_add_co_i32 s52, s52, 4
	ds_load_b32 v125, v125
	v_cmp_eq_u32_e32 vcc_lo, 0, v123
	s_or_b32 s0, vcc_lo, s0
	s_wait_loadcnt_dscnt 0x0
	v_fmac_f32_e32 v122, v124, v125
	s_and_not1_b32 exec_lo, exec_lo, s0
	s_cbranch_execnz .LBB122_113
; %bb.114:
	s_or_b32 exec_lo, exec_lo, s0
.LBB122_115:
	s_delay_alu instid0(SALU_CYCLE_1)
	s_or_b32 exec_lo, exec_lo, s54
	v_mov_b32_e32 v123, 0
	ds_load_b32 v123, v123 offset:184
	s_wait_dscnt 0x0
	v_mul_f32_e32 v122, v122, v123
	scratch_store_b32 off, v122, off offset:184
.LBB122_116:
	;; [unrolled: 57-line block ×32, first 2 shown]
	s_wait_xcnt 0x0
	s_or_b32 exec_lo, exec_lo, s22
	scratch_load_b32 v122, off, off offset:60
	v_cmp_lt_u32_e64 s0, 15, v0
	s_wait_loadcnt 0x0
	ds_store_b32 v1, v122
	s_wait_storecnt_dscnt 0x0
	s_barrier_signal -1
	s_barrier_wait -1
	s_wait_xcnt 0x0
	s_and_saveexec_b32 s21, s0
	s_cbranch_execz .LBB122_426
; %bb.417:
	s_and_not1_b32 vcc_lo, exec_lo, s6
	s_cbranch_vccnz .LBB122_419
; %bb.418:
	scratch_load_b32 v122, v7, off
	ds_load_b32 v123, v1
	s_wait_loadcnt_dscnt 0x0
	v_mul_f32_e32 v122, v122, v123
	s_cbranch_execz .LBB122_420
	s_branch .LBB122_421
.LBB122_419:
                                        ; implicit-def: $vgpr122
.LBB122_420:
	ds_load_b32 v122, v1
.LBB122_421:
	s_and_saveexec_b32 s22, s1
	s_cbranch_execz .LBB122_425
; %bb.422:
	v_add_nc_u32_e32 v123, -16, v0
	s_movk_i32 s23, 0x130
	s_mov_b32 s1, 0
.LBB122_423:                            ; =>This Inner Loop Header: Depth=1
	scratch_load_b32 v124, off, s20
	v_dual_mov_b32 v125, s23 :: v_dual_add_nc_u32 v123, -1, v123
	s_add_co_i32 s23, s23, 4
	s_wait_xcnt 0x0
	s_add_co_i32 s20, s20, 4
	ds_load_b32 v125, v125
	v_cmp_eq_u32_e32 vcc_lo, 0, v123
	s_or_b32 s1, vcc_lo, s1
	s_wait_loadcnt_dscnt 0x0
	v_fmac_f32_e32 v122, v124, v125
	s_and_not1_b32 exec_lo, exec_lo, s1
	s_cbranch_execnz .LBB122_423
; %bb.424:
	s_or_b32 exec_lo, exec_lo, s1
.LBB122_425:
	s_delay_alu instid0(SALU_CYCLE_1)
	s_or_b32 exec_lo, exec_lo, s22
	v_mov_b32_e32 v123, 0
	ds_load_b32 v123, v123 offset:60
	s_wait_dscnt 0x0
	v_mul_f32_e32 v122, v122, v123
	scratch_store_b32 off, v122, off offset:60
.LBB122_426:
	s_wait_xcnt 0x0
	s_or_b32 exec_lo, exec_lo, s21
	scratch_load_b32 v122, off, off offset:56
	v_cmp_lt_u32_e64 s1, 14, v0
	s_wait_loadcnt 0x0
	ds_store_b32 v1, v122
	s_wait_storecnt_dscnt 0x0
	s_barrier_signal -1
	s_barrier_wait -1
	s_wait_xcnt 0x0
	s_and_saveexec_b32 s20, s1
	s_cbranch_execz .LBB122_436
; %bb.427:
	s_and_not1_b32 vcc_lo, exec_lo, s6
	s_cbranch_vccnz .LBB122_429
; %bb.428:
	scratch_load_b32 v122, v7, off
	ds_load_b32 v123, v1
	s_wait_loadcnt_dscnt 0x0
	v_mul_f32_e32 v122, v122, v123
	s_cbranch_execz .LBB122_430
	s_branch .LBB122_431
.LBB122_429:
                                        ; implicit-def: $vgpr122
.LBB122_430:
	ds_load_b32 v122, v1
.LBB122_431:
	s_and_saveexec_b32 s21, s0
	s_cbranch_execz .LBB122_435
; %bb.432:
	v_add_nc_u32_e32 v123, -15, v0
	s_movk_i32 s22, 0x12c
	s_mov_b32 s0, 0
.LBB122_433:                            ; =>This Inner Loop Header: Depth=1
	scratch_load_b32 v124, off, s19
	v_dual_mov_b32 v125, s22 :: v_dual_add_nc_u32 v123, -1, v123
	s_add_co_i32 s22, s22, 4
	s_wait_xcnt 0x0
	s_add_co_i32 s19, s19, 4
	ds_load_b32 v125, v125
	v_cmp_eq_u32_e32 vcc_lo, 0, v123
	s_or_b32 s0, vcc_lo, s0
	s_wait_loadcnt_dscnt 0x0
	v_fmac_f32_e32 v122, v124, v125
	s_and_not1_b32 exec_lo, exec_lo, s0
	s_cbranch_execnz .LBB122_433
; %bb.434:
	s_or_b32 exec_lo, exec_lo, s0
.LBB122_435:
	s_delay_alu instid0(SALU_CYCLE_1)
	s_or_b32 exec_lo, exec_lo, s21
	v_mov_b32_e32 v123, 0
	ds_load_b32 v123, v123 offset:56
	s_wait_dscnt 0x0
	v_mul_f32_e32 v122, v122, v123
	scratch_store_b32 off, v122, off offset:56
.LBB122_436:
	;; [unrolled: 57-line block ×15, first 2 shown]
	s_wait_xcnt 0x0
	s_or_b32 exec_lo, exec_lo, s7
	scratch_load_b32 v122, off, off
	s_mov_b32 s5, 0
	s_mov_b32 s1, exec_lo
	s_wait_loadcnt 0x0
	ds_store_b32 v1, v122
	s_wait_storecnt_dscnt 0x0
	s_barrier_signal -1
	s_barrier_wait -1
	s_wait_xcnt 0x0
	v_cmpx_ne_u32_e32 0, v0
	s_cbranch_execz .LBB122_576
; %bb.567:
	s_and_not1_b32 vcc_lo, exec_lo, s6
	s_cbranch_vccnz .LBB122_569
; %bb.568:
	scratch_load_b32 v122, v7, off
	ds_load_b32 v123, v1
	s_wait_loadcnt_dscnt 0x0
	v_mul_f32_e32 v122, v122, v123
	s_cbranch_execz .LBB122_570
	s_branch .LBB122_571
.LBB122_569:
                                        ; implicit-def: $vgpr122
.LBB122_570:
	ds_load_b32 v122, v1
.LBB122_571:
	s_and_saveexec_b32 s7, s0
	s_cbranch_execz .LBB122_575
; %bb.572:
	v_add_nc_u32_e32 v123, -1, v0
	s_movk_i32 s8, 0xf4
	s_mov_b32 s0, 0
.LBB122_573:                            ; =>This Inner Loop Header: Depth=1
	scratch_load_b32 v124, off, s4
	v_dual_mov_b32 v125, s8 :: v_dual_add_nc_u32 v123, -1, v123
	s_add_co_i32 s8, s8, 4
	s_wait_xcnt 0x0
	s_add_co_i32 s4, s4, 4
	ds_load_b32 v125, v125
	v_cmp_eq_u32_e32 vcc_lo, 0, v123
	s_or_b32 s0, vcc_lo, s0
	s_wait_loadcnt_dscnt 0x0
	v_fmac_f32_e32 v122, v124, v125
	s_and_not1_b32 exec_lo, exec_lo, s0
	s_cbranch_execnz .LBB122_573
; %bb.574:
	s_or_b32 exec_lo, exec_lo, s0
.LBB122_575:
	s_delay_alu instid0(SALU_CYCLE_1)
	s_or_b32 exec_lo, exec_lo, s7
	v_mov_b32_e32 v123, 0
	ds_load_b32 v123, v123
	s_wait_dscnt 0x0
	v_mul_f32_e32 v122, v122, v123
	scratch_store_b32 off, v122, off
.LBB122_576:
	s_wait_xcnt 0x0
	s_or_b32 exec_lo, exec_lo, s1
.LBB122_577:
	v_lshl_add_u64 v[176:177], v[8:9], 2, s[2:3]
	v_lshl_add_u64 v[174:175], v[10:11], 2, s[2:3]
	;; [unrolled: 1-line block ×57, first 2 shown]
	s_and_b32 vcc_lo, exec_lo, s5
	s_cbranch_vccz .LBB122_1149
; %bb.578:
	scratch_load_b32 v66, off, off offset:4
	v_cmp_eq_u32_e64 s0, 0, v0
	s_wait_loadcnt 0x0
	ds_store_b32 v1, v66
	s_wait_storecnt_dscnt 0x0
	s_barrier_signal -1
	s_barrier_wait -1
	s_wait_xcnt 0x0
	s_and_saveexec_b32 s1, s0
	s_cbranch_execz .LBB122_584
; %bb.579:
	s_and_b32 vcc_lo, exec_lo, s6
	s_cbranch_vccz .LBB122_581
; %bb.580:
	scratch_load_b32 v66, v7, off
	ds_load_b32 v67, v1
	s_wait_loadcnt_dscnt 0x0
	v_mul_f32_e32 v66, v66, v67
	s_cbranch_execz .LBB122_582
	s_branch .LBB122_583
.LBB122_581:
                                        ; implicit-def: $vgpr66
.LBB122_582:
	ds_load_b32 v66, v1
.LBB122_583:
	v_mov_b32_e32 v67, 0
	ds_load_b32 v67, v67 offset:4
	s_wait_dscnt 0x0
	v_mul_f32_e32 v66, v66, v67
	scratch_store_b32 off, v66, off offset:4
.LBB122_584:
	s_wait_xcnt 0x0
	s_or_b32 exec_lo, exec_lo, s1
	scratch_load_b32 v67, off, off offset:8
	v_cndmask_b32_e64 v66, 0, 1, s6
	s_mov_b32 s1, exec_lo
	s_wait_loadcnt 0x0
	ds_store_b32 v1, v67
	s_wait_storecnt_dscnt 0x0
	s_barrier_signal -1
	s_barrier_wait -1
	s_wait_xcnt 0x0
	v_cmpx_gt_u32_e32 2, v0
	s_cbranch_execz .LBB122_590
; %bb.585:
	s_and_not1_b32 vcc_lo, exec_lo, s6
	s_cbranch_vccnz .LBB122_587
; %bb.586:
	scratch_load_b32 v67, v7, off
	ds_load_b32 v68, v1
	s_wait_loadcnt_dscnt 0x0
	v_mul_f32_e32 v67, v67, v68
	s_cbranch_execz .LBB122_588
	s_branch .LBB122_589
.LBB122_587:
                                        ; implicit-def: $vgpr67
.LBB122_588:
	ds_load_b32 v67, v1
.LBB122_589:
	scratch_load_b32 v70, off, off offset:4
	v_mov_b32_e32 v68, 0
	ds_load_2addr_b32 v[68:69], v68 offset0:2 offset1:61
	s_wait_loadcnt_dscnt 0x0
	v_fma_f32 v69, v70, v69, v67
	s_delay_alu instid0(VALU_DEP_1) | instskip(NEXT) | instid1(VALU_DEP_1)
	v_cndmask_b32_e64 v67, v67, v69, s0
	v_mul_f32_e32 v67, v67, v68
	scratch_store_b32 off, v67, off offset:8
.LBB122_590:
	s_wait_xcnt 0x0
	s_or_b32 exec_lo, exec_lo, s1
	scratch_load_b32 v67, off, off offset:12
	s_mov_b32 s1, exec_lo
	s_wait_loadcnt 0x0
	ds_store_b32 v1, v67
	s_wait_storecnt_dscnt 0x0
	s_barrier_signal -1
	s_barrier_wait -1
	s_wait_xcnt 0x0
	v_cmpx_gt_u32_e32 3, v0
	s_cbranch_execz .LBB122_598
; %bb.591:
	v_cmp_ne_u32_e32 vcc_lo, 1, v66
	s_cbranch_vccnz .LBB122_593
; %bb.592:
	scratch_load_b32 v67, v7, off
	ds_load_b32 v68, v1
	s_wait_loadcnt_dscnt 0x0
	v_mul_f32_e32 v67, v67, v68
	s_cbranch_execz .LBB122_594
	s_branch .LBB122_595
.LBB122_593:
                                        ; implicit-def: $vgpr67
.LBB122_594:
	ds_load_b32 v67, v1
.LBB122_595:
	s_mov_b32 s2, exec_lo
	v_cmpx_ne_u32_e32 2, v0
	s_cbranch_execz .LBB122_597
; %bb.596:
	scratch_load_b32 v68, v7, off offset:4
	scratch_load_b32 v69, off, off offset:8
	ds_load_b32 v70, v1 offset:4
	v_mov_b32_e32 v71, 0
	ds_load_b32 v71, v71 offset:248
	s_wait_loadcnt_dscnt 0x101
	v_fmac_f32_e32 v67, v68, v70
	s_wait_loadcnt_dscnt 0x0
	s_delay_alu instid0(VALU_DEP_1) | instskip(NEXT) | instid1(VALU_DEP_1)
	v_fma_f32 v68, v69, v71, v67
	v_cndmask_b32_e64 v67, v67, v68, s0
.LBB122_597:
	s_or_b32 exec_lo, exec_lo, s2
	v_mov_b32_e32 v68, 0
	ds_load_b32 v68, v68 offset:12
	s_wait_dscnt 0x0
	v_mul_f32_e32 v67, v67, v68
	scratch_store_b32 off, v67, off offset:12
.LBB122_598:
	s_wait_xcnt 0x0
	s_or_b32 exec_lo, exec_lo, s1
	scratch_load_b32 v67, off, off offset:16
	s_mov_b32 s0, exec_lo
	s_wait_loadcnt 0x0
	ds_store_b32 v1, v67
	s_wait_storecnt_dscnt 0x0
	s_barrier_signal -1
	s_barrier_wait -1
	s_wait_xcnt 0x0
	v_cmpx_gt_u32_e32 4, v0
	s_cbranch_execz .LBB122_608
; %bb.599:
	v_cmp_ne_u32_e32 vcc_lo, 1, v66
	s_cbranch_vccnz .LBB122_601
; %bb.600:
	scratch_load_b32 v67, v7, off
	ds_load_b32 v68, v1
	s_wait_loadcnt_dscnt 0x0
	v_mul_f32_e32 v67, v67, v68
	s_cbranch_execz .LBB122_602
	s_branch .LBB122_603
.LBB122_601:
                                        ; implicit-def: $vgpr67
.LBB122_602:
	ds_load_b32 v67, v1
.LBB122_603:
	s_mov_b32 s1, exec_lo
	v_cmpx_ne_u32_e32 3, v0
	s_cbranch_execz .LBB122_607
; %bb.604:
	v_add_nc_u32_e32 v68, 0xf4, v6
	v_add3_u32 v69, 0, v6, 4
	v_mov_b32_e32 v70, v0
	s_mov_b32 s2, 0
.LBB122_605:                            ; =>This Inner Loop Header: Depth=1
	scratch_load_b32 v71, v69, off
	ds_load_b32 v72, v68
	v_dual_add_nc_u32 v70, 1, v70 :: v_dual_add_nc_u32 v68, 4, v68
	s_wait_xcnt 0x0
	v_add_nc_u32_e32 v69, 4, v69
	s_delay_alu instid0(VALU_DEP_2)
	v_cmp_lt_u32_e32 vcc_lo, 2, v70
	s_or_b32 s2, vcc_lo, s2
	s_wait_loadcnt_dscnt 0x0
	v_fmac_f32_e32 v67, v71, v72
	s_and_not1_b32 exec_lo, exec_lo, s2
	s_cbranch_execnz .LBB122_605
; %bb.606:
	s_or_b32 exec_lo, exec_lo, s2
.LBB122_607:
	s_delay_alu instid0(SALU_CYCLE_1)
	s_or_b32 exec_lo, exec_lo, s1
	v_mov_b32_e32 v68, 0
	ds_load_b32 v68, v68 offset:16
	s_wait_dscnt 0x0
	v_mul_f32_e32 v67, v67, v68
	scratch_store_b32 off, v67, off offset:16
.LBB122_608:
	s_wait_xcnt 0x0
	s_or_b32 exec_lo, exec_lo, s0
	scratch_load_b32 v67, off, off offset:20
	s_mov_b32 s0, exec_lo
	s_wait_loadcnt 0x0
	ds_store_b32 v1, v67
	s_wait_storecnt_dscnt 0x0
	s_barrier_signal -1
	s_barrier_wait -1
	s_wait_xcnt 0x0
	v_cmpx_gt_u32_e32 5, v0
	s_cbranch_execz .LBB122_618
; %bb.609:
	v_cmp_ne_u32_e32 vcc_lo, 1, v66
	s_cbranch_vccnz .LBB122_611
; %bb.610:
	scratch_load_b32 v67, v7, off
	ds_load_b32 v68, v1
	s_wait_loadcnt_dscnt 0x0
	v_mul_f32_e32 v67, v67, v68
	s_cbranch_execz .LBB122_612
	s_branch .LBB122_613
.LBB122_611:
                                        ; implicit-def: $vgpr67
.LBB122_612:
	ds_load_b32 v67, v1
.LBB122_613:
	s_mov_b32 s1, exec_lo
	v_cmpx_ne_u32_e32 4, v0
	s_cbranch_execz .LBB122_617
; %bb.614:
	v_add_nc_u32_e32 v68, 0xf4, v6
	v_add3_u32 v69, 0, v6, 4
	v_mov_b32_e32 v70, v0
	s_mov_b32 s2, 0
.LBB122_615:                            ; =>This Inner Loop Header: Depth=1
	scratch_load_b32 v71, v69, off
	ds_load_b32 v72, v68
	v_dual_add_nc_u32 v70, 1, v70 :: v_dual_add_nc_u32 v68, 4, v68
	s_wait_xcnt 0x0
	v_add_nc_u32_e32 v69, 4, v69
	s_delay_alu instid0(VALU_DEP_2)
	v_cmp_lt_u32_e32 vcc_lo, 3, v70
	s_or_b32 s2, vcc_lo, s2
	s_wait_loadcnt_dscnt 0x0
	v_fmac_f32_e32 v67, v71, v72
	s_and_not1_b32 exec_lo, exec_lo, s2
	s_cbranch_execnz .LBB122_615
; %bb.616:
	s_or_b32 exec_lo, exec_lo, s2
.LBB122_617:
	s_delay_alu instid0(SALU_CYCLE_1)
	s_or_b32 exec_lo, exec_lo, s1
	v_mov_b32_e32 v68, 0
	ds_load_b32 v68, v68 offset:20
	s_wait_dscnt 0x0
	v_mul_f32_e32 v67, v67, v68
	scratch_store_b32 off, v67, off offset:20
.LBB122_618:
	;; [unrolled: 59-line block ×40, first 2 shown]
	s_wait_xcnt 0x0
	s_or_b32 exec_lo, exec_lo, s0
	scratch_load_b32 v67, off, off offset:176
	s_mov_b32 s0, exec_lo
	s_wait_loadcnt 0x0
	ds_store_b32 v1, v67
	s_wait_storecnt_dscnt 0x0
	s_barrier_signal -1
	s_barrier_wait -1
	s_wait_xcnt 0x0
	v_cmpx_gt_u32_e32 44, v0
	s_cbranch_execz .LBB122_1008
; %bb.999:
	v_cmp_ne_u32_e32 vcc_lo, 1, v66
	s_cbranch_vccnz .LBB122_1001
; %bb.1000:
	scratch_load_b32 v67, v7, off
	ds_load_b32 v68, v1
	s_wait_loadcnt_dscnt 0x0
	v_mul_f32_e32 v67, v67, v68
	s_cbranch_execz .LBB122_1002
	s_branch .LBB122_1003
.LBB122_1001:
                                        ; implicit-def: $vgpr67
.LBB122_1002:
	ds_load_b32 v67, v1
.LBB122_1003:
	s_mov_b32 s1, exec_lo
	v_cmpx_ne_u32_e32 43, v0
	s_cbranch_execz .LBB122_1007
; %bb.1004:
	v_add_nc_u32_e32 v68, 0xf4, v6
	v_add3_u32 v69, 0, v6, 4
	v_mov_b32_e32 v70, v0
	s_mov_b32 s2, 0
.LBB122_1005:                           ; =>This Inner Loop Header: Depth=1
	scratch_load_b32 v71, v69, off
	ds_load_b32 v72, v68
	v_dual_add_nc_u32 v70, 1, v70 :: v_dual_add_nc_u32 v68, 4, v68
	s_wait_xcnt 0x0
	v_add_nc_u32_e32 v69, 4, v69
	s_delay_alu instid0(VALU_DEP_2)
	v_cmp_lt_u32_e32 vcc_lo, 42, v70
	s_or_b32 s2, vcc_lo, s2
	s_wait_loadcnt_dscnt 0x0
	v_fmac_f32_e32 v67, v71, v72
	s_and_not1_b32 exec_lo, exec_lo, s2
	s_cbranch_execnz .LBB122_1005
; %bb.1006:
	s_or_b32 exec_lo, exec_lo, s2
.LBB122_1007:
	s_delay_alu instid0(SALU_CYCLE_1)
	s_or_b32 exec_lo, exec_lo, s1
	v_mov_b32_e32 v68, 0
	ds_load_b32 v68, v68 offset:176
	s_wait_dscnt 0x0
	v_mul_f32_e32 v67, v67, v68
	scratch_store_b32 off, v67, off offset:176
.LBB122_1008:
	s_wait_xcnt 0x0
	s_or_b32 exec_lo, exec_lo, s0
	scratch_load_b32 v67, off, off offset:180
	s_mov_b32 s0, exec_lo
	s_wait_loadcnt 0x0
	ds_store_b32 v1, v67
	s_wait_storecnt_dscnt 0x0
	s_barrier_signal -1
	s_barrier_wait -1
	s_wait_xcnt 0x0
	v_cmpx_gt_u32_e32 45, v0
	s_cbranch_execz .LBB122_1018
; %bb.1009:
	v_cmp_ne_u32_e32 vcc_lo, 1, v66
	s_cbranch_vccnz .LBB122_1011
; %bb.1010:
	scratch_load_b32 v67, v7, off
	ds_load_b32 v68, v1
	s_wait_loadcnt_dscnt 0x0
	v_mul_f32_e32 v67, v67, v68
	s_cbranch_execz .LBB122_1012
	s_branch .LBB122_1013
.LBB122_1011:
                                        ; implicit-def: $vgpr67
.LBB122_1012:
	ds_load_b32 v67, v1
.LBB122_1013:
	s_mov_b32 s1, exec_lo
	v_cmpx_ne_u32_e32 44, v0
	s_cbranch_execz .LBB122_1017
; %bb.1014:
	v_add_nc_u32_e32 v68, 0xf4, v6
	v_add3_u32 v69, 0, v6, 4
	v_mov_b32_e32 v70, v0
	s_mov_b32 s2, 0
.LBB122_1015:                           ; =>This Inner Loop Header: Depth=1
	scratch_load_b32 v71, v69, off
	ds_load_b32 v72, v68
	v_dual_add_nc_u32 v70, 1, v70 :: v_dual_add_nc_u32 v68, 4, v68
	s_wait_xcnt 0x0
	v_add_nc_u32_e32 v69, 4, v69
	s_delay_alu instid0(VALU_DEP_2)
	v_cmp_lt_u32_e32 vcc_lo, 43, v70
	s_or_b32 s2, vcc_lo, s2
	s_wait_loadcnt_dscnt 0x0
	v_fmac_f32_e32 v67, v71, v72
	s_and_not1_b32 exec_lo, exec_lo, s2
	s_cbranch_execnz .LBB122_1015
; %bb.1016:
	s_or_b32 exec_lo, exec_lo, s2
.LBB122_1017:
	s_delay_alu instid0(SALU_CYCLE_1)
	s_or_b32 exec_lo, exec_lo, s1
	v_mov_b32_e32 v68, 0
	ds_load_b32 v68, v68 offset:180
	s_wait_dscnt 0x0
	v_mul_f32_e32 v67, v67, v68
	scratch_store_b32 off, v67, off offset:180
.LBB122_1018:
	s_wait_xcnt 0x0
	s_or_b32 exec_lo, exec_lo, s0
	scratch_load_b32 v67, off, off offset:184
	s_mov_b32 s0, exec_lo
	s_wait_loadcnt 0x0
	ds_store_b32 v1, v67
	s_wait_storecnt_dscnt 0x0
	s_barrier_signal -1
	s_barrier_wait -1
	s_wait_xcnt 0x0
	v_cmpx_gt_u32_e32 46, v0
	s_cbranch_execz .LBB122_1028
; %bb.1019:
	v_cmp_ne_u32_e32 vcc_lo, 1, v66
	s_cbranch_vccnz .LBB122_1021
; %bb.1020:
	scratch_load_b32 v67, v7, off
	ds_load_b32 v68, v1
	s_wait_loadcnt_dscnt 0x0
	v_mul_f32_e32 v67, v67, v68
	s_cbranch_execz .LBB122_1022
	s_branch .LBB122_1023
.LBB122_1021:
                                        ; implicit-def: $vgpr67
.LBB122_1022:
	ds_load_b32 v67, v1
.LBB122_1023:
	s_mov_b32 s1, exec_lo
	v_cmpx_ne_u32_e32 45, v0
	s_cbranch_execz .LBB122_1027
; %bb.1024:
	v_add_nc_u32_e32 v68, 0xf4, v6
	v_add3_u32 v69, 0, v6, 4
	v_mov_b32_e32 v70, v0
	s_mov_b32 s2, 0
.LBB122_1025:                           ; =>This Inner Loop Header: Depth=1
	scratch_load_b32 v71, v69, off
	ds_load_b32 v72, v68
	v_dual_add_nc_u32 v70, 1, v70 :: v_dual_add_nc_u32 v68, 4, v68
	s_wait_xcnt 0x0
	v_add_nc_u32_e32 v69, 4, v69
	s_delay_alu instid0(VALU_DEP_2)
	v_cmp_lt_u32_e32 vcc_lo, 44, v70
	s_or_b32 s2, vcc_lo, s2
	s_wait_loadcnt_dscnt 0x0
	v_fmac_f32_e32 v67, v71, v72
	s_and_not1_b32 exec_lo, exec_lo, s2
	s_cbranch_execnz .LBB122_1025
; %bb.1026:
	s_or_b32 exec_lo, exec_lo, s2
.LBB122_1027:
	s_delay_alu instid0(SALU_CYCLE_1)
	s_or_b32 exec_lo, exec_lo, s1
	v_mov_b32_e32 v68, 0
	ds_load_b32 v68, v68 offset:184
	s_wait_dscnt 0x0
	v_mul_f32_e32 v67, v67, v68
	scratch_store_b32 off, v67, off offset:184
.LBB122_1028:
	s_wait_xcnt 0x0
	s_or_b32 exec_lo, exec_lo, s0
	scratch_load_b32 v67, off, off offset:188
	s_mov_b32 s0, exec_lo
	s_wait_loadcnt 0x0
	ds_store_b32 v1, v67
	s_wait_storecnt_dscnt 0x0
	s_barrier_signal -1
	s_barrier_wait -1
	s_wait_xcnt 0x0
	v_cmpx_gt_u32_e32 47, v0
	s_cbranch_execz .LBB122_1038
; %bb.1029:
	v_cmp_ne_u32_e32 vcc_lo, 1, v66
	s_cbranch_vccnz .LBB122_1031
; %bb.1030:
	scratch_load_b32 v67, v7, off
	ds_load_b32 v68, v1
	s_wait_loadcnt_dscnt 0x0
	v_mul_f32_e32 v67, v67, v68
	s_cbranch_execz .LBB122_1032
	s_branch .LBB122_1033
.LBB122_1031:
                                        ; implicit-def: $vgpr67
.LBB122_1032:
	ds_load_b32 v67, v1
.LBB122_1033:
	s_mov_b32 s1, exec_lo
	v_cmpx_ne_u32_e32 46, v0
	s_cbranch_execz .LBB122_1037
; %bb.1034:
	v_add_nc_u32_e32 v68, 0xf4, v6
	v_add3_u32 v69, 0, v6, 4
	v_mov_b32_e32 v70, v0
	s_mov_b32 s2, 0
.LBB122_1035:                           ; =>This Inner Loop Header: Depth=1
	scratch_load_b32 v71, v69, off
	ds_load_b32 v72, v68
	v_dual_add_nc_u32 v70, 1, v70 :: v_dual_add_nc_u32 v68, 4, v68
	s_wait_xcnt 0x0
	v_add_nc_u32_e32 v69, 4, v69
	s_delay_alu instid0(VALU_DEP_2)
	v_cmp_lt_u32_e32 vcc_lo, 45, v70
	s_or_b32 s2, vcc_lo, s2
	s_wait_loadcnt_dscnt 0x0
	v_fmac_f32_e32 v67, v71, v72
	s_and_not1_b32 exec_lo, exec_lo, s2
	s_cbranch_execnz .LBB122_1035
; %bb.1036:
	s_or_b32 exec_lo, exec_lo, s2
.LBB122_1037:
	s_delay_alu instid0(SALU_CYCLE_1)
	s_or_b32 exec_lo, exec_lo, s1
	v_mov_b32_e32 v68, 0
	ds_load_b32 v68, v68 offset:188
	s_wait_dscnt 0x0
	v_mul_f32_e32 v67, v67, v68
	scratch_store_b32 off, v67, off offset:188
.LBB122_1038:
	s_wait_xcnt 0x0
	s_or_b32 exec_lo, exec_lo, s0
	scratch_load_b32 v67, off, off offset:192
	s_mov_b32 s0, exec_lo
	s_wait_loadcnt 0x0
	ds_store_b32 v1, v67
	s_wait_storecnt_dscnt 0x0
	s_barrier_signal -1
	s_barrier_wait -1
	s_wait_xcnt 0x0
	v_cmpx_gt_u32_e32 48, v0
	s_cbranch_execz .LBB122_1048
; %bb.1039:
	v_cmp_ne_u32_e32 vcc_lo, 1, v66
	s_cbranch_vccnz .LBB122_1041
; %bb.1040:
	scratch_load_b32 v67, v7, off
	ds_load_b32 v68, v1
	s_wait_loadcnt_dscnt 0x0
	v_mul_f32_e32 v67, v67, v68
	s_cbranch_execz .LBB122_1042
	s_branch .LBB122_1043
.LBB122_1041:
                                        ; implicit-def: $vgpr67
.LBB122_1042:
	ds_load_b32 v67, v1
.LBB122_1043:
	s_mov_b32 s1, exec_lo
	v_cmpx_ne_u32_e32 47, v0
	s_cbranch_execz .LBB122_1047
; %bb.1044:
	v_add_nc_u32_e32 v68, 0xf4, v6
	v_add3_u32 v69, 0, v6, 4
	v_mov_b32_e32 v70, v0
	s_mov_b32 s2, 0
.LBB122_1045:                           ; =>This Inner Loop Header: Depth=1
	scratch_load_b32 v71, v69, off
	ds_load_b32 v72, v68
	v_dual_add_nc_u32 v70, 1, v70 :: v_dual_add_nc_u32 v68, 4, v68
	s_wait_xcnt 0x0
	v_add_nc_u32_e32 v69, 4, v69
	s_delay_alu instid0(VALU_DEP_2)
	v_cmp_lt_u32_e32 vcc_lo, 46, v70
	s_or_b32 s2, vcc_lo, s2
	s_wait_loadcnt_dscnt 0x0
	v_fmac_f32_e32 v67, v71, v72
	s_and_not1_b32 exec_lo, exec_lo, s2
	s_cbranch_execnz .LBB122_1045
; %bb.1046:
	s_or_b32 exec_lo, exec_lo, s2
.LBB122_1047:
	s_delay_alu instid0(SALU_CYCLE_1)
	s_or_b32 exec_lo, exec_lo, s1
	v_mov_b32_e32 v68, 0
	ds_load_b32 v68, v68 offset:192
	s_wait_dscnt 0x0
	v_mul_f32_e32 v67, v67, v68
	scratch_store_b32 off, v67, off offset:192
.LBB122_1048:
	s_wait_xcnt 0x0
	s_or_b32 exec_lo, exec_lo, s0
	scratch_load_b32 v67, off, off offset:196
	s_mov_b32 s0, exec_lo
	s_wait_loadcnt 0x0
	ds_store_b32 v1, v67
	s_wait_storecnt_dscnt 0x0
	s_barrier_signal -1
	s_barrier_wait -1
	s_wait_xcnt 0x0
	v_cmpx_gt_u32_e32 49, v0
	s_cbranch_execz .LBB122_1058
; %bb.1049:
	v_cmp_ne_u32_e32 vcc_lo, 1, v66
	s_cbranch_vccnz .LBB122_1051
; %bb.1050:
	scratch_load_b32 v67, v7, off
	ds_load_b32 v68, v1
	s_wait_loadcnt_dscnt 0x0
	v_mul_f32_e32 v67, v67, v68
	s_cbranch_execz .LBB122_1052
	s_branch .LBB122_1053
.LBB122_1051:
                                        ; implicit-def: $vgpr67
.LBB122_1052:
	ds_load_b32 v67, v1
.LBB122_1053:
	s_mov_b32 s1, exec_lo
	v_cmpx_ne_u32_e32 48, v0
	s_cbranch_execz .LBB122_1057
; %bb.1054:
	v_add_nc_u32_e32 v68, 0xf4, v6
	v_add3_u32 v69, 0, v6, 4
	v_mov_b32_e32 v70, v0
	s_mov_b32 s2, 0
.LBB122_1055:                           ; =>This Inner Loop Header: Depth=1
	scratch_load_b32 v71, v69, off
	ds_load_b32 v72, v68
	v_dual_add_nc_u32 v70, 1, v70 :: v_dual_add_nc_u32 v68, 4, v68
	s_wait_xcnt 0x0
	v_add_nc_u32_e32 v69, 4, v69
	s_delay_alu instid0(VALU_DEP_2)
	v_cmp_lt_u32_e32 vcc_lo, 47, v70
	s_or_b32 s2, vcc_lo, s2
	s_wait_loadcnt_dscnt 0x0
	v_fmac_f32_e32 v67, v71, v72
	s_and_not1_b32 exec_lo, exec_lo, s2
	s_cbranch_execnz .LBB122_1055
; %bb.1056:
	s_or_b32 exec_lo, exec_lo, s2
.LBB122_1057:
	s_delay_alu instid0(SALU_CYCLE_1)
	s_or_b32 exec_lo, exec_lo, s1
	v_mov_b32_e32 v68, 0
	ds_load_b32 v68, v68 offset:196
	s_wait_dscnt 0x0
	v_mul_f32_e32 v67, v67, v68
	scratch_store_b32 off, v67, off offset:196
.LBB122_1058:
	s_wait_xcnt 0x0
	s_or_b32 exec_lo, exec_lo, s0
	scratch_load_b32 v67, off, off offset:200
	s_mov_b32 s0, exec_lo
	s_wait_loadcnt 0x0
	ds_store_b32 v1, v67
	s_wait_storecnt_dscnt 0x0
	s_barrier_signal -1
	s_barrier_wait -1
	s_wait_xcnt 0x0
	v_cmpx_gt_u32_e32 50, v0
	s_cbranch_execz .LBB122_1068
; %bb.1059:
	v_cmp_ne_u32_e32 vcc_lo, 1, v66
	s_cbranch_vccnz .LBB122_1061
; %bb.1060:
	scratch_load_b32 v67, v7, off
	ds_load_b32 v68, v1
	s_wait_loadcnt_dscnt 0x0
	v_mul_f32_e32 v67, v67, v68
	s_cbranch_execz .LBB122_1062
	s_branch .LBB122_1063
.LBB122_1061:
                                        ; implicit-def: $vgpr67
.LBB122_1062:
	ds_load_b32 v67, v1
.LBB122_1063:
	s_mov_b32 s1, exec_lo
	v_cmpx_ne_u32_e32 49, v0
	s_cbranch_execz .LBB122_1067
; %bb.1064:
	v_add_nc_u32_e32 v68, 0xf4, v6
	v_add3_u32 v69, 0, v6, 4
	v_mov_b32_e32 v70, v0
	s_mov_b32 s2, 0
.LBB122_1065:                           ; =>This Inner Loop Header: Depth=1
	scratch_load_b32 v71, v69, off
	ds_load_b32 v72, v68
	v_dual_add_nc_u32 v70, 1, v70 :: v_dual_add_nc_u32 v68, 4, v68
	s_wait_xcnt 0x0
	v_add_nc_u32_e32 v69, 4, v69
	s_delay_alu instid0(VALU_DEP_2)
	v_cmp_lt_u32_e32 vcc_lo, 48, v70
	s_or_b32 s2, vcc_lo, s2
	s_wait_loadcnt_dscnt 0x0
	v_fmac_f32_e32 v67, v71, v72
	s_and_not1_b32 exec_lo, exec_lo, s2
	s_cbranch_execnz .LBB122_1065
; %bb.1066:
	s_or_b32 exec_lo, exec_lo, s2
.LBB122_1067:
	s_delay_alu instid0(SALU_CYCLE_1)
	s_or_b32 exec_lo, exec_lo, s1
	v_mov_b32_e32 v68, 0
	ds_load_b32 v68, v68 offset:200
	s_wait_dscnt 0x0
	v_mul_f32_e32 v67, v67, v68
	scratch_store_b32 off, v67, off offset:200
.LBB122_1068:
	s_wait_xcnt 0x0
	s_or_b32 exec_lo, exec_lo, s0
	scratch_load_b32 v67, off, off offset:204
	s_mov_b32 s0, exec_lo
	s_wait_loadcnt 0x0
	ds_store_b32 v1, v67
	s_wait_storecnt_dscnt 0x0
	s_barrier_signal -1
	s_barrier_wait -1
	s_wait_xcnt 0x0
	v_cmpx_gt_u32_e32 51, v0
	s_cbranch_execz .LBB122_1078
; %bb.1069:
	v_cmp_ne_u32_e32 vcc_lo, 1, v66
	s_cbranch_vccnz .LBB122_1071
; %bb.1070:
	scratch_load_b32 v67, v7, off
	ds_load_b32 v68, v1
	s_wait_loadcnt_dscnt 0x0
	v_mul_f32_e32 v67, v67, v68
	s_cbranch_execz .LBB122_1072
	s_branch .LBB122_1073
.LBB122_1071:
                                        ; implicit-def: $vgpr67
.LBB122_1072:
	ds_load_b32 v67, v1
.LBB122_1073:
	s_mov_b32 s1, exec_lo
	v_cmpx_ne_u32_e32 50, v0
	s_cbranch_execz .LBB122_1077
; %bb.1074:
	v_add_nc_u32_e32 v68, 0xf4, v6
	v_add3_u32 v69, 0, v6, 4
	v_mov_b32_e32 v70, v0
	s_mov_b32 s2, 0
.LBB122_1075:                           ; =>This Inner Loop Header: Depth=1
	scratch_load_b32 v71, v69, off
	ds_load_b32 v72, v68
	v_dual_add_nc_u32 v70, 1, v70 :: v_dual_add_nc_u32 v68, 4, v68
	s_wait_xcnt 0x0
	v_add_nc_u32_e32 v69, 4, v69
	s_delay_alu instid0(VALU_DEP_2)
	v_cmp_lt_u32_e32 vcc_lo, 49, v70
	s_or_b32 s2, vcc_lo, s2
	s_wait_loadcnt_dscnt 0x0
	v_fmac_f32_e32 v67, v71, v72
	s_and_not1_b32 exec_lo, exec_lo, s2
	s_cbranch_execnz .LBB122_1075
; %bb.1076:
	s_or_b32 exec_lo, exec_lo, s2
.LBB122_1077:
	s_delay_alu instid0(SALU_CYCLE_1)
	s_or_b32 exec_lo, exec_lo, s1
	v_mov_b32_e32 v68, 0
	ds_load_b32 v68, v68 offset:204
	s_wait_dscnt 0x0
	v_mul_f32_e32 v67, v67, v68
	scratch_store_b32 off, v67, off offset:204
.LBB122_1078:
	s_wait_xcnt 0x0
	s_or_b32 exec_lo, exec_lo, s0
	scratch_load_b32 v67, off, off offset:208
	s_mov_b32 s0, exec_lo
	s_wait_loadcnt 0x0
	ds_store_b32 v1, v67
	s_wait_storecnt_dscnt 0x0
	s_barrier_signal -1
	s_barrier_wait -1
	s_wait_xcnt 0x0
	v_cmpx_gt_u32_e32 52, v0
	s_cbranch_execz .LBB122_1088
; %bb.1079:
	v_cmp_ne_u32_e32 vcc_lo, 1, v66
	s_cbranch_vccnz .LBB122_1081
; %bb.1080:
	scratch_load_b32 v67, v7, off
	ds_load_b32 v68, v1
	s_wait_loadcnt_dscnt 0x0
	v_mul_f32_e32 v67, v67, v68
	s_cbranch_execz .LBB122_1082
	s_branch .LBB122_1083
.LBB122_1081:
                                        ; implicit-def: $vgpr67
.LBB122_1082:
	ds_load_b32 v67, v1
.LBB122_1083:
	s_mov_b32 s1, exec_lo
	v_cmpx_ne_u32_e32 51, v0
	s_cbranch_execz .LBB122_1087
; %bb.1084:
	v_add_nc_u32_e32 v68, 0xf4, v6
	v_add3_u32 v69, 0, v6, 4
	v_mov_b32_e32 v70, v0
	s_mov_b32 s2, 0
.LBB122_1085:                           ; =>This Inner Loop Header: Depth=1
	scratch_load_b32 v71, v69, off
	ds_load_b32 v72, v68
	v_dual_add_nc_u32 v70, 1, v70 :: v_dual_add_nc_u32 v68, 4, v68
	s_wait_xcnt 0x0
	v_add_nc_u32_e32 v69, 4, v69
	s_delay_alu instid0(VALU_DEP_2)
	v_cmp_lt_u32_e32 vcc_lo, 50, v70
	s_or_b32 s2, vcc_lo, s2
	s_wait_loadcnt_dscnt 0x0
	v_fmac_f32_e32 v67, v71, v72
	s_and_not1_b32 exec_lo, exec_lo, s2
	s_cbranch_execnz .LBB122_1085
; %bb.1086:
	s_or_b32 exec_lo, exec_lo, s2
.LBB122_1087:
	s_delay_alu instid0(SALU_CYCLE_1)
	s_or_b32 exec_lo, exec_lo, s1
	v_mov_b32_e32 v68, 0
	ds_load_b32 v68, v68 offset:208
	s_wait_dscnt 0x0
	v_mul_f32_e32 v67, v67, v68
	scratch_store_b32 off, v67, off offset:208
.LBB122_1088:
	s_wait_xcnt 0x0
	s_or_b32 exec_lo, exec_lo, s0
	scratch_load_b32 v67, off, off offset:212
	s_mov_b32 s0, exec_lo
	s_wait_loadcnt 0x0
	ds_store_b32 v1, v67
	s_wait_storecnt_dscnt 0x0
	s_barrier_signal -1
	s_barrier_wait -1
	s_wait_xcnt 0x0
	v_cmpx_gt_u32_e32 53, v0
	s_cbranch_execz .LBB122_1098
; %bb.1089:
	v_cmp_ne_u32_e32 vcc_lo, 1, v66
	s_cbranch_vccnz .LBB122_1091
; %bb.1090:
	scratch_load_b32 v67, v7, off
	ds_load_b32 v68, v1
	s_wait_loadcnt_dscnt 0x0
	v_mul_f32_e32 v67, v67, v68
	s_cbranch_execz .LBB122_1092
	s_branch .LBB122_1093
.LBB122_1091:
                                        ; implicit-def: $vgpr67
.LBB122_1092:
	ds_load_b32 v67, v1
.LBB122_1093:
	s_mov_b32 s1, exec_lo
	v_cmpx_ne_u32_e32 52, v0
	s_cbranch_execz .LBB122_1097
; %bb.1094:
	v_add_nc_u32_e32 v68, 0xf4, v6
	v_add3_u32 v69, 0, v6, 4
	v_mov_b32_e32 v70, v0
	s_mov_b32 s2, 0
.LBB122_1095:                           ; =>This Inner Loop Header: Depth=1
	scratch_load_b32 v71, v69, off
	ds_load_b32 v72, v68
	v_dual_add_nc_u32 v70, 1, v70 :: v_dual_add_nc_u32 v68, 4, v68
	s_wait_xcnt 0x0
	v_add_nc_u32_e32 v69, 4, v69
	s_delay_alu instid0(VALU_DEP_2)
	v_cmp_lt_u32_e32 vcc_lo, 51, v70
	s_or_b32 s2, vcc_lo, s2
	s_wait_loadcnt_dscnt 0x0
	v_fmac_f32_e32 v67, v71, v72
	s_and_not1_b32 exec_lo, exec_lo, s2
	s_cbranch_execnz .LBB122_1095
; %bb.1096:
	s_or_b32 exec_lo, exec_lo, s2
.LBB122_1097:
	s_delay_alu instid0(SALU_CYCLE_1)
	s_or_b32 exec_lo, exec_lo, s1
	v_mov_b32_e32 v68, 0
	ds_load_b32 v68, v68 offset:212
	s_wait_dscnt 0x0
	v_mul_f32_e32 v67, v67, v68
	scratch_store_b32 off, v67, off offset:212
.LBB122_1098:
	s_wait_xcnt 0x0
	s_or_b32 exec_lo, exec_lo, s0
	scratch_load_b32 v67, off, off offset:216
	s_mov_b32 s0, exec_lo
	s_wait_loadcnt 0x0
	ds_store_b32 v1, v67
	s_wait_storecnt_dscnt 0x0
	s_barrier_signal -1
	s_barrier_wait -1
	s_wait_xcnt 0x0
	v_cmpx_gt_u32_e32 54, v0
	s_cbranch_execz .LBB122_1108
; %bb.1099:
	v_cmp_ne_u32_e32 vcc_lo, 1, v66
	s_cbranch_vccnz .LBB122_1101
; %bb.1100:
	scratch_load_b32 v67, v7, off
	ds_load_b32 v68, v1
	s_wait_loadcnt_dscnt 0x0
	v_mul_f32_e32 v67, v67, v68
	s_cbranch_execz .LBB122_1102
	s_branch .LBB122_1103
.LBB122_1101:
                                        ; implicit-def: $vgpr67
.LBB122_1102:
	ds_load_b32 v67, v1
.LBB122_1103:
	s_mov_b32 s1, exec_lo
	v_cmpx_ne_u32_e32 53, v0
	s_cbranch_execz .LBB122_1107
; %bb.1104:
	v_add_nc_u32_e32 v68, 0xf4, v6
	v_add3_u32 v69, 0, v6, 4
	v_mov_b32_e32 v70, v0
	s_mov_b32 s2, 0
.LBB122_1105:                           ; =>This Inner Loop Header: Depth=1
	scratch_load_b32 v71, v69, off
	ds_load_b32 v72, v68
	v_dual_add_nc_u32 v70, 1, v70 :: v_dual_add_nc_u32 v68, 4, v68
	s_wait_xcnt 0x0
	v_add_nc_u32_e32 v69, 4, v69
	s_delay_alu instid0(VALU_DEP_2)
	v_cmp_lt_u32_e32 vcc_lo, 52, v70
	s_or_b32 s2, vcc_lo, s2
	s_wait_loadcnt_dscnt 0x0
	v_fmac_f32_e32 v67, v71, v72
	s_and_not1_b32 exec_lo, exec_lo, s2
	s_cbranch_execnz .LBB122_1105
; %bb.1106:
	s_or_b32 exec_lo, exec_lo, s2
.LBB122_1107:
	s_delay_alu instid0(SALU_CYCLE_1)
	s_or_b32 exec_lo, exec_lo, s1
	v_mov_b32_e32 v68, 0
	ds_load_b32 v68, v68 offset:216
	s_wait_dscnt 0x0
	v_mul_f32_e32 v67, v67, v68
	scratch_store_b32 off, v67, off offset:216
.LBB122_1108:
	s_wait_xcnt 0x0
	s_or_b32 exec_lo, exec_lo, s0
	scratch_load_b32 v67, off, off offset:220
	s_mov_b32 s0, exec_lo
	s_wait_loadcnt 0x0
	ds_store_b32 v1, v67
	s_wait_storecnt_dscnt 0x0
	s_barrier_signal -1
	s_barrier_wait -1
	s_wait_xcnt 0x0
	v_cmpx_gt_u32_e32 55, v0
	s_cbranch_execz .LBB122_1118
; %bb.1109:
	v_cmp_ne_u32_e32 vcc_lo, 1, v66
	s_cbranch_vccnz .LBB122_1111
; %bb.1110:
	scratch_load_b32 v67, v7, off
	ds_load_b32 v68, v1
	s_wait_loadcnt_dscnt 0x0
	v_mul_f32_e32 v67, v67, v68
	s_cbranch_execz .LBB122_1112
	s_branch .LBB122_1113
.LBB122_1111:
                                        ; implicit-def: $vgpr67
.LBB122_1112:
	ds_load_b32 v67, v1
.LBB122_1113:
	s_mov_b32 s1, exec_lo
	v_cmpx_ne_u32_e32 54, v0
	s_cbranch_execz .LBB122_1117
; %bb.1114:
	v_add_nc_u32_e32 v68, 0xf4, v6
	v_add3_u32 v69, 0, v6, 4
	v_mov_b32_e32 v70, v0
	s_mov_b32 s2, 0
.LBB122_1115:                           ; =>This Inner Loop Header: Depth=1
	scratch_load_b32 v71, v69, off
	ds_load_b32 v72, v68
	v_dual_add_nc_u32 v70, 1, v70 :: v_dual_add_nc_u32 v68, 4, v68
	s_wait_xcnt 0x0
	v_add_nc_u32_e32 v69, 4, v69
	s_delay_alu instid0(VALU_DEP_2)
	v_cmp_lt_u32_e32 vcc_lo, 53, v70
	s_or_b32 s2, vcc_lo, s2
	s_wait_loadcnt_dscnt 0x0
	v_fmac_f32_e32 v67, v71, v72
	s_and_not1_b32 exec_lo, exec_lo, s2
	s_cbranch_execnz .LBB122_1115
; %bb.1116:
	s_or_b32 exec_lo, exec_lo, s2
.LBB122_1117:
	s_delay_alu instid0(SALU_CYCLE_1)
	s_or_b32 exec_lo, exec_lo, s1
	v_mov_b32_e32 v68, 0
	ds_load_b32 v68, v68 offset:220
	s_wait_dscnt 0x0
	v_mul_f32_e32 v67, v67, v68
	scratch_store_b32 off, v67, off offset:220
.LBB122_1118:
	s_wait_xcnt 0x0
	s_or_b32 exec_lo, exec_lo, s0
	scratch_load_b32 v67, off, off offset:224
	s_mov_b32 s0, exec_lo
	s_wait_loadcnt 0x0
	ds_store_b32 v1, v67
	s_wait_storecnt_dscnt 0x0
	s_barrier_signal -1
	s_barrier_wait -1
	s_wait_xcnt 0x0
	v_cmpx_gt_u32_e32 56, v0
	s_cbranch_execz .LBB122_1128
; %bb.1119:
	v_cmp_ne_u32_e32 vcc_lo, 1, v66
	s_cbranch_vccnz .LBB122_1121
; %bb.1120:
	scratch_load_b32 v67, v7, off
	ds_load_b32 v68, v1
	s_wait_loadcnt_dscnt 0x0
	v_mul_f32_e32 v67, v67, v68
	s_cbranch_execz .LBB122_1122
	s_branch .LBB122_1123
.LBB122_1121:
                                        ; implicit-def: $vgpr67
.LBB122_1122:
	ds_load_b32 v67, v1
.LBB122_1123:
	s_mov_b32 s1, exec_lo
	v_cmpx_ne_u32_e32 55, v0
	s_cbranch_execz .LBB122_1127
; %bb.1124:
	v_add_nc_u32_e32 v68, 0xf4, v6
	v_add3_u32 v69, 0, v6, 4
	v_mov_b32_e32 v70, v0
	s_mov_b32 s2, 0
.LBB122_1125:                           ; =>This Inner Loop Header: Depth=1
	scratch_load_b32 v71, v69, off
	ds_load_b32 v72, v68
	v_dual_add_nc_u32 v70, 1, v70 :: v_dual_add_nc_u32 v68, 4, v68
	s_wait_xcnt 0x0
	v_add_nc_u32_e32 v69, 4, v69
	s_delay_alu instid0(VALU_DEP_2)
	v_cmp_lt_u32_e32 vcc_lo, 54, v70
	s_or_b32 s2, vcc_lo, s2
	s_wait_loadcnt_dscnt 0x0
	v_fmac_f32_e32 v67, v71, v72
	s_and_not1_b32 exec_lo, exec_lo, s2
	s_cbranch_execnz .LBB122_1125
; %bb.1126:
	s_or_b32 exec_lo, exec_lo, s2
.LBB122_1127:
	s_delay_alu instid0(SALU_CYCLE_1)
	s_or_b32 exec_lo, exec_lo, s1
	v_mov_b32_e32 v68, 0
	ds_load_b32 v68, v68 offset:224
	s_wait_dscnt 0x0
	v_mul_f32_e32 v67, v67, v68
	scratch_store_b32 off, v67, off offset:224
.LBB122_1128:
	s_wait_xcnt 0x0
	s_or_b32 exec_lo, exec_lo, s0
	scratch_load_b32 v67, off, off offset:228
	v_cmp_gt_u32_e64 s0, 57, v0
	s_wait_loadcnt 0x0
	ds_store_b32 v1, v67
	s_wait_storecnt_dscnt 0x0
	s_barrier_signal -1
	s_barrier_wait -1
	s_wait_xcnt 0x0
	s_and_saveexec_b32 s1, s0
	s_cbranch_execz .LBB122_1138
; %bb.1129:
	v_cmp_ne_u32_e32 vcc_lo, 1, v66
	s_cbranch_vccnz .LBB122_1131
; %bb.1130:
	scratch_load_b32 v67, v7, off
	ds_load_b32 v68, v1
	s_wait_loadcnt_dscnt 0x0
	v_mul_f32_e32 v67, v67, v68
	s_cbranch_execz .LBB122_1132
	s_branch .LBB122_1133
.LBB122_1131:
                                        ; implicit-def: $vgpr67
.LBB122_1132:
	ds_load_b32 v67, v1
.LBB122_1133:
	s_mov_b32 s2, exec_lo
	v_cmpx_ne_u32_e32 56, v0
	s_cbranch_execz .LBB122_1137
; %bb.1134:
	v_add_nc_u32_e32 v68, 0xf4, v6
	v_add3_u32 v69, 0, v6, 4
	v_mov_b32_e32 v70, v0
	s_mov_b32 s3, 0
.LBB122_1135:                           ; =>This Inner Loop Header: Depth=1
	scratch_load_b32 v71, v69, off
	ds_load_b32 v72, v68
	v_dual_add_nc_u32 v70, 1, v70 :: v_dual_add_nc_u32 v68, 4, v68
	s_wait_xcnt 0x0
	v_add_nc_u32_e32 v69, 4, v69
	s_delay_alu instid0(VALU_DEP_2)
	v_cmp_lt_u32_e32 vcc_lo, 55, v70
	s_or_b32 s3, vcc_lo, s3
	s_wait_loadcnt_dscnt 0x0
	v_fmac_f32_e32 v67, v71, v72
	s_and_not1_b32 exec_lo, exec_lo, s3
	s_cbranch_execnz .LBB122_1135
; %bb.1136:
	s_or_b32 exec_lo, exec_lo, s3
.LBB122_1137:
	s_delay_alu instid0(SALU_CYCLE_1)
	s_or_b32 exec_lo, exec_lo, s2
	v_mov_b32_e32 v68, 0
	ds_load_b32 v68, v68 offset:228
	s_wait_dscnt 0x0
	v_mul_f32_e32 v67, v67, v68
	scratch_store_b32 off, v67, off offset:228
.LBB122_1138:
	s_wait_xcnt 0x0
	s_or_b32 exec_lo, exec_lo, s1
	scratch_load_b32 v67, off, off offset:232
	s_mov_b32 s1, exec_lo
	s_wait_loadcnt 0x0
	ds_store_b32 v1, v67
	s_wait_storecnt_dscnt 0x0
	s_barrier_signal -1
	s_barrier_wait -1
	s_wait_xcnt 0x0
	v_cmpx_ne_u32_e32 58, v0
	s_cbranch_execz .LBB122_1148
; %bb.1139:
	v_cmp_ne_u32_e32 vcc_lo, 1, v66
	s_cbranch_vccnz .LBB122_1141
; %bb.1140:
	scratch_load_b32 v7, v7, off
	ds_load_b32 v66, v1
	s_wait_loadcnt_dscnt 0x0
	v_mul_f32_e32 v7, v7, v66
	s_cbranch_execz .LBB122_1142
	s_branch .LBB122_1143
.LBB122_1141:
                                        ; implicit-def: $vgpr7
.LBB122_1142:
	ds_load_b32 v7, v1
.LBB122_1143:
	s_and_saveexec_b32 s2, s0
	s_cbranch_execz .LBB122_1147
; %bb.1144:
	v_add_nc_u32_e32 v1, 0xf4, v6
	v_add3_u32 v6, 0, v6, 4
	s_mov_b32 s0, 0
.LBB122_1145:                           ; =>This Inner Loop Header: Depth=1
	scratch_load_b32 v66, v6, off
	ds_load_b32 v67, v1
	v_dual_add_nc_u32 v0, 1, v0 :: v_dual_add_nc_u32 v1, 4, v1
	s_wait_xcnt 0x0
	v_add_nc_u32_e32 v6, 4, v6
	s_delay_alu instid0(VALU_DEP_2)
	v_cmp_lt_u32_e32 vcc_lo, 56, v0
	s_or_b32 s0, vcc_lo, s0
	s_wait_loadcnt_dscnt 0x0
	v_fmac_f32_e32 v7, v66, v67
	s_and_not1_b32 exec_lo, exec_lo, s0
	s_cbranch_execnz .LBB122_1145
; %bb.1146:
	s_or_b32 exec_lo, exec_lo, s0
.LBB122_1147:
	s_delay_alu instid0(SALU_CYCLE_1)
	s_or_b32 exec_lo, exec_lo, s2
	v_mov_b32_e32 v0, 0
	ds_load_b32 v0, v0 offset:232
	s_wait_dscnt 0x0
	v_mul_f32_e32 v0, v7, v0
	scratch_store_b32 off, v0, off offset:232
.LBB122_1148:
	s_wait_xcnt 0x0
	s_or_b32 exec_lo, exec_lo, s1
.LBB122_1149:
	scratch_load_b32 v0, off, off
	s_wait_loadcnt 0x0
	flat_store_b32 v[2:3], v0
	scratch_load_b32 v0, off, off offset:4
	s_wait_loadcnt 0x0
	flat_store_b32 v[4:5], v0
	scratch_load_b32 v0, off, off offset:8
	;; [unrolled: 3-line block ×58, first 2 shown]
	s_wait_loadcnt 0x0
	flat_store_b32 v[8:9], v0
.LBB122_1150:
	s_sendmsg sendmsg(MSG_DEALLOC_VGPRS)
	s_endpgm
	.section	.rodata,"a",@progbits
	.p2align	6, 0x0
	.amdhsa_kernel _ZN9rocsolver6v33100L18trti2_kernel_smallILi59EfPKPfEEv13rocblas_fill_17rocblas_diagonal_T1_iil
		.amdhsa_group_segment_fixed_size 476
		.amdhsa_private_segment_fixed_size 240
		.amdhsa_kernarg_size 32
		.amdhsa_user_sgpr_count 2
		.amdhsa_user_sgpr_dispatch_ptr 0
		.amdhsa_user_sgpr_queue_ptr 0
		.amdhsa_user_sgpr_kernarg_segment_ptr 1
		.amdhsa_user_sgpr_dispatch_id 0
		.amdhsa_user_sgpr_kernarg_preload_length 0
		.amdhsa_user_sgpr_kernarg_preload_offset 0
		.amdhsa_user_sgpr_private_segment_size 0
		.amdhsa_wavefront_size32 1
		.amdhsa_uses_dynamic_stack 0
		.amdhsa_enable_private_segment 1
		.amdhsa_system_sgpr_workgroup_id_x 1
		.amdhsa_system_sgpr_workgroup_id_y 0
		.amdhsa_system_sgpr_workgroup_id_z 0
		.amdhsa_system_sgpr_workgroup_info 0
		.amdhsa_system_vgpr_workitem_id 0
		.amdhsa_next_free_vgpr 178
		.amdhsa_next_free_sgpr 65
		.amdhsa_named_barrier_count 0
		.amdhsa_reserve_vcc 1
		.amdhsa_float_round_mode_32 0
		.amdhsa_float_round_mode_16_64 0
		.amdhsa_float_denorm_mode_32 3
		.amdhsa_float_denorm_mode_16_64 3
		.amdhsa_fp16_overflow 0
		.amdhsa_memory_ordered 1
		.amdhsa_forward_progress 1
		.amdhsa_inst_pref_size 255
		.amdhsa_round_robin_scheduling 0
		.amdhsa_exception_fp_ieee_invalid_op 0
		.amdhsa_exception_fp_denorm_src 0
		.amdhsa_exception_fp_ieee_div_zero 0
		.amdhsa_exception_fp_ieee_overflow 0
		.amdhsa_exception_fp_ieee_underflow 0
		.amdhsa_exception_fp_ieee_inexact 0
		.amdhsa_exception_int_div_zero 0
	.end_amdhsa_kernel
	.section	.text._ZN9rocsolver6v33100L18trti2_kernel_smallILi59EfPKPfEEv13rocblas_fill_17rocblas_diagonal_T1_iil,"axG",@progbits,_ZN9rocsolver6v33100L18trti2_kernel_smallILi59EfPKPfEEv13rocblas_fill_17rocblas_diagonal_T1_iil,comdat
.Lfunc_end122:
	.size	_ZN9rocsolver6v33100L18trti2_kernel_smallILi59EfPKPfEEv13rocblas_fill_17rocblas_diagonal_T1_iil, .Lfunc_end122-_ZN9rocsolver6v33100L18trti2_kernel_smallILi59EfPKPfEEv13rocblas_fill_17rocblas_diagonal_T1_iil
                                        ; -- End function
	.set _ZN9rocsolver6v33100L18trti2_kernel_smallILi59EfPKPfEEv13rocblas_fill_17rocblas_diagonal_T1_iil.num_vgpr, 178
	.set _ZN9rocsolver6v33100L18trti2_kernel_smallILi59EfPKPfEEv13rocblas_fill_17rocblas_diagonal_T1_iil.num_agpr, 0
	.set _ZN9rocsolver6v33100L18trti2_kernel_smallILi59EfPKPfEEv13rocblas_fill_17rocblas_diagonal_T1_iil.numbered_sgpr, 65
	.set _ZN9rocsolver6v33100L18trti2_kernel_smallILi59EfPKPfEEv13rocblas_fill_17rocblas_diagonal_T1_iil.num_named_barrier, 0
	.set _ZN9rocsolver6v33100L18trti2_kernel_smallILi59EfPKPfEEv13rocblas_fill_17rocblas_diagonal_T1_iil.private_seg_size, 240
	.set _ZN9rocsolver6v33100L18trti2_kernel_smallILi59EfPKPfEEv13rocblas_fill_17rocblas_diagonal_T1_iil.uses_vcc, 1
	.set _ZN9rocsolver6v33100L18trti2_kernel_smallILi59EfPKPfEEv13rocblas_fill_17rocblas_diagonal_T1_iil.uses_flat_scratch, 0
	.set _ZN9rocsolver6v33100L18trti2_kernel_smallILi59EfPKPfEEv13rocblas_fill_17rocblas_diagonal_T1_iil.has_dyn_sized_stack, 0
	.set _ZN9rocsolver6v33100L18trti2_kernel_smallILi59EfPKPfEEv13rocblas_fill_17rocblas_diagonal_T1_iil.has_recursion, 0
	.set _ZN9rocsolver6v33100L18trti2_kernel_smallILi59EfPKPfEEv13rocblas_fill_17rocblas_diagonal_T1_iil.has_indirect_call, 0
	.section	.AMDGPU.csdata,"",@progbits
; Kernel info:
; codeLenInByte = 34180
; TotalNumSgprs: 67
; NumVgprs: 178
; ScratchSize: 240
; MemoryBound: 0
; FloatMode: 240
; IeeeMode: 1
; LDSByteSize: 476 bytes/workgroup (compile time only)
; SGPRBlocks: 0
; VGPRBlocks: 11
; NumSGPRsForWavesPerEU: 67
; NumVGPRsForWavesPerEU: 178
; NamedBarCnt: 0
; Occupancy: 5
; WaveLimiterHint : 1
; COMPUTE_PGM_RSRC2:SCRATCH_EN: 1
; COMPUTE_PGM_RSRC2:USER_SGPR: 2
; COMPUTE_PGM_RSRC2:TRAP_HANDLER: 0
; COMPUTE_PGM_RSRC2:TGID_X_EN: 1
; COMPUTE_PGM_RSRC2:TGID_Y_EN: 0
; COMPUTE_PGM_RSRC2:TGID_Z_EN: 0
; COMPUTE_PGM_RSRC2:TIDIG_COMP_CNT: 0
	.section	.text._ZN9rocsolver6v33100L18trti2_kernel_smallILi60EfPKPfEEv13rocblas_fill_17rocblas_diagonal_T1_iil,"axG",@progbits,_ZN9rocsolver6v33100L18trti2_kernel_smallILi60EfPKPfEEv13rocblas_fill_17rocblas_diagonal_T1_iil,comdat
	.globl	_ZN9rocsolver6v33100L18trti2_kernel_smallILi60EfPKPfEEv13rocblas_fill_17rocblas_diagonal_T1_iil ; -- Begin function _ZN9rocsolver6v33100L18trti2_kernel_smallILi60EfPKPfEEv13rocblas_fill_17rocblas_diagonal_T1_iil
	.p2align	8
	.type	_ZN9rocsolver6v33100L18trti2_kernel_smallILi60EfPKPfEEv13rocblas_fill_17rocblas_diagonal_T1_iil,@function
_ZN9rocsolver6v33100L18trti2_kernel_smallILi60EfPKPfEEv13rocblas_fill_17rocblas_diagonal_T1_iil: ; @_ZN9rocsolver6v33100L18trti2_kernel_smallILi60EfPKPfEEv13rocblas_fill_17rocblas_diagonal_T1_iil
; %bb.0:
	s_mov_b32 s2, exec_lo
	v_cmpx_gt_u32_e32 60, v0
	s_cbranch_execz .LBB123_1170
; %bb.1:
	s_clause 0x1
	s_load_b64 s[2:3], s[0:1], 0x10
	s_load_b128 s[4:7], s[0:1], 0x0
	s_wait_xcnt 0x0
	s_bfe_u32 s0, ttmp6, 0x4000c
	s_and_b32 s1, ttmp6, 15
	s_add_co_i32 s0, s0, 1
	s_getreg_b32 s8, hwreg(HW_REG_IB_STS2, 6, 4)
	s_mul_i32 s0, ttmp9, s0
	v_dual_mov_b32 v7, 0 :: v_dual_lshlrev_b32 v6, 2, v0
	s_add_co_i32 s0, s1, s0
	v_mov_b32_e32 v124, -1.0
	s_wait_kmcnt 0x0
	s_ashr_i32 s1, s2, 31
	s_cmp_eq_u32 s8, 0
	v_add3_u32 v8, s3, s3, v0
	s_cselect_b32 s8, ttmp9, s0
	s_mov_b32 s0, s2
	s_ashr_i32 s9, s8, 31
	s_lshl_b64 s[0:1], s[0:1], 2
	s_lshl_b64 s[8:9], s[8:9], 3
	v_add_nc_u32_e32 v10, s3, v8
	s_add_nc_u64 s[6:7], s[6:7], s[8:9]
	v_ashrrev_i32_e32 v9, 31, v8
	s_load_b64 s[6:7], s[6:7], 0x0
	s_delay_alu instid0(VALU_DEP_2) | instskip(NEXT) | instid1(VALU_DEP_1)
	v_add_nc_u32_e32 v12, s3, v10
	v_add_nc_u32_e32 v14, s3, v12
	s_delay_alu instid0(VALU_DEP_1) | instskip(NEXT) | instid1(VALU_DEP_1)
	v_add_nc_u32_e32 v16, s3, v14
	v_dual_ashrrev_i32 v11, 31, v10 :: v_dual_add_nc_u32 v18, s3, v16
	v_ashrrev_i32_e32 v13, 31, v12
	s_wait_kmcnt 0x0
	s_add_nc_u64 s[6:7], s[6:7], s[0:1]
	s_mov_b32 s0, s3
	flat_load_b32 v1, v0, s[6:7] scale_offset
	v_add_nc_u64_e32 v[2:3], s[6:7], v[6:7]
	s_ashr_i32 s1, s3, 31
	v_add_nc_u32_e32 v20, s3, v18
	v_ashrrev_i32_e32 v15, 31, v14
	v_ashrrev_i32_e32 v19, 31, v18
	s_cmp_lg_u32 s5, 0x84
	s_delay_alu instid0(VALU_DEP_4) | instskip(SKIP_2) | instid1(VALU_DEP_1)
	v_lshl_add_u64 v[4:5], s[0:1], 2, v[2:3]
	v_add_nc_u32_e32 v22, s3, v20
	s_movk_i32 s1, 0x84
	v_add_nc_u32_e32 v24, s3, v22
	s_delay_alu instid0(VALU_DEP_1) | instskip(NEXT) | instid1(VALU_DEP_1)
	v_add_nc_u32_e32 v26, s3, v24
	v_dual_add_nc_u32 v28, s3, v26 :: v_dual_ashrrev_i32 v17, 31, v16
	s_delay_alu instid0(VALU_DEP_1) | instskip(NEXT) | instid1(VALU_DEP_1)
	v_dual_ashrrev_i32 v23, 31, v22 :: v_dual_add_nc_u32 v30, s3, v28
	v_dual_ashrrev_i32 v25, 31, v24 :: v_dual_ashrrev_i32 v31, 31, v30
	v_dual_add_nc_u32 v32, s3, v30 :: v_dual_ashrrev_i32 v21, 31, v20
	s_delay_alu instid0(VALU_DEP_1) | instskip(NEXT) | instid1(VALU_DEP_1)
	v_dual_ashrrev_i32 v27, 31, v26 :: v_dual_add_nc_u32 v34, s3, v32
	v_add_nc_u32_e32 v36, s3, v34
	s_delay_alu instid0(VALU_DEP_1) | instskip(NEXT) | instid1(VALU_DEP_1)
	v_add_nc_u32_e32 v38, s3, v36
	v_dual_add_nc_u32 v40, s3, v38 :: v_dual_ashrrev_i32 v29, 31, v28
	s_delay_alu instid0(VALU_DEP_1) | instskip(NEXT) | instid1(VALU_DEP_1)
	v_dual_ashrrev_i32 v35, 31, v34 :: v_dual_add_nc_u32 v42, s3, v40
	v_dual_ashrrev_i32 v37, 31, v36 :: v_dual_ashrrev_i32 v43, 31, v42
	v_dual_add_nc_u32 v44, s3, v42 :: v_dual_ashrrev_i32 v33, 31, v32
	s_delay_alu instid0(VALU_DEP_1) | instskip(NEXT) | instid1(VALU_DEP_1)
	v_dual_ashrrev_i32 v39, 31, v38 :: v_dual_add_nc_u32 v46, s3, v44
	;; [unrolled: 10-line block ×8, first 2 shown]
	v_dual_ashrrev_i32 v113, 31, v112 :: v_dual_ashrrev_i32 v119, 31, v118
	v_add_nc_u32_e32 v120, s3, v118
	s_delay_alu instid0(VALU_DEP_1)
	v_add_nc_u32_e32 v122, s3, v120
	v_ashrrev_i32_e32 v117, 31, v116
	v_ashrrev_i32_e32 v121, 31, v120
	s_cselect_b32 s3, -1, 0
	s_cmp_eq_u32 s5, 0x84
	v_ashrrev_i32_e32 v123, 31, v122
	s_wait_loadcnt_dscnt 0x0
	scratch_store_b32 off, v1, off
	flat_load_b32 v1, v[4:5]
	s_wait_loadcnt_dscnt 0x0
	scratch_store_b32 off, v1, off offset:4
	flat_load_b32 v1, v8, s[6:7] scale_offset
	s_wait_loadcnt_dscnt 0x0
	scratch_store_b32 off, v1, off offset:8
	flat_load_b32 v1, v10, s[6:7] scale_offset
	;; [unrolled: 3-line block ×58, first 2 shown]
	s_wait_loadcnt_dscnt 0x0
	scratch_store_b32 off, v1, off offset:236
	s_cbranch_scc1 .LBB123_3
; %bb.2:
	scratch_load_b32 v1, v0, off scale_offset
	s_wait_loadcnt 0x0
	v_div_scale_f32 v7, null, v1, v1, 1.0
	s_delay_alu instid0(VALU_DEP_1) | instskip(SKIP_1) | instid1(TRANS32_DEP_1)
	v_rcp_f32_e32 v124, v7
	v_nop
	v_fma_f32 v125, -v7, v124, 1.0
	s_delay_alu instid0(VALU_DEP_1) | instskip(SKIP_1) | instid1(VALU_DEP_1)
	v_fmac_f32_e32 v124, v125, v124
	v_div_scale_f32 v125, vcc_lo, 1.0, v1, 1.0
	v_mul_f32_e32 v126, v125, v124
	s_delay_alu instid0(VALU_DEP_1) | instskip(NEXT) | instid1(VALU_DEP_1)
	v_fma_f32 v127, -v7, v126, v125
	v_fmac_f32_e32 v126, v127, v124
	s_delay_alu instid0(VALU_DEP_1) | instskip(NEXT) | instid1(VALU_DEP_1)
	v_fma_f32 v7, -v7, v126, v125
	v_div_fmas_f32 v7, v7, v124, v126
	s_delay_alu instid0(VALU_DEP_1) | instskip(NEXT) | instid1(VALU_DEP_1)
	v_div_fixup_f32 v1, v7, v1, 1.0
	v_xor_b32_e32 v124, 0x80000000, v1
	scratch_store_b32 v0, v1, off scale_offset
.LBB123_3:
	s_wait_xcnt 0x0
	v_add_nc_u32_e32 v1, 0xf0, v6
	v_mov_b32_e32 v7, v6
	s_cmp_eq_u32 s4, 0x79
	s_mov_b32 s2, -1
	ds_store_b32 v6, v124
	s_cbranch_scc1 .LBB123_587
; %bb.4:
	scratch_load_b32 v124, off, off offset:232
	v_cmp_eq_u32_e64 s0, 59, v0
	s_movk_i32 s21, 0x44
	s_movk_i32 s22, 0x48
	;; [unrolled: 1-line block ×40, first 2 shown]
	s_wait_loadcnt 0x0
	ds_store_b32 v1, v124
	s_wait_storecnt_dscnt 0x0
	s_barrier_signal -1
	s_barrier_wait -1
	s_wait_xcnt 0x0
	s_and_saveexec_b32 s2, s0
	s_cbranch_execz .LBB123_10
; %bb.5:
	s_and_b32 vcc_lo, exec_lo, s3
	s_cbranch_vccz .LBB123_7
; %bb.6:
	scratch_load_b32 v124, v7, off
	ds_load_b32 v125, v1
	s_wait_loadcnt_dscnt 0x0
	v_mul_f32_e32 v124, v124, v125
	s_cbranch_execz .LBB123_8
	s_branch .LBB123_9
.LBB123_7:
                                        ; implicit-def: $vgpr124
.LBB123_8:
	ds_load_b32 v124, v1
.LBB123_9:
	v_mov_b32_e32 v125, 0
	ds_load_b32 v125, v125 offset:232
	s_wait_dscnt 0x0
	v_mul_f32_e32 v124, v124, v125
	scratch_store_b32 off, v124, off offset:232
.LBB123_10:
	s_wait_xcnt 0x0
	s_or_b32 exec_lo, exec_lo, s2
	scratch_load_b32 v124, off, off offset:228
	s_mov_b32 s38, s1
	v_cmp_lt_u32_e64 s1, 57, v0
	s_or_b32 s4, 0, 4
	s_or_b32 s5, 0, 8
	;; [unrolled: 1-line block ×3, first 2 shown]
	s_mov_b32 s2, 16
	s_mov_b32 s9, 20
	s_mov_b32 s10, 24
	s_mov_b32 s11, 28
	s_mov_b32 s12, 32
	s_mov_b32 s13, 36
	s_mov_b32 s14, 40
	s_mov_b32 s15, 44
	s_mov_b32 s16, 48
	s_mov_b32 s17, 52
	s_mov_b32 s18, 56
	s_mov_b32 s19, 60
	s_mov_b32 s20, 64
	s_wait_loadcnt 0x0
	ds_store_b32 v1, v124
	s_wait_storecnt_dscnt 0x0
	s_barrier_signal -1
	s_barrier_wait -1
	s_wait_xcnt 0x0
	s_and_saveexec_b32 s63, s1
	s_cbranch_execz .LBB123_16
; %bb.11:
	s_and_not1_b32 vcc_lo, exec_lo, s3
	s_cbranch_vccnz .LBB123_13
; %bb.12:
	scratch_load_b32 v124, v7, off
	ds_load_b32 v125, v1
	s_wait_loadcnt_dscnt 0x0
	v_mul_f32_e32 v124, v124, v125
	s_cbranch_execz .LBB123_14
	s_branch .LBB123_15
.LBB123_13:
                                        ; implicit-def: $vgpr124
.LBB123_14:
	ds_load_b32 v124, v1
.LBB123_15:
	scratch_load_b32 v125, off, off offset:232
	v_mov_b32_e32 v126, 0
	ds_load_2addr_b32 v[126:127], v126 offset0:57 offset1:118
	s_wait_loadcnt_dscnt 0x0
	v_fma_f32 v125, v125, v127, v124
	s_delay_alu instid0(VALU_DEP_1) | instskip(NEXT) | instid1(VALU_DEP_1)
	v_cndmask_b32_e64 v124, v124, v125, s0
	v_mul_f32_e32 v124, v124, v126
	scratch_store_b32 off, v124, off offset:228
.LBB123_16:
	s_wait_xcnt 0x0
	s_or_b32 exec_lo, exec_lo, s63
	scratch_load_b32 v124, off, off offset:224
	v_cmp_lt_u32_e64 s0, 56, v0
	s_wait_loadcnt 0x0
	ds_store_b32 v1, v124
	s_wait_storecnt_dscnt 0x0
	s_barrier_signal -1
	s_barrier_wait -1
	s_wait_xcnt 0x0
	s_and_saveexec_b32 s63, s0
	s_cbranch_execz .LBB123_26
; %bb.17:
	s_and_not1_b32 vcc_lo, exec_lo, s3
	s_cbranch_vccnz .LBB123_19
; %bb.18:
	scratch_load_b32 v124, v7, off
	ds_load_b32 v125, v1
	s_wait_loadcnt_dscnt 0x0
	v_mul_f32_e32 v124, v124, v125
	s_cbranch_execz .LBB123_20
	s_branch .LBB123_21
.LBB123_19:
                                        ; implicit-def: $vgpr124
.LBB123_20:
	ds_load_b32 v124, v1
.LBB123_21:
	s_and_saveexec_b32 s64, s1
	s_cbranch_execz .LBB123_25
; %bb.22:
	v_subrev_nc_u32_e32 v125, 57, v0
	s_movk_i32 s65, 0x1d4
	s_mov_b32 s1, 0
.LBB123_23:                             ; =>This Inner Loop Header: Depth=1
	scratch_load_b32 v126, off, s62
	v_dual_mov_b32 v127, s65 :: v_dual_add_nc_u32 v125, -1, v125
	s_add_co_i32 s65, s65, 4
	s_wait_xcnt 0x0
	s_add_co_i32 s62, s62, 4
	ds_load_b32 v127, v127
	v_cmp_eq_u32_e32 vcc_lo, 0, v125
	s_or_b32 s1, vcc_lo, s1
	s_wait_loadcnt_dscnt 0x0
	v_fmac_f32_e32 v124, v126, v127
	s_and_not1_b32 exec_lo, exec_lo, s1
	s_cbranch_execnz .LBB123_23
; %bb.24:
	s_or_b32 exec_lo, exec_lo, s1
.LBB123_25:
	s_delay_alu instid0(SALU_CYCLE_1)
	s_or_b32 exec_lo, exec_lo, s64
	v_mov_b32_e32 v125, 0
	ds_load_b32 v125, v125 offset:224
	s_wait_dscnt 0x0
	v_mul_f32_e32 v124, v124, v125
	scratch_store_b32 off, v124, off offset:224
.LBB123_26:
	s_wait_xcnt 0x0
	s_or_b32 exec_lo, exec_lo, s63
	scratch_load_b32 v124, off, off offset:220
	v_cmp_lt_u32_e64 s1, 55, v0
	s_wait_loadcnt 0x0
	ds_store_b32 v1, v124
	s_wait_storecnt_dscnt 0x0
	s_barrier_signal -1
	s_barrier_wait -1
	s_wait_xcnt 0x0
	s_and_saveexec_b32 s62, s1
	s_cbranch_execz .LBB123_36
; %bb.27:
	s_and_not1_b32 vcc_lo, exec_lo, s3
	s_cbranch_vccnz .LBB123_29
; %bb.28:
	scratch_load_b32 v124, v7, off
	ds_load_b32 v125, v1
	s_wait_loadcnt_dscnt 0x0
	v_mul_f32_e32 v124, v124, v125
	s_cbranch_execz .LBB123_30
	s_branch .LBB123_31
.LBB123_29:
                                        ; implicit-def: $vgpr124
.LBB123_30:
	ds_load_b32 v124, v1
.LBB123_31:
	s_and_saveexec_b32 s63, s0
	s_cbranch_execz .LBB123_35
; %bb.32:
	v_subrev_nc_u32_e32 v125, 56, v0
	s_movk_i32 s64, 0x1d0
	s_mov_b32 s0, 0
.LBB123_33:                             ; =>This Inner Loop Header: Depth=1
	scratch_load_b32 v126, off, s61
	v_dual_mov_b32 v127, s64 :: v_dual_add_nc_u32 v125, -1, v125
	s_add_co_i32 s64, s64, 4
	s_wait_xcnt 0x0
	s_add_co_i32 s61, s61, 4
	ds_load_b32 v127, v127
	v_cmp_eq_u32_e32 vcc_lo, 0, v125
	s_or_b32 s0, vcc_lo, s0
	s_wait_loadcnt_dscnt 0x0
	v_fmac_f32_e32 v124, v126, v127
	s_and_not1_b32 exec_lo, exec_lo, s0
	s_cbranch_execnz .LBB123_33
; %bb.34:
	s_or_b32 exec_lo, exec_lo, s0
.LBB123_35:
	s_delay_alu instid0(SALU_CYCLE_1)
	s_or_b32 exec_lo, exec_lo, s63
	v_mov_b32_e32 v125, 0
	ds_load_b32 v125, v125 offset:220
	s_wait_dscnt 0x0
	v_mul_f32_e32 v124, v124, v125
	scratch_store_b32 off, v124, off offset:220
.LBB123_36:
	;; [unrolled: 57-line block ×8, first 2 shown]
	s_wait_xcnt 0x0
	s_or_b32 exec_lo, exec_lo, s56
	scratch_load_b32 v124, off, off offset:192
	v_cmp_lt_u32_e64 s0, 48, v0
	s_wait_loadcnt 0x0
	ds_store_b32 v1, v124
	s_wait_storecnt_dscnt 0x0
	s_barrier_signal -1
	s_barrier_wait -1
	s_wait_xcnt 0x0
	s_and_saveexec_b32 s55, s0
	s_cbranch_execz .LBB123_106
; %bb.97:
	s_and_not1_b32 vcc_lo, exec_lo, s3
	s_cbranch_vccnz .LBB123_99
; %bb.98:
	scratch_load_b32 v124, v7, off
	ds_load_b32 v125, v1
	s_wait_loadcnt_dscnt 0x0
	v_mul_f32_e32 v124, v124, v125
	s_cbranch_execz .LBB123_100
	s_branch .LBB123_101
.LBB123_99:
                                        ; implicit-def: $vgpr124
.LBB123_100:
	ds_load_b32 v124, v1
.LBB123_101:
	s_and_saveexec_b32 s56, s1
	s_cbranch_execz .LBB123_105
; %bb.102:
	v_subrev_nc_u32_e32 v125, 49, v0
	s_movk_i32 s57, 0x1b4
	s_mov_b32 s1, 0
.LBB123_103:                            ; =>This Inner Loop Header: Depth=1
	scratch_load_b32 v126, off, s54
	v_dual_mov_b32 v127, s57 :: v_dual_add_nc_u32 v125, -1, v125
	s_add_co_i32 s57, s57, 4
	s_wait_xcnt 0x0
	s_add_co_i32 s54, s54, 4
	ds_load_b32 v127, v127
	v_cmp_eq_u32_e32 vcc_lo, 0, v125
	s_or_b32 s1, vcc_lo, s1
	s_wait_loadcnt_dscnt 0x0
	v_fmac_f32_e32 v124, v126, v127
	s_and_not1_b32 exec_lo, exec_lo, s1
	s_cbranch_execnz .LBB123_103
; %bb.104:
	s_or_b32 exec_lo, exec_lo, s1
.LBB123_105:
	s_delay_alu instid0(SALU_CYCLE_1)
	s_or_b32 exec_lo, exec_lo, s56
	v_mov_b32_e32 v125, 0
	ds_load_b32 v125, v125 offset:192
	s_wait_dscnt 0x0
	v_mul_f32_e32 v124, v124, v125
	scratch_store_b32 off, v124, off offset:192
.LBB123_106:
	s_wait_xcnt 0x0
	s_or_b32 exec_lo, exec_lo, s55
	scratch_load_b32 v124, off, off offset:188
	v_cmp_lt_u32_e64 s1, 47, v0
	s_wait_loadcnt 0x0
	ds_store_b32 v1, v124
	s_wait_storecnt_dscnt 0x0
	s_barrier_signal -1
	s_barrier_wait -1
	s_wait_xcnt 0x0
	s_and_saveexec_b32 s54, s1
	s_cbranch_execz .LBB123_116
; %bb.107:
	s_and_not1_b32 vcc_lo, exec_lo, s3
	s_cbranch_vccnz .LBB123_109
; %bb.108:
	scratch_load_b32 v124, v7, off
	ds_load_b32 v125, v1
	s_wait_loadcnt_dscnt 0x0
	v_mul_f32_e32 v124, v124, v125
	s_cbranch_execz .LBB123_110
	s_branch .LBB123_111
.LBB123_109:
                                        ; implicit-def: $vgpr124
.LBB123_110:
	ds_load_b32 v124, v1
.LBB123_111:
	s_and_saveexec_b32 s55, s0
	s_cbranch_execz .LBB123_115
; %bb.112:
	v_subrev_nc_u32_e32 v125, 48, v0
	s_movk_i32 s56, 0x1b0
	s_mov_b32 s0, 0
.LBB123_113:                            ; =>This Inner Loop Header: Depth=1
	scratch_load_b32 v126, off, s53
	v_dual_mov_b32 v127, s56 :: v_dual_add_nc_u32 v125, -1, v125
	s_add_co_i32 s56, s56, 4
	s_wait_xcnt 0x0
	s_add_co_i32 s53, s53, 4
	ds_load_b32 v127, v127
	v_cmp_eq_u32_e32 vcc_lo, 0, v125
	s_or_b32 s0, vcc_lo, s0
	s_wait_loadcnt_dscnt 0x0
	v_fmac_f32_e32 v124, v126, v127
	s_and_not1_b32 exec_lo, exec_lo, s0
	s_cbranch_execnz .LBB123_113
; %bb.114:
	s_or_b32 exec_lo, exec_lo, s0
.LBB123_115:
	s_delay_alu instid0(SALU_CYCLE_1)
	s_or_b32 exec_lo, exec_lo, s55
	v_mov_b32_e32 v125, 0
	ds_load_b32 v125, v125 offset:188
	s_wait_dscnt 0x0
	v_mul_f32_e32 v124, v124, v125
	scratch_store_b32 off, v124, off offset:188
.LBB123_116:
	;; [unrolled: 57-line block ×33, first 2 shown]
	s_wait_xcnt 0x0
	s_or_b32 exec_lo, exec_lo, s22
	scratch_load_b32 v124, off, off offset:60
	v_cmp_lt_u32_e64 s1, 15, v0
	s_wait_loadcnt 0x0
	ds_store_b32 v1, v124
	s_wait_storecnt_dscnt 0x0
	s_barrier_signal -1
	s_barrier_wait -1
	s_wait_xcnt 0x0
	s_and_saveexec_b32 s21, s1
	s_cbranch_execz .LBB123_436
; %bb.427:
	s_and_not1_b32 vcc_lo, exec_lo, s3
	s_cbranch_vccnz .LBB123_429
; %bb.428:
	scratch_load_b32 v124, v7, off
	ds_load_b32 v125, v1
	s_wait_loadcnt_dscnt 0x0
	v_mul_f32_e32 v124, v124, v125
	s_cbranch_execz .LBB123_430
	s_branch .LBB123_431
.LBB123_429:
                                        ; implicit-def: $vgpr124
.LBB123_430:
	ds_load_b32 v124, v1
.LBB123_431:
	s_and_saveexec_b32 s22, s0
	s_cbranch_execz .LBB123_435
; %bb.432:
	v_add_nc_u32_e32 v125, -16, v0
	s_movk_i32 s23, 0x130
	s_mov_b32 s0, 0
.LBB123_433:                            ; =>This Inner Loop Header: Depth=1
	scratch_load_b32 v126, off, s20
	v_dual_mov_b32 v127, s23 :: v_dual_add_nc_u32 v125, -1, v125
	s_add_co_i32 s23, s23, 4
	s_wait_xcnt 0x0
	s_add_co_i32 s20, s20, 4
	ds_load_b32 v127, v127
	v_cmp_eq_u32_e32 vcc_lo, 0, v125
	s_or_b32 s0, vcc_lo, s0
	s_wait_loadcnt_dscnt 0x0
	v_fmac_f32_e32 v124, v126, v127
	s_and_not1_b32 exec_lo, exec_lo, s0
	s_cbranch_execnz .LBB123_433
; %bb.434:
	s_or_b32 exec_lo, exec_lo, s0
.LBB123_435:
	s_delay_alu instid0(SALU_CYCLE_1)
	s_or_b32 exec_lo, exec_lo, s22
	v_mov_b32_e32 v125, 0
	ds_load_b32 v125, v125 offset:60
	s_wait_dscnt 0x0
	v_mul_f32_e32 v124, v124, v125
	scratch_store_b32 off, v124, off offset:60
.LBB123_436:
	s_wait_xcnt 0x0
	s_or_b32 exec_lo, exec_lo, s21
	scratch_load_b32 v124, off, off offset:56
	v_cmp_lt_u32_e64 s0, 14, v0
	s_wait_loadcnt 0x0
	ds_store_b32 v1, v124
	s_wait_storecnt_dscnt 0x0
	s_barrier_signal -1
	s_barrier_wait -1
	s_wait_xcnt 0x0
	s_and_saveexec_b32 s20, s0
	s_cbranch_execz .LBB123_446
; %bb.437:
	s_and_not1_b32 vcc_lo, exec_lo, s3
	s_cbranch_vccnz .LBB123_439
; %bb.438:
	scratch_load_b32 v124, v7, off
	ds_load_b32 v125, v1
	s_wait_loadcnt_dscnt 0x0
	v_mul_f32_e32 v124, v124, v125
	s_cbranch_execz .LBB123_440
	s_branch .LBB123_441
.LBB123_439:
                                        ; implicit-def: $vgpr124
.LBB123_440:
	ds_load_b32 v124, v1
.LBB123_441:
	s_and_saveexec_b32 s21, s1
	s_cbranch_execz .LBB123_445
; %bb.442:
	v_add_nc_u32_e32 v125, -15, v0
	s_movk_i32 s22, 0x12c
	s_mov_b32 s1, 0
.LBB123_443:                            ; =>This Inner Loop Header: Depth=1
	scratch_load_b32 v126, off, s19
	v_dual_mov_b32 v127, s22 :: v_dual_add_nc_u32 v125, -1, v125
	s_add_co_i32 s22, s22, 4
	s_wait_xcnt 0x0
	s_add_co_i32 s19, s19, 4
	ds_load_b32 v127, v127
	v_cmp_eq_u32_e32 vcc_lo, 0, v125
	s_or_b32 s1, vcc_lo, s1
	s_wait_loadcnt_dscnt 0x0
	v_fmac_f32_e32 v124, v126, v127
	s_and_not1_b32 exec_lo, exec_lo, s1
	s_cbranch_execnz .LBB123_443
; %bb.444:
	s_or_b32 exec_lo, exec_lo, s1
.LBB123_445:
	s_delay_alu instid0(SALU_CYCLE_1)
	s_or_b32 exec_lo, exec_lo, s21
	v_mov_b32_e32 v125, 0
	ds_load_b32 v125, v125 offset:56
	s_wait_dscnt 0x0
	v_mul_f32_e32 v124, v124, v125
	scratch_store_b32 off, v124, off offset:56
.LBB123_446:
	;; [unrolled: 57-line block ×15, first 2 shown]
	s_wait_xcnt 0x0
	s_or_b32 exec_lo, exec_lo, s1
	scratch_load_b32 v124, off, off
	s_mov_b32 s2, 0
	s_mov_b32 s1, exec_lo
	s_wait_loadcnt 0x0
	ds_store_b32 v1, v124
	s_wait_storecnt_dscnt 0x0
	s_barrier_signal -1
	s_barrier_wait -1
	s_wait_xcnt 0x0
	v_cmpx_ne_u32_e32 0, v0
	s_cbranch_execz .LBB123_586
; %bb.577:
	s_and_not1_b32 vcc_lo, exec_lo, s3
	s_cbranch_vccnz .LBB123_579
; %bb.578:
	scratch_load_b32 v124, v7, off
	ds_load_b32 v125, v1
	s_wait_loadcnt_dscnt 0x0
	v_mul_f32_e32 v124, v124, v125
	s_cbranch_execz .LBB123_580
	s_branch .LBB123_581
.LBB123_579:
                                        ; implicit-def: $vgpr124
.LBB123_580:
	ds_load_b32 v124, v1
.LBB123_581:
	s_and_saveexec_b32 s5, s0
	s_cbranch_execz .LBB123_585
; %bb.582:
	v_add_nc_u32_e32 v125, -1, v0
	s_movk_i32 s8, 0xf4
	s_mov_b32 s0, 0
.LBB123_583:                            ; =>This Inner Loop Header: Depth=1
	scratch_load_b32 v126, off, s4
	v_dual_mov_b32 v127, s8 :: v_dual_add_nc_u32 v125, -1, v125
	s_add_co_i32 s8, s8, 4
	s_wait_xcnt 0x0
	s_add_co_i32 s4, s4, 4
	ds_load_b32 v127, v127
	v_cmp_eq_u32_e32 vcc_lo, 0, v125
	s_or_b32 s0, vcc_lo, s0
	s_wait_loadcnt_dscnt 0x0
	v_fmac_f32_e32 v124, v126, v127
	s_and_not1_b32 exec_lo, exec_lo, s0
	s_cbranch_execnz .LBB123_583
; %bb.584:
	s_or_b32 exec_lo, exec_lo, s0
.LBB123_585:
	s_delay_alu instid0(SALU_CYCLE_1)
	s_or_b32 exec_lo, exec_lo, s5
	v_mov_b32_e32 v125, 0
	ds_load_b32 v125, v125
	s_wait_dscnt 0x0
	v_mul_f32_e32 v124, v124, v125
	scratch_store_b32 off, v124, off
.LBB123_586:
	s_wait_xcnt 0x0
	s_or_b32 exec_lo, exec_lo, s1
.LBB123_587:
	v_lshl_add_u64 v[180:181], v[8:9], 2, s[6:7]
	v_lshl_add_u64 v[178:179], v[10:11], 2, s[6:7]
	;; [unrolled: 1-line block ×58, first 2 shown]
	s_and_b32 vcc_lo, exec_lo, s2
	s_cbranch_vccz .LBB123_1169
; %bb.588:
	scratch_load_b32 v66, off, off offset:4
	v_cmp_eq_u32_e64 s0, 0, v0
	s_wait_loadcnt 0x0
	ds_store_b32 v1, v66
	s_wait_storecnt_dscnt 0x0
	s_barrier_signal -1
	s_barrier_wait -1
	s_wait_xcnt 0x0
	s_and_saveexec_b32 s1, s0
	s_cbranch_execz .LBB123_594
; %bb.589:
	s_and_b32 vcc_lo, exec_lo, s3
	s_cbranch_vccz .LBB123_591
; %bb.590:
	scratch_load_b32 v66, v7, off
	ds_load_b32 v67, v1
	s_wait_loadcnt_dscnt 0x0
	v_mul_f32_e32 v66, v66, v67
	s_cbranch_execz .LBB123_592
	s_branch .LBB123_593
.LBB123_591:
                                        ; implicit-def: $vgpr66
.LBB123_592:
	ds_load_b32 v66, v1
.LBB123_593:
	v_mov_b32_e32 v67, 0
	ds_load_b32 v67, v67 offset:4
	s_wait_dscnt 0x0
	v_mul_f32_e32 v66, v66, v67
	scratch_store_b32 off, v66, off offset:4
.LBB123_594:
	s_wait_xcnt 0x0
	s_or_b32 exec_lo, exec_lo, s1
	scratch_load_b32 v67, off, off offset:8
	v_cndmask_b32_e64 v66, 0, 1, s3
	s_mov_b32 s1, exec_lo
	s_wait_loadcnt 0x0
	ds_store_b32 v1, v67
	s_wait_storecnt_dscnt 0x0
	s_barrier_signal -1
	s_barrier_wait -1
	s_wait_xcnt 0x0
	v_cmpx_gt_u32_e32 2, v0
	s_cbranch_execz .LBB123_600
; %bb.595:
	s_and_not1_b32 vcc_lo, exec_lo, s3
	s_cbranch_vccnz .LBB123_597
; %bb.596:
	scratch_load_b32 v67, v7, off
	ds_load_b32 v68, v1
	s_wait_loadcnt_dscnt 0x0
	v_mul_f32_e32 v67, v67, v68
	s_cbranch_execz .LBB123_598
	s_branch .LBB123_599
.LBB123_597:
                                        ; implicit-def: $vgpr67
.LBB123_598:
	ds_load_b32 v67, v1
.LBB123_599:
	scratch_load_b32 v70, off, off offset:4
	v_mov_b32_e32 v68, 0
	ds_load_2addr_b32 v[68:69], v68 offset0:2 offset1:61
	s_wait_loadcnt_dscnt 0x0
	v_fma_f32 v69, v70, v69, v67
	s_delay_alu instid0(VALU_DEP_1) | instskip(NEXT) | instid1(VALU_DEP_1)
	v_cndmask_b32_e64 v67, v67, v69, s0
	v_mul_f32_e32 v67, v67, v68
	scratch_store_b32 off, v67, off offset:8
.LBB123_600:
	s_wait_xcnt 0x0
	s_or_b32 exec_lo, exec_lo, s1
	scratch_load_b32 v67, off, off offset:12
	s_mov_b32 s1, exec_lo
	s_wait_loadcnt 0x0
	ds_store_b32 v1, v67
	s_wait_storecnt_dscnt 0x0
	s_barrier_signal -1
	s_barrier_wait -1
	s_wait_xcnt 0x0
	v_cmpx_gt_u32_e32 3, v0
	s_cbranch_execz .LBB123_608
; %bb.601:
	v_cmp_ne_u32_e32 vcc_lo, 1, v66
	s_cbranch_vccnz .LBB123_603
; %bb.602:
	scratch_load_b32 v67, v7, off
	ds_load_b32 v68, v1
	s_wait_loadcnt_dscnt 0x0
	v_mul_f32_e32 v67, v67, v68
	s_cbranch_execz .LBB123_604
	s_branch .LBB123_605
.LBB123_603:
                                        ; implicit-def: $vgpr67
.LBB123_604:
	ds_load_b32 v67, v1
.LBB123_605:
	s_mov_b32 s2, exec_lo
	v_cmpx_ne_u32_e32 2, v0
	s_cbranch_execz .LBB123_607
; %bb.606:
	scratch_load_b32 v68, v7, off offset:4
	scratch_load_b32 v69, off, off offset:8
	ds_load_b32 v70, v1 offset:4
	v_mov_b32_e32 v71, 0
	ds_load_b32 v71, v71 offset:248
	s_wait_loadcnt_dscnt 0x101
	v_fmac_f32_e32 v67, v68, v70
	s_wait_loadcnt_dscnt 0x0
	s_delay_alu instid0(VALU_DEP_1) | instskip(NEXT) | instid1(VALU_DEP_1)
	v_fma_f32 v68, v69, v71, v67
	v_cndmask_b32_e64 v67, v67, v68, s0
.LBB123_607:
	s_or_b32 exec_lo, exec_lo, s2
	v_mov_b32_e32 v68, 0
	ds_load_b32 v68, v68 offset:12
	s_wait_dscnt 0x0
	v_mul_f32_e32 v67, v67, v68
	scratch_store_b32 off, v67, off offset:12
.LBB123_608:
	s_wait_xcnt 0x0
	s_or_b32 exec_lo, exec_lo, s1
	scratch_load_b32 v67, off, off offset:16
	s_mov_b32 s0, exec_lo
	s_wait_loadcnt 0x0
	ds_store_b32 v1, v67
	s_wait_storecnt_dscnt 0x0
	s_barrier_signal -1
	s_barrier_wait -1
	s_wait_xcnt 0x0
	v_cmpx_gt_u32_e32 4, v0
	s_cbranch_execz .LBB123_618
; %bb.609:
	v_cmp_ne_u32_e32 vcc_lo, 1, v66
	s_cbranch_vccnz .LBB123_611
; %bb.610:
	scratch_load_b32 v67, v7, off
	ds_load_b32 v68, v1
	s_wait_loadcnt_dscnt 0x0
	v_mul_f32_e32 v67, v67, v68
	s_cbranch_execz .LBB123_612
	s_branch .LBB123_613
.LBB123_611:
                                        ; implicit-def: $vgpr67
.LBB123_612:
	ds_load_b32 v67, v1
.LBB123_613:
	s_mov_b32 s1, exec_lo
	v_cmpx_ne_u32_e32 3, v0
	s_cbranch_execz .LBB123_617
; %bb.614:
	v_add_nc_u32_e32 v68, 0xf4, v6
	v_add3_u32 v69, 0, v6, 4
	v_mov_b32_e32 v70, v0
	s_mov_b32 s2, 0
.LBB123_615:                            ; =>This Inner Loop Header: Depth=1
	scratch_load_b32 v71, v69, off
	ds_load_b32 v72, v68
	v_dual_add_nc_u32 v70, 1, v70 :: v_dual_add_nc_u32 v68, 4, v68
	s_wait_xcnt 0x0
	v_add_nc_u32_e32 v69, 4, v69
	s_delay_alu instid0(VALU_DEP_2)
	v_cmp_lt_u32_e32 vcc_lo, 2, v70
	s_or_b32 s2, vcc_lo, s2
	s_wait_loadcnt_dscnt 0x0
	v_fmac_f32_e32 v67, v71, v72
	s_and_not1_b32 exec_lo, exec_lo, s2
	s_cbranch_execnz .LBB123_615
; %bb.616:
	s_or_b32 exec_lo, exec_lo, s2
.LBB123_617:
	s_delay_alu instid0(SALU_CYCLE_1)
	s_or_b32 exec_lo, exec_lo, s1
	v_mov_b32_e32 v68, 0
	ds_load_b32 v68, v68 offset:16
	s_wait_dscnt 0x0
	v_mul_f32_e32 v67, v67, v68
	scratch_store_b32 off, v67, off offset:16
.LBB123_618:
	s_wait_xcnt 0x0
	s_or_b32 exec_lo, exec_lo, s0
	scratch_load_b32 v67, off, off offset:20
	s_mov_b32 s0, exec_lo
	s_wait_loadcnt 0x0
	ds_store_b32 v1, v67
	s_wait_storecnt_dscnt 0x0
	s_barrier_signal -1
	s_barrier_wait -1
	s_wait_xcnt 0x0
	v_cmpx_gt_u32_e32 5, v0
	s_cbranch_execz .LBB123_628
; %bb.619:
	v_cmp_ne_u32_e32 vcc_lo, 1, v66
	s_cbranch_vccnz .LBB123_621
; %bb.620:
	scratch_load_b32 v67, v7, off
	ds_load_b32 v68, v1
	s_wait_loadcnt_dscnt 0x0
	v_mul_f32_e32 v67, v67, v68
	s_cbranch_execz .LBB123_622
	s_branch .LBB123_623
.LBB123_621:
                                        ; implicit-def: $vgpr67
.LBB123_622:
	ds_load_b32 v67, v1
.LBB123_623:
	s_mov_b32 s1, exec_lo
	v_cmpx_ne_u32_e32 4, v0
	s_cbranch_execz .LBB123_627
; %bb.624:
	v_add_nc_u32_e32 v68, 0xf4, v6
	v_add3_u32 v69, 0, v6, 4
	v_mov_b32_e32 v70, v0
	s_mov_b32 s2, 0
.LBB123_625:                            ; =>This Inner Loop Header: Depth=1
	scratch_load_b32 v71, v69, off
	ds_load_b32 v72, v68
	v_dual_add_nc_u32 v70, 1, v70 :: v_dual_add_nc_u32 v68, 4, v68
	s_wait_xcnt 0x0
	v_add_nc_u32_e32 v69, 4, v69
	s_delay_alu instid0(VALU_DEP_2)
	v_cmp_lt_u32_e32 vcc_lo, 3, v70
	s_or_b32 s2, vcc_lo, s2
	s_wait_loadcnt_dscnt 0x0
	v_fmac_f32_e32 v67, v71, v72
	s_and_not1_b32 exec_lo, exec_lo, s2
	s_cbranch_execnz .LBB123_625
; %bb.626:
	s_or_b32 exec_lo, exec_lo, s2
.LBB123_627:
	s_delay_alu instid0(SALU_CYCLE_1)
	s_or_b32 exec_lo, exec_lo, s1
	v_mov_b32_e32 v68, 0
	ds_load_b32 v68, v68 offset:20
	s_wait_dscnt 0x0
	v_mul_f32_e32 v67, v67, v68
	scratch_store_b32 off, v67, off offset:20
.LBB123_628:
	;; [unrolled: 59-line block ×39, first 2 shown]
	s_wait_xcnt 0x0
	s_or_b32 exec_lo, exec_lo, s0
	scratch_load_b32 v67, off, off offset:172
	s_mov_b32 s0, exec_lo
	s_wait_loadcnt 0x0
	ds_store_b32 v1, v67
	s_wait_storecnt_dscnt 0x0
	s_barrier_signal -1
	s_barrier_wait -1
	s_wait_xcnt 0x0
	v_cmpx_gt_u32_e32 43, v0
	s_cbranch_execz .LBB123_1008
; %bb.999:
	v_cmp_ne_u32_e32 vcc_lo, 1, v66
	s_cbranch_vccnz .LBB123_1001
; %bb.1000:
	scratch_load_b32 v67, v7, off
	ds_load_b32 v68, v1
	s_wait_loadcnt_dscnt 0x0
	v_mul_f32_e32 v67, v67, v68
	s_cbranch_execz .LBB123_1002
	s_branch .LBB123_1003
.LBB123_1001:
                                        ; implicit-def: $vgpr67
.LBB123_1002:
	ds_load_b32 v67, v1
.LBB123_1003:
	s_mov_b32 s1, exec_lo
	v_cmpx_ne_u32_e32 42, v0
	s_cbranch_execz .LBB123_1007
; %bb.1004:
	v_add_nc_u32_e32 v68, 0xf4, v6
	v_add3_u32 v69, 0, v6, 4
	v_mov_b32_e32 v70, v0
	s_mov_b32 s2, 0
.LBB123_1005:                           ; =>This Inner Loop Header: Depth=1
	scratch_load_b32 v71, v69, off
	ds_load_b32 v72, v68
	v_dual_add_nc_u32 v70, 1, v70 :: v_dual_add_nc_u32 v68, 4, v68
	s_wait_xcnt 0x0
	v_add_nc_u32_e32 v69, 4, v69
	s_delay_alu instid0(VALU_DEP_2)
	v_cmp_lt_u32_e32 vcc_lo, 41, v70
	s_or_b32 s2, vcc_lo, s2
	s_wait_loadcnt_dscnt 0x0
	v_fmac_f32_e32 v67, v71, v72
	s_and_not1_b32 exec_lo, exec_lo, s2
	s_cbranch_execnz .LBB123_1005
; %bb.1006:
	s_or_b32 exec_lo, exec_lo, s2
.LBB123_1007:
	s_delay_alu instid0(SALU_CYCLE_1)
	s_or_b32 exec_lo, exec_lo, s1
	v_mov_b32_e32 v68, 0
	ds_load_b32 v68, v68 offset:172
	s_wait_dscnt 0x0
	v_mul_f32_e32 v67, v67, v68
	scratch_store_b32 off, v67, off offset:172
.LBB123_1008:
	s_wait_xcnt 0x0
	s_or_b32 exec_lo, exec_lo, s0
	scratch_load_b32 v67, off, off offset:176
	s_mov_b32 s0, exec_lo
	s_wait_loadcnt 0x0
	ds_store_b32 v1, v67
	s_wait_storecnt_dscnt 0x0
	s_barrier_signal -1
	s_barrier_wait -1
	s_wait_xcnt 0x0
	v_cmpx_gt_u32_e32 44, v0
	s_cbranch_execz .LBB123_1018
; %bb.1009:
	v_cmp_ne_u32_e32 vcc_lo, 1, v66
	s_cbranch_vccnz .LBB123_1011
; %bb.1010:
	scratch_load_b32 v67, v7, off
	ds_load_b32 v68, v1
	s_wait_loadcnt_dscnt 0x0
	v_mul_f32_e32 v67, v67, v68
	s_cbranch_execz .LBB123_1012
	s_branch .LBB123_1013
.LBB123_1011:
                                        ; implicit-def: $vgpr67
.LBB123_1012:
	ds_load_b32 v67, v1
.LBB123_1013:
	s_mov_b32 s1, exec_lo
	v_cmpx_ne_u32_e32 43, v0
	s_cbranch_execz .LBB123_1017
; %bb.1014:
	v_add_nc_u32_e32 v68, 0xf4, v6
	v_add3_u32 v69, 0, v6, 4
	v_mov_b32_e32 v70, v0
	s_mov_b32 s2, 0
.LBB123_1015:                           ; =>This Inner Loop Header: Depth=1
	scratch_load_b32 v71, v69, off
	ds_load_b32 v72, v68
	v_dual_add_nc_u32 v70, 1, v70 :: v_dual_add_nc_u32 v68, 4, v68
	s_wait_xcnt 0x0
	v_add_nc_u32_e32 v69, 4, v69
	s_delay_alu instid0(VALU_DEP_2)
	v_cmp_lt_u32_e32 vcc_lo, 42, v70
	s_or_b32 s2, vcc_lo, s2
	s_wait_loadcnt_dscnt 0x0
	v_fmac_f32_e32 v67, v71, v72
	s_and_not1_b32 exec_lo, exec_lo, s2
	s_cbranch_execnz .LBB123_1015
; %bb.1016:
	s_or_b32 exec_lo, exec_lo, s2
.LBB123_1017:
	s_delay_alu instid0(SALU_CYCLE_1)
	s_or_b32 exec_lo, exec_lo, s1
	v_mov_b32_e32 v68, 0
	ds_load_b32 v68, v68 offset:176
	s_wait_dscnt 0x0
	v_mul_f32_e32 v67, v67, v68
	scratch_store_b32 off, v67, off offset:176
.LBB123_1018:
	;; [unrolled: 59-line block ×15, first 2 shown]
	s_wait_xcnt 0x0
	s_or_b32 exec_lo, exec_lo, s0
	scratch_load_b32 v67, off, off offset:232
	v_cmp_gt_u32_e64 s0, 58, v0
	s_wait_loadcnt 0x0
	ds_store_b32 v1, v67
	s_wait_storecnt_dscnt 0x0
	s_barrier_signal -1
	s_barrier_wait -1
	s_wait_xcnt 0x0
	s_and_saveexec_b32 s1, s0
	s_cbranch_execz .LBB123_1158
; %bb.1149:
	v_cmp_ne_u32_e32 vcc_lo, 1, v66
	s_cbranch_vccnz .LBB123_1151
; %bb.1150:
	scratch_load_b32 v67, v7, off
	ds_load_b32 v68, v1
	s_wait_loadcnt_dscnt 0x0
	v_mul_f32_e32 v67, v67, v68
	s_cbranch_execz .LBB123_1152
	s_branch .LBB123_1153
.LBB123_1151:
                                        ; implicit-def: $vgpr67
.LBB123_1152:
	ds_load_b32 v67, v1
.LBB123_1153:
	s_mov_b32 s2, exec_lo
	v_cmpx_ne_u32_e32 57, v0
	s_cbranch_execz .LBB123_1157
; %bb.1154:
	v_add_nc_u32_e32 v68, 0xf4, v6
	v_add3_u32 v69, 0, v6, 4
	v_mov_b32_e32 v70, v0
	s_mov_b32 s3, 0
.LBB123_1155:                           ; =>This Inner Loop Header: Depth=1
	scratch_load_b32 v71, v69, off
	ds_load_b32 v72, v68
	v_dual_add_nc_u32 v70, 1, v70 :: v_dual_add_nc_u32 v68, 4, v68
	s_wait_xcnt 0x0
	v_add_nc_u32_e32 v69, 4, v69
	s_delay_alu instid0(VALU_DEP_2)
	v_cmp_lt_u32_e32 vcc_lo, 56, v70
	s_or_b32 s3, vcc_lo, s3
	s_wait_loadcnt_dscnt 0x0
	v_fmac_f32_e32 v67, v71, v72
	s_and_not1_b32 exec_lo, exec_lo, s3
	s_cbranch_execnz .LBB123_1155
; %bb.1156:
	s_or_b32 exec_lo, exec_lo, s3
.LBB123_1157:
	s_delay_alu instid0(SALU_CYCLE_1)
	s_or_b32 exec_lo, exec_lo, s2
	v_mov_b32_e32 v68, 0
	ds_load_b32 v68, v68 offset:232
	s_wait_dscnt 0x0
	v_mul_f32_e32 v67, v67, v68
	scratch_store_b32 off, v67, off offset:232
.LBB123_1158:
	s_wait_xcnt 0x0
	s_or_b32 exec_lo, exec_lo, s1
	scratch_load_b32 v67, off, off offset:236
	s_mov_b32 s1, exec_lo
	s_wait_loadcnt 0x0
	ds_store_b32 v1, v67
	s_wait_storecnt_dscnt 0x0
	s_barrier_signal -1
	s_barrier_wait -1
	s_wait_xcnt 0x0
	v_cmpx_ne_u32_e32 59, v0
	s_cbranch_execz .LBB123_1168
; %bb.1159:
	v_cmp_ne_u32_e32 vcc_lo, 1, v66
	s_cbranch_vccnz .LBB123_1161
; %bb.1160:
	scratch_load_b32 v7, v7, off
	ds_load_b32 v66, v1
	s_wait_loadcnt_dscnt 0x0
	v_mul_f32_e32 v7, v7, v66
	s_cbranch_execz .LBB123_1162
	s_branch .LBB123_1163
.LBB123_1161:
                                        ; implicit-def: $vgpr7
.LBB123_1162:
	ds_load_b32 v7, v1
.LBB123_1163:
	s_and_saveexec_b32 s2, s0
	s_cbranch_execz .LBB123_1167
; %bb.1164:
	v_add_nc_u32_e32 v1, 0xf4, v6
	v_add3_u32 v6, 0, v6, 4
	s_mov_b32 s0, 0
.LBB123_1165:                           ; =>This Inner Loop Header: Depth=1
	scratch_load_b32 v66, v6, off
	ds_load_b32 v67, v1
	v_dual_add_nc_u32 v0, 1, v0 :: v_dual_add_nc_u32 v1, 4, v1
	s_wait_xcnt 0x0
	v_add_nc_u32_e32 v6, 4, v6
	s_delay_alu instid0(VALU_DEP_2)
	v_cmp_lt_u32_e32 vcc_lo, 57, v0
	s_or_b32 s0, vcc_lo, s0
	s_wait_loadcnt_dscnt 0x0
	v_fmac_f32_e32 v7, v66, v67
	s_and_not1_b32 exec_lo, exec_lo, s0
	s_cbranch_execnz .LBB123_1165
; %bb.1166:
	s_or_b32 exec_lo, exec_lo, s0
.LBB123_1167:
	s_delay_alu instid0(SALU_CYCLE_1)
	s_or_b32 exec_lo, exec_lo, s2
	v_mov_b32_e32 v0, 0
	ds_load_b32 v0, v0 offset:236
	s_wait_dscnt 0x0
	v_mul_f32_e32 v0, v7, v0
	scratch_store_b32 off, v0, off offset:236
.LBB123_1168:
	s_wait_xcnt 0x0
	s_or_b32 exec_lo, exec_lo, s1
.LBB123_1169:
	scratch_load_b32 v0, off, off
	s_wait_loadcnt 0x0
	flat_store_b32 v[2:3], v0
	scratch_load_b32 v0, off, off offset:4
	s_wait_loadcnt 0x0
	flat_store_b32 v[4:5], v0
	scratch_load_b32 v0, off, off offset:8
	;; [unrolled: 3-line block ×59, first 2 shown]
	s_wait_loadcnt 0x0
	flat_store_b32 v[8:9], v0
.LBB123_1170:
	s_sendmsg sendmsg(MSG_DEALLOC_VGPRS)
	s_endpgm
	.section	.rodata,"a",@progbits
	.p2align	6, 0x0
	.amdhsa_kernel _ZN9rocsolver6v33100L18trti2_kernel_smallILi60EfPKPfEEv13rocblas_fill_17rocblas_diagonal_T1_iil
		.amdhsa_group_segment_fixed_size 480
		.amdhsa_private_segment_fixed_size 256
		.amdhsa_kernarg_size 32
		.amdhsa_user_sgpr_count 2
		.amdhsa_user_sgpr_dispatch_ptr 0
		.amdhsa_user_sgpr_queue_ptr 0
		.amdhsa_user_sgpr_kernarg_segment_ptr 1
		.amdhsa_user_sgpr_dispatch_id 0
		.amdhsa_user_sgpr_kernarg_preload_length 0
		.amdhsa_user_sgpr_kernarg_preload_offset 0
		.amdhsa_user_sgpr_private_segment_size 0
		.amdhsa_wavefront_size32 1
		.amdhsa_uses_dynamic_stack 0
		.amdhsa_enable_private_segment 1
		.amdhsa_system_sgpr_workgroup_id_x 1
		.amdhsa_system_sgpr_workgroup_id_y 0
		.amdhsa_system_sgpr_workgroup_id_z 0
		.amdhsa_system_sgpr_workgroup_info 0
		.amdhsa_system_vgpr_workitem_id 0
		.amdhsa_next_free_vgpr 182
		.amdhsa_next_free_sgpr 66
		.amdhsa_named_barrier_count 0
		.amdhsa_reserve_vcc 1
		.amdhsa_float_round_mode_32 0
		.amdhsa_float_round_mode_16_64 0
		.amdhsa_float_denorm_mode_32 3
		.amdhsa_float_denorm_mode_16_64 3
		.amdhsa_fp16_overflow 0
		.amdhsa_memory_ordered 1
		.amdhsa_forward_progress 1
		.amdhsa_inst_pref_size 255
		.amdhsa_round_robin_scheduling 0
		.amdhsa_exception_fp_ieee_invalid_op 0
		.amdhsa_exception_fp_denorm_src 0
		.amdhsa_exception_fp_ieee_div_zero 0
		.amdhsa_exception_fp_ieee_overflow 0
		.amdhsa_exception_fp_ieee_underflow 0
		.amdhsa_exception_fp_ieee_inexact 0
		.amdhsa_exception_int_div_zero 0
	.end_amdhsa_kernel
	.section	.text._ZN9rocsolver6v33100L18trti2_kernel_smallILi60EfPKPfEEv13rocblas_fill_17rocblas_diagonal_T1_iil,"axG",@progbits,_ZN9rocsolver6v33100L18trti2_kernel_smallILi60EfPKPfEEv13rocblas_fill_17rocblas_diagonal_T1_iil,comdat
.Lfunc_end123:
	.size	_ZN9rocsolver6v33100L18trti2_kernel_smallILi60EfPKPfEEv13rocblas_fill_17rocblas_diagonal_T1_iil, .Lfunc_end123-_ZN9rocsolver6v33100L18trti2_kernel_smallILi60EfPKPfEEv13rocblas_fill_17rocblas_diagonal_T1_iil
                                        ; -- End function
	.set _ZN9rocsolver6v33100L18trti2_kernel_smallILi60EfPKPfEEv13rocblas_fill_17rocblas_diagonal_T1_iil.num_vgpr, 182
	.set _ZN9rocsolver6v33100L18trti2_kernel_smallILi60EfPKPfEEv13rocblas_fill_17rocblas_diagonal_T1_iil.num_agpr, 0
	.set _ZN9rocsolver6v33100L18trti2_kernel_smallILi60EfPKPfEEv13rocblas_fill_17rocblas_diagonal_T1_iil.numbered_sgpr, 66
	.set _ZN9rocsolver6v33100L18trti2_kernel_smallILi60EfPKPfEEv13rocblas_fill_17rocblas_diagonal_T1_iil.num_named_barrier, 0
	.set _ZN9rocsolver6v33100L18trti2_kernel_smallILi60EfPKPfEEv13rocblas_fill_17rocblas_diagonal_T1_iil.private_seg_size, 256
	.set _ZN9rocsolver6v33100L18trti2_kernel_smallILi60EfPKPfEEv13rocblas_fill_17rocblas_diagonal_T1_iil.uses_vcc, 1
	.set _ZN9rocsolver6v33100L18trti2_kernel_smallILi60EfPKPfEEv13rocblas_fill_17rocblas_diagonal_T1_iil.uses_flat_scratch, 0
	.set _ZN9rocsolver6v33100L18trti2_kernel_smallILi60EfPKPfEEv13rocblas_fill_17rocblas_diagonal_T1_iil.has_dyn_sized_stack, 0
	.set _ZN9rocsolver6v33100L18trti2_kernel_smallILi60EfPKPfEEv13rocblas_fill_17rocblas_diagonal_T1_iil.has_recursion, 0
	.set _ZN9rocsolver6v33100L18trti2_kernel_smallILi60EfPKPfEEv13rocblas_fill_17rocblas_diagonal_T1_iil.has_indirect_call, 0
	.section	.AMDGPU.csdata,"",@progbits
; Kernel info:
; codeLenInByte = 34752
; TotalNumSgprs: 68
; NumVgprs: 182
; ScratchSize: 256
; MemoryBound: 0
; FloatMode: 240
; IeeeMode: 1
; LDSByteSize: 480 bytes/workgroup (compile time only)
; SGPRBlocks: 0
; VGPRBlocks: 11
; NumSGPRsForWavesPerEU: 68
; NumVGPRsForWavesPerEU: 182
; NamedBarCnt: 0
; Occupancy: 5
; WaveLimiterHint : 1
; COMPUTE_PGM_RSRC2:SCRATCH_EN: 1
; COMPUTE_PGM_RSRC2:USER_SGPR: 2
; COMPUTE_PGM_RSRC2:TRAP_HANDLER: 0
; COMPUTE_PGM_RSRC2:TGID_X_EN: 1
; COMPUTE_PGM_RSRC2:TGID_Y_EN: 0
; COMPUTE_PGM_RSRC2:TGID_Z_EN: 0
; COMPUTE_PGM_RSRC2:TIDIG_COMP_CNT: 0
	.section	.text._ZN9rocsolver6v33100L18trti2_kernel_smallILi61EfPKPfEEv13rocblas_fill_17rocblas_diagonal_T1_iil,"axG",@progbits,_ZN9rocsolver6v33100L18trti2_kernel_smallILi61EfPKPfEEv13rocblas_fill_17rocblas_diagonal_T1_iil,comdat
	.globl	_ZN9rocsolver6v33100L18trti2_kernel_smallILi61EfPKPfEEv13rocblas_fill_17rocblas_diagonal_T1_iil ; -- Begin function _ZN9rocsolver6v33100L18trti2_kernel_smallILi61EfPKPfEEv13rocblas_fill_17rocblas_diagonal_T1_iil
	.p2align	8
	.type	_ZN9rocsolver6v33100L18trti2_kernel_smallILi61EfPKPfEEv13rocblas_fill_17rocblas_diagonal_T1_iil,@function
_ZN9rocsolver6v33100L18trti2_kernel_smallILi61EfPKPfEEv13rocblas_fill_17rocblas_diagonal_T1_iil: ; @_ZN9rocsolver6v33100L18trti2_kernel_smallILi61EfPKPfEEv13rocblas_fill_17rocblas_diagonal_T1_iil
; %bb.0:
	s_mov_b32 s2, exec_lo
	v_cmpx_gt_u32_e32 61, v0
	s_cbranch_execz .LBB124_1190
; %bb.1:
	s_clause 0x1
	s_load_b64 s[8:9], s[0:1], 0x10
	s_load_b128 s[4:7], s[0:1], 0x0
	s_wait_xcnt 0x0
	s_bfe_u32 s0, ttmp6, 0x4000c
	s_and_b32 s1, ttmp6, 15
	s_add_co_i32 s0, s0, 1
	s_getreg_b32 s2, hwreg(HW_REG_IB_STS2, 6, 4)
	s_mul_i32 s0, ttmp9, s0
	v_dual_mov_b32 v7, 0 :: v_dual_lshlrev_b32 v6, 2, v0
	s_add_co_i32 s0, s1, s0
	v_mov_b32_e32 v126, -1.0
	s_wait_kmcnt 0x0
	s_ashr_i32 s1, s8, 31
	s_cmp_eq_u32 s2, 0
	v_add3_u32 v8, s9, s9, v0
	s_cselect_b32 s2, ttmp9, s0
	s_mov_b32 s0, s8
	s_ashr_i32 s3, s2, 31
	s_lshl_b64 s[0:1], s[0:1], 2
	s_lshl_b64 s[2:3], s[2:3], 3
	v_add_nc_u32_e32 v10, s9, v8
	s_add_nc_u64 s[2:3], s[6:7], s[2:3]
	v_ashrrev_i32_e32 v9, 31, v8
	s_load_b64 s[2:3], s[2:3], 0x0
	s_delay_alu instid0(VALU_DEP_2) | instskip(NEXT) | instid1(VALU_DEP_1)
	v_add_nc_u32_e32 v12, s9, v10
	v_add_nc_u32_e32 v14, s9, v12
	s_delay_alu instid0(VALU_DEP_1) | instskip(NEXT) | instid1(VALU_DEP_1)
	v_add_nc_u32_e32 v16, s9, v14
	v_dual_ashrrev_i32 v11, 31, v10 :: v_dual_add_nc_u32 v18, s9, v16
	v_ashrrev_i32_e32 v17, 31, v16
	s_wait_kmcnt 0x0
	s_add_nc_u64 s[2:3], s[2:3], s[0:1]
	s_mov_b32 s0, s9
	flat_load_b32 v1, v0, s[2:3] scale_offset
	v_add_nc_u64_e32 v[2:3], s[2:3], v[6:7]
	s_ashr_i32 s1, s9, 31
	v_dual_add_nc_u32 v20, s9, v18 :: v_dual_ashrrev_i32 v13, 31, v12
	v_ashrrev_i32_e32 v15, 31, v14
	v_ashrrev_i32_e32 v19, 31, v18
	s_cmp_lg_u32 s5, 0x84
	s_delay_alu instid0(VALU_DEP_4) | instskip(SKIP_4) | instid1(VALU_DEP_1)
	v_lshl_add_u64 v[4:5], s[0:1], 2, v[2:3]
	v_add_nc_u32_e32 v22, s9, v20
	s_cselect_b32 s6, -1, 0
	s_cmp_eq_u32 s5, 0x84
	s_movk_i32 s1, 0x84
	v_add_nc_u32_e32 v24, s9, v22
	s_delay_alu instid0(VALU_DEP_1) | instskip(NEXT) | instid1(VALU_DEP_1)
	v_add_nc_u32_e32 v26, s9, v24
	v_dual_add_nc_u32 v28, s9, v26 :: v_dual_ashrrev_i32 v21, 31, v20
	s_delay_alu instid0(VALU_DEP_1) | instskip(NEXT) | instid1(VALU_DEP_1)
	v_dual_ashrrev_i32 v23, 31, v22 :: v_dual_add_nc_u32 v30, s9, v28
	v_dual_ashrrev_i32 v29, 31, v28 :: v_dual_ashrrev_i32 v31, 31, v30
	v_dual_add_nc_u32 v32, s9, v30 :: v_dual_ashrrev_i32 v25, 31, v24
	s_delay_alu instid0(VALU_DEP_1) | instskip(NEXT) | instid1(VALU_DEP_1)
	v_dual_ashrrev_i32 v27, 31, v26 :: v_dual_add_nc_u32 v34, s9, v32
	v_add_nc_u32_e32 v36, s9, v34
	s_delay_alu instid0(VALU_DEP_1) | instskip(NEXT) | instid1(VALU_DEP_1)
	v_add_nc_u32_e32 v38, s9, v36
	v_dual_add_nc_u32 v40, s9, v38 :: v_dual_ashrrev_i32 v33, 31, v32
	s_delay_alu instid0(VALU_DEP_1) | instskip(NEXT) | instid1(VALU_DEP_1)
	v_dual_ashrrev_i32 v35, 31, v34 :: v_dual_add_nc_u32 v42, s9, v40
	v_dual_ashrrev_i32 v41, 31, v40 :: v_dual_ashrrev_i32 v43, 31, v42
	v_dual_add_nc_u32 v44, s9, v42 :: v_dual_ashrrev_i32 v37, 31, v36
	s_delay_alu instid0(VALU_DEP_1) | instskip(NEXT) | instid1(VALU_DEP_1)
	v_dual_ashrrev_i32 v39, 31, v38 :: v_dual_add_nc_u32 v46, s9, v44
	;; [unrolled: 10-line block ×8, first 2 shown]
	v_add_nc_u32_e32 v120, s9, v118
	s_delay_alu instid0(VALU_DEP_1) | instskip(NEXT) | instid1(VALU_DEP_1)
	v_dual_add_nc_u32 v122, s9, v120 :: v_dual_ashrrev_i32 v121, 31, v120
	v_dual_ashrrev_i32 v123, 31, v122 :: v_dual_add_nc_u32 v124, s9, v122
	v_dual_ashrrev_i32 v117, 31, v116 :: v_dual_ashrrev_i32 v119, 31, v118
	s_delay_alu instid0(VALU_DEP_2)
	v_ashrrev_i32_e32 v125, 31, v124
	s_wait_loadcnt_dscnt 0x0
	scratch_store_b32 off, v1, off
	flat_load_b32 v1, v[4:5]
	s_wait_loadcnt_dscnt 0x0
	scratch_store_b32 off, v1, off offset:4
	flat_load_b32 v1, v8, s[2:3] scale_offset
	s_wait_loadcnt_dscnt 0x0
	scratch_store_b32 off, v1, off offset:8
	flat_load_b32 v1, v10, s[2:3] scale_offset
	;; [unrolled: 3-line block ×59, first 2 shown]
	s_wait_loadcnt_dscnt 0x0
	scratch_store_b32 off, v1, off offset:240
	s_cbranch_scc1 .LBB124_3
; %bb.2:
	scratch_load_b32 v1, v0, off scale_offset
	s_wait_loadcnt 0x0
	v_div_scale_f32 v7, null, v1, v1, 1.0
	s_delay_alu instid0(VALU_DEP_1) | instskip(SKIP_1) | instid1(TRANS32_DEP_1)
	v_rcp_f32_e32 v126, v7
	v_nop
	v_fma_f32 v127, -v7, v126, 1.0
	s_delay_alu instid0(VALU_DEP_1) | instskip(SKIP_1) | instid1(VALU_DEP_1)
	v_fmac_f32_e32 v126, v127, v126
	v_div_scale_f32 v127, vcc_lo, 1.0, v1, 1.0
	v_mul_f32_e32 v128, v127, v126
	s_delay_alu instid0(VALU_DEP_1) | instskip(NEXT) | instid1(VALU_DEP_1)
	v_fma_f32 v129, -v7, v128, v127
	v_fmac_f32_e32 v128, v129, v126
	s_delay_alu instid0(VALU_DEP_1) | instskip(NEXT) | instid1(VALU_DEP_1)
	v_fma_f32 v7, -v7, v128, v127
	v_div_fmas_f32 v7, v7, v126, v128
	s_delay_alu instid0(VALU_DEP_1) | instskip(NEXT) | instid1(VALU_DEP_1)
	v_div_fixup_f32 v1, v7, v1, 1.0
	v_xor_b32_e32 v126, 0x80000000, v1
	scratch_store_b32 v0, v1, off scale_offset
.LBB124_3:
	s_wait_xcnt 0x0
	v_or_b32_e32 v1, 0x100, v6
	v_mov_b32_e32 v7, v6
	s_cmp_eq_u32 s4, 0x79
	s_mov_b32 s5, -1
	ds_store_b32 v6, v126
	s_cbranch_scc1 .LBB124_597
; %bb.4:
	scratch_load_b32 v126, off, off offset:236
	v_cmp_eq_u32_e64 s0, 60, v0
	s_movk_i32 s21, 0x44
	s_movk_i32 s22, 0x48
	;; [unrolled: 1-line block ×41, first 2 shown]
	s_wait_loadcnt 0x0
	ds_store_b32 v1, v126
	s_wait_storecnt_dscnt 0x0
	s_barrier_signal -1
	s_barrier_wait -1
	s_wait_xcnt 0x0
	s_and_saveexec_b32 s4, s0
	s_cbranch_execz .LBB124_10
; %bb.5:
	s_and_b32 vcc_lo, exec_lo, s6
	s_cbranch_vccz .LBB124_7
; %bb.6:
	scratch_load_b32 v126, v7, off
	ds_load_b32 v127, v1
	s_wait_loadcnt_dscnt 0x0
	v_mul_f32_e32 v126, v126, v127
	s_cbranch_execz .LBB124_8
	s_branch .LBB124_9
.LBB124_7:
                                        ; implicit-def: $vgpr126
	s_and_not1_b32 vcc_lo, exec_lo, s5
	s_cbranch_vccnz .LBB124_9
.LBB124_8:
	ds_load_b32 v126, v1
.LBB124_9:
	v_mov_b32_e32 v127, 0
	ds_load_b32 v127, v127 offset:236
	s_wait_dscnt 0x0
	v_mul_f32_e32 v126, v126, v127
	scratch_store_b32 off, v126, off offset:236
.LBB124_10:
	s_wait_xcnt 0x0
	s_or_b32 exec_lo, exec_lo, s4
	scratch_load_b32 v126, off, off offset:232
	s_mov_b32 s38, s1
	v_cmp_lt_u32_e64 s1, 58, v0
	s_or_b32 s4, 0, 4
	s_or_b32 s5, 0, 8
	;; [unrolled: 1-line block ×3, first 2 shown]
	s_mov_b32 s8, 16
	s_mov_b32 s9, 20
	;; [unrolled: 1-line block ×13, first 2 shown]
	s_wait_loadcnt 0x0
	ds_store_b32 v1, v126
	s_wait_storecnt_dscnt 0x0
	s_barrier_signal -1
	s_barrier_wait -1
	s_wait_xcnt 0x0
	s_and_saveexec_b32 s64, s1
	s_cbranch_execz .LBB124_16
; %bb.11:
	s_and_not1_b32 vcc_lo, exec_lo, s6
	s_cbranch_vccnz .LBB124_13
; %bb.12:
	scratch_load_b32 v126, v7, off
	ds_load_b32 v127, v1
	s_wait_loadcnt_dscnt 0x0
	v_mul_f32_e32 v126, v126, v127
	s_cbranch_execz .LBB124_14
	s_branch .LBB124_15
.LBB124_13:
                                        ; implicit-def: $vgpr126
.LBB124_14:
	ds_load_b32 v126, v1
.LBB124_15:
	scratch_load_b32 v127, off, off offset:236
	v_mov_b32_e32 v128, 0
	ds_load_2addr_b32 v[128:129], v128 offset0:58 offset1:123
	s_wait_loadcnt_dscnt 0x0
	v_fma_f32 v127, v127, v129, v126
	s_delay_alu instid0(VALU_DEP_1) | instskip(NEXT) | instid1(VALU_DEP_1)
	v_cndmask_b32_e64 v126, v126, v127, s0
	v_mul_f32_e32 v126, v126, v128
	scratch_store_b32 off, v126, off offset:232
.LBB124_16:
	s_wait_xcnt 0x0
	s_or_b32 exec_lo, exec_lo, s64
	scratch_load_b32 v126, off, off offset:228
	v_cmp_lt_u32_e64 s0, 57, v0
	s_wait_loadcnt 0x0
	ds_store_b32 v1, v126
	s_wait_storecnt_dscnt 0x0
	s_barrier_signal -1
	s_barrier_wait -1
	s_wait_xcnt 0x0
	s_and_saveexec_b32 s64, s0
	s_cbranch_execz .LBB124_26
; %bb.17:
	s_and_not1_b32 vcc_lo, exec_lo, s6
	s_cbranch_vccnz .LBB124_19
; %bb.18:
	scratch_load_b32 v126, v7, off
	ds_load_b32 v127, v1
	s_wait_loadcnt_dscnt 0x0
	v_mul_f32_e32 v126, v126, v127
	s_cbranch_execz .LBB124_20
	s_branch .LBB124_21
.LBB124_19:
                                        ; implicit-def: $vgpr126
.LBB124_20:
	ds_load_b32 v126, v1
.LBB124_21:
	s_and_saveexec_b32 s65, s1
	s_cbranch_execz .LBB124_25
; %bb.22:
	v_subrev_nc_u32_e32 v127, 58, v0
	s_movk_i32 s66, 0x1e8
	s_mov_b32 s1, 0
.LBB124_23:                             ; =>This Inner Loop Header: Depth=1
	scratch_load_b32 v128, off, s63
	v_dual_mov_b32 v129, s66 :: v_dual_add_nc_u32 v127, -1, v127
	s_add_co_i32 s66, s66, 4
	s_wait_xcnt 0x0
	s_add_co_i32 s63, s63, 4
	ds_load_b32 v129, v129
	v_cmp_eq_u32_e32 vcc_lo, 0, v127
	s_or_b32 s1, vcc_lo, s1
	s_wait_loadcnt_dscnt 0x0
	v_fmac_f32_e32 v126, v128, v129
	s_and_not1_b32 exec_lo, exec_lo, s1
	s_cbranch_execnz .LBB124_23
; %bb.24:
	s_or_b32 exec_lo, exec_lo, s1
.LBB124_25:
	s_delay_alu instid0(SALU_CYCLE_1)
	s_or_b32 exec_lo, exec_lo, s65
	v_mov_b32_e32 v127, 0
	ds_load_b32 v127, v127 offset:228
	s_wait_dscnt 0x0
	v_mul_f32_e32 v126, v126, v127
	scratch_store_b32 off, v126, off offset:228
.LBB124_26:
	s_wait_xcnt 0x0
	s_or_b32 exec_lo, exec_lo, s64
	scratch_load_b32 v126, off, off offset:224
	v_cmp_lt_u32_e64 s1, 56, v0
	s_wait_loadcnt 0x0
	ds_store_b32 v1, v126
	s_wait_storecnt_dscnt 0x0
	s_barrier_signal -1
	s_barrier_wait -1
	s_wait_xcnt 0x0
	s_and_saveexec_b32 s63, s1
	s_cbranch_execz .LBB124_36
; %bb.27:
	s_and_not1_b32 vcc_lo, exec_lo, s6
	s_cbranch_vccnz .LBB124_29
; %bb.28:
	scratch_load_b32 v126, v7, off
	ds_load_b32 v127, v1
	s_wait_loadcnt_dscnt 0x0
	v_mul_f32_e32 v126, v126, v127
	s_cbranch_execz .LBB124_30
	s_branch .LBB124_31
.LBB124_29:
                                        ; implicit-def: $vgpr126
.LBB124_30:
	ds_load_b32 v126, v1
.LBB124_31:
	s_and_saveexec_b32 s64, s0
	s_cbranch_execz .LBB124_35
; %bb.32:
	v_subrev_nc_u32_e32 v127, 57, v0
	s_movk_i32 s65, 0x1e4
	s_mov_b32 s0, 0
.LBB124_33:                             ; =>This Inner Loop Header: Depth=1
	scratch_load_b32 v128, off, s62
	v_dual_mov_b32 v129, s65 :: v_dual_add_nc_u32 v127, -1, v127
	s_add_co_i32 s65, s65, 4
	s_wait_xcnt 0x0
	s_add_co_i32 s62, s62, 4
	ds_load_b32 v129, v129
	v_cmp_eq_u32_e32 vcc_lo, 0, v127
	s_or_b32 s0, vcc_lo, s0
	s_wait_loadcnt_dscnt 0x0
	v_fmac_f32_e32 v126, v128, v129
	s_and_not1_b32 exec_lo, exec_lo, s0
	s_cbranch_execnz .LBB124_33
; %bb.34:
	s_or_b32 exec_lo, exec_lo, s0
.LBB124_35:
	s_delay_alu instid0(SALU_CYCLE_1)
	s_or_b32 exec_lo, exec_lo, s64
	v_mov_b32_e32 v127, 0
	ds_load_b32 v127, v127 offset:224
	s_wait_dscnt 0x0
	v_mul_f32_e32 v126, v126, v127
	scratch_store_b32 off, v126, off offset:224
.LBB124_36:
	;; [unrolled: 57-line block ×8, first 2 shown]
	s_wait_xcnt 0x0
	s_or_b32 exec_lo, exec_lo, s57
	scratch_load_b32 v126, off, off offset:196
	v_cmp_lt_u32_e64 s0, 49, v0
	s_wait_loadcnt 0x0
	ds_store_b32 v1, v126
	s_wait_storecnt_dscnt 0x0
	s_barrier_signal -1
	s_barrier_wait -1
	s_wait_xcnt 0x0
	s_and_saveexec_b32 s56, s0
	s_cbranch_execz .LBB124_106
; %bb.97:
	s_and_not1_b32 vcc_lo, exec_lo, s6
	s_cbranch_vccnz .LBB124_99
; %bb.98:
	scratch_load_b32 v126, v7, off
	ds_load_b32 v127, v1
	s_wait_loadcnt_dscnt 0x0
	v_mul_f32_e32 v126, v126, v127
	s_cbranch_execz .LBB124_100
	s_branch .LBB124_101
.LBB124_99:
                                        ; implicit-def: $vgpr126
.LBB124_100:
	ds_load_b32 v126, v1
.LBB124_101:
	s_and_saveexec_b32 s57, s1
	s_cbranch_execz .LBB124_105
; %bb.102:
	v_subrev_nc_u32_e32 v127, 50, v0
	s_movk_i32 s58, 0x1c8
	s_mov_b32 s1, 0
.LBB124_103:                            ; =>This Inner Loop Header: Depth=1
	scratch_load_b32 v128, off, s55
	v_dual_mov_b32 v129, s58 :: v_dual_add_nc_u32 v127, -1, v127
	s_add_co_i32 s58, s58, 4
	s_wait_xcnt 0x0
	s_add_co_i32 s55, s55, 4
	ds_load_b32 v129, v129
	v_cmp_eq_u32_e32 vcc_lo, 0, v127
	s_or_b32 s1, vcc_lo, s1
	s_wait_loadcnt_dscnt 0x0
	v_fmac_f32_e32 v126, v128, v129
	s_and_not1_b32 exec_lo, exec_lo, s1
	s_cbranch_execnz .LBB124_103
; %bb.104:
	s_or_b32 exec_lo, exec_lo, s1
.LBB124_105:
	s_delay_alu instid0(SALU_CYCLE_1)
	s_or_b32 exec_lo, exec_lo, s57
	v_mov_b32_e32 v127, 0
	ds_load_b32 v127, v127 offset:196
	s_wait_dscnt 0x0
	v_mul_f32_e32 v126, v126, v127
	scratch_store_b32 off, v126, off offset:196
.LBB124_106:
	s_wait_xcnt 0x0
	s_or_b32 exec_lo, exec_lo, s56
	scratch_load_b32 v126, off, off offset:192
	v_cmp_lt_u32_e64 s1, 48, v0
	s_wait_loadcnt 0x0
	ds_store_b32 v1, v126
	s_wait_storecnt_dscnt 0x0
	s_barrier_signal -1
	s_barrier_wait -1
	s_wait_xcnt 0x0
	s_and_saveexec_b32 s55, s1
	s_cbranch_execz .LBB124_116
; %bb.107:
	s_and_not1_b32 vcc_lo, exec_lo, s6
	s_cbranch_vccnz .LBB124_109
; %bb.108:
	scratch_load_b32 v126, v7, off
	ds_load_b32 v127, v1
	s_wait_loadcnt_dscnt 0x0
	v_mul_f32_e32 v126, v126, v127
	s_cbranch_execz .LBB124_110
	s_branch .LBB124_111
.LBB124_109:
                                        ; implicit-def: $vgpr126
.LBB124_110:
	ds_load_b32 v126, v1
.LBB124_111:
	s_and_saveexec_b32 s56, s0
	s_cbranch_execz .LBB124_115
; %bb.112:
	v_subrev_nc_u32_e32 v127, 49, v0
	s_movk_i32 s57, 0x1c4
	s_mov_b32 s0, 0
.LBB124_113:                            ; =>This Inner Loop Header: Depth=1
	scratch_load_b32 v128, off, s54
	v_dual_mov_b32 v129, s57 :: v_dual_add_nc_u32 v127, -1, v127
	s_add_co_i32 s57, s57, 4
	s_wait_xcnt 0x0
	s_add_co_i32 s54, s54, 4
	ds_load_b32 v129, v129
	v_cmp_eq_u32_e32 vcc_lo, 0, v127
	s_or_b32 s0, vcc_lo, s0
	s_wait_loadcnt_dscnt 0x0
	v_fmac_f32_e32 v126, v128, v129
	s_and_not1_b32 exec_lo, exec_lo, s0
	s_cbranch_execnz .LBB124_113
; %bb.114:
	s_or_b32 exec_lo, exec_lo, s0
.LBB124_115:
	s_delay_alu instid0(SALU_CYCLE_1)
	s_or_b32 exec_lo, exec_lo, s56
	v_mov_b32_e32 v127, 0
	ds_load_b32 v127, v127 offset:192
	s_wait_dscnt 0x0
	v_mul_f32_e32 v126, v126, v127
	scratch_store_b32 off, v126, off offset:192
.LBB124_116:
	s_wait_xcnt 0x0
	s_or_b32 exec_lo, exec_lo, s55
	scratch_load_b32 v126, off, off offset:188
	v_cmp_lt_u32_e64 s0, 47, v0
	s_wait_loadcnt 0x0
	ds_store_b32 v1, v126
	s_wait_storecnt_dscnt 0x0
	s_barrier_signal -1
	s_barrier_wait -1
	s_wait_xcnt 0x0
	s_and_saveexec_b32 s54, s0
	s_cbranch_execz .LBB124_126
; %bb.117:
	s_and_not1_b32 vcc_lo, exec_lo, s6
	s_cbranch_vccnz .LBB124_119
; %bb.118:
	scratch_load_b32 v126, v7, off
	ds_load_b32 v127, v1
	s_wait_loadcnt_dscnt 0x0
	v_mul_f32_e32 v126, v126, v127
	s_cbranch_execz .LBB124_120
	s_branch .LBB124_121
.LBB124_119:
                                        ; implicit-def: $vgpr126
.LBB124_120:
	ds_load_b32 v126, v1
.LBB124_121:
	s_and_saveexec_b32 s55, s1
	s_cbranch_execz .LBB124_125
; %bb.122:
	v_subrev_nc_u32_e32 v127, 48, v0
	s_movk_i32 s56, 0x1c0
	s_mov_b32 s1, 0
.LBB124_123:                            ; =>This Inner Loop Header: Depth=1
	scratch_load_b32 v128, off, s53
	v_dual_mov_b32 v129, s56 :: v_dual_add_nc_u32 v127, -1, v127
	s_add_co_i32 s56, s56, 4
	s_wait_xcnt 0x0
	s_add_co_i32 s53, s53, 4
	ds_load_b32 v129, v129
	v_cmp_eq_u32_e32 vcc_lo, 0, v127
	s_or_b32 s1, vcc_lo, s1
	s_wait_loadcnt_dscnt 0x0
	v_fmac_f32_e32 v126, v128, v129
	s_and_not1_b32 exec_lo, exec_lo, s1
	s_cbranch_execnz .LBB124_123
; %bb.124:
	s_or_b32 exec_lo, exec_lo, s1
.LBB124_125:
	s_delay_alu instid0(SALU_CYCLE_1)
	s_or_b32 exec_lo, exec_lo, s55
	v_mov_b32_e32 v127, 0
	ds_load_b32 v127, v127 offset:188
	s_wait_dscnt 0x0
	v_mul_f32_e32 v126, v126, v127
	scratch_store_b32 off, v126, off offset:188
.LBB124_126:
	s_wait_xcnt 0x0
	s_or_b32 exec_lo, exec_lo, s54
	scratch_load_b32 v126, off, off offset:184
	v_cmp_lt_u32_e64 s1, 46, v0
	s_wait_loadcnt 0x0
	ds_store_b32 v1, v126
	s_wait_storecnt_dscnt 0x0
	s_barrier_signal -1
	s_barrier_wait -1
	s_wait_xcnt 0x0
	s_and_saveexec_b32 s53, s1
	s_cbranch_execz .LBB124_136
; %bb.127:
	s_and_not1_b32 vcc_lo, exec_lo, s6
	s_cbranch_vccnz .LBB124_129
; %bb.128:
	scratch_load_b32 v126, v7, off
	ds_load_b32 v127, v1
	s_wait_loadcnt_dscnt 0x0
	v_mul_f32_e32 v126, v126, v127
	s_cbranch_execz .LBB124_130
	s_branch .LBB124_131
.LBB124_129:
                                        ; implicit-def: $vgpr126
.LBB124_130:
	ds_load_b32 v126, v1
.LBB124_131:
	s_and_saveexec_b32 s54, s0
	s_cbranch_execz .LBB124_135
; %bb.132:
	v_subrev_nc_u32_e32 v127, 47, v0
	s_movk_i32 s55, 0x1bc
	s_mov_b32 s0, 0
.LBB124_133:                            ; =>This Inner Loop Header: Depth=1
	scratch_load_b32 v128, off, s52
	v_dual_mov_b32 v129, s55 :: v_dual_add_nc_u32 v127, -1, v127
	s_add_co_i32 s55, s55, 4
	s_wait_xcnt 0x0
	s_add_co_i32 s52, s52, 4
	ds_load_b32 v129, v129
	v_cmp_eq_u32_e32 vcc_lo, 0, v127
	s_or_b32 s0, vcc_lo, s0
	s_wait_loadcnt_dscnt 0x0
	v_fmac_f32_e32 v126, v128, v129
	s_and_not1_b32 exec_lo, exec_lo, s0
	s_cbranch_execnz .LBB124_133
; %bb.134:
	s_or_b32 exec_lo, exec_lo, s0
.LBB124_135:
	s_delay_alu instid0(SALU_CYCLE_1)
	s_or_b32 exec_lo, exec_lo, s54
	v_mov_b32_e32 v127, 0
	ds_load_b32 v127, v127 offset:184
	s_wait_dscnt 0x0
	v_mul_f32_e32 v126, v126, v127
	scratch_store_b32 off, v126, off offset:184
.LBB124_136:
	s_wait_xcnt 0x0
	s_or_b32 exec_lo, exec_lo, s53
	scratch_load_b32 v126, off, off offset:180
	v_cmp_lt_u32_e64 s0, 45, v0
	s_wait_loadcnt 0x0
	ds_store_b32 v1, v126
	s_wait_storecnt_dscnt 0x0
	s_barrier_signal -1
	s_barrier_wait -1
	s_wait_xcnt 0x0
	s_and_saveexec_b32 s52, s0
	s_cbranch_execz .LBB124_146
; %bb.137:
	s_and_not1_b32 vcc_lo, exec_lo, s6
	s_cbranch_vccnz .LBB124_139
; %bb.138:
	scratch_load_b32 v126, v7, off
	ds_load_b32 v127, v1
	s_wait_loadcnt_dscnt 0x0
	v_mul_f32_e32 v126, v126, v127
	s_cbranch_execz .LBB124_140
	s_branch .LBB124_141
.LBB124_139:
                                        ; implicit-def: $vgpr126
.LBB124_140:
	ds_load_b32 v126, v1
.LBB124_141:
	s_and_saveexec_b32 s53, s1
	s_cbranch_execz .LBB124_145
; %bb.142:
	v_subrev_nc_u32_e32 v127, 46, v0
	s_movk_i32 s54, 0x1b8
	s_mov_b32 s1, 0
.LBB124_143:                            ; =>This Inner Loop Header: Depth=1
	scratch_load_b32 v128, off, s51
	v_dual_mov_b32 v129, s54 :: v_dual_add_nc_u32 v127, -1, v127
	s_add_co_i32 s54, s54, 4
	s_wait_xcnt 0x0
	s_add_co_i32 s51, s51, 4
	ds_load_b32 v129, v129
	v_cmp_eq_u32_e32 vcc_lo, 0, v127
	s_or_b32 s1, vcc_lo, s1
	s_wait_loadcnt_dscnt 0x0
	v_fmac_f32_e32 v126, v128, v129
	s_and_not1_b32 exec_lo, exec_lo, s1
	s_cbranch_execnz .LBB124_143
; %bb.144:
	s_or_b32 exec_lo, exec_lo, s1
.LBB124_145:
	s_delay_alu instid0(SALU_CYCLE_1)
	s_or_b32 exec_lo, exec_lo, s53
	v_mov_b32_e32 v127, 0
	ds_load_b32 v127, v127 offset:180
	s_wait_dscnt 0x0
	v_mul_f32_e32 v126, v126, v127
	scratch_store_b32 off, v126, off offset:180
.LBB124_146:
	s_wait_xcnt 0x0
	s_or_b32 exec_lo, exec_lo, s52
	scratch_load_b32 v126, off, off offset:176
	v_cmp_lt_u32_e64 s1, 44, v0
	s_wait_loadcnt 0x0
	ds_store_b32 v1, v126
	s_wait_storecnt_dscnt 0x0
	s_barrier_signal -1
	s_barrier_wait -1
	s_wait_xcnt 0x0
	s_and_saveexec_b32 s51, s1
	s_cbranch_execz .LBB124_156
; %bb.147:
	s_and_not1_b32 vcc_lo, exec_lo, s6
	s_cbranch_vccnz .LBB124_149
; %bb.148:
	scratch_load_b32 v126, v7, off
	ds_load_b32 v127, v1
	s_wait_loadcnt_dscnt 0x0
	v_mul_f32_e32 v126, v126, v127
	s_cbranch_execz .LBB124_150
	s_branch .LBB124_151
.LBB124_149:
                                        ; implicit-def: $vgpr126
.LBB124_150:
	ds_load_b32 v126, v1
.LBB124_151:
	s_and_saveexec_b32 s52, s0
	s_cbranch_execz .LBB124_155
; %bb.152:
	v_subrev_nc_u32_e32 v127, 45, v0
	s_movk_i32 s53, 0x1b4
	s_mov_b32 s0, 0
.LBB124_153:                            ; =>This Inner Loop Header: Depth=1
	scratch_load_b32 v128, off, s50
	v_dual_mov_b32 v129, s53 :: v_dual_add_nc_u32 v127, -1, v127
	s_add_co_i32 s53, s53, 4
	s_wait_xcnt 0x0
	s_add_co_i32 s50, s50, 4
	ds_load_b32 v129, v129
	v_cmp_eq_u32_e32 vcc_lo, 0, v127
	s_or_b32 s0, vcc_lo, s0
	s_wait_loadcnt_dscnt 0x0
	v_fmac_f32_e32 v126, v128, v129
	s_and_not1_b32 exec_lo, exec_lo, s0
	s_cbranch_execnz .LBB124_153
; %bb.154:
	s_or_b32 exec_lo, exec_lo, s0
.LBB124_155:
	s_delay_alu instid0(SALU_CYCLE_1)
	s_or_b32 exec_lo, exec_lo, s52
	v_mov_b32_e32 v127, 0
	ds_load_b32 v127, v127 offset:176
	s_wait_dscnt 0x0
	v_mul_f32_e32 v126, v126, v127
	scratch_store_b32 off, v126, off offset:176
.LBB124_156:
	s_wait_xcnt 0x0
	s_or_b32 exec_lo, exec_lo, s51
	scratch_load_b32 v126, off, off offset:172
	v_cmp_lt_u32_e64 s0, 43, v0
	s_wait_loadcnt 0x0
	ds_store_b32 v1, v126
	s_wait_storecnt_dscnt 0x0
	s_barrier_signal -1
	s_barrier_wait -1
	s_wait_xcnt 0x0
	s_and_saveexec_b32 s50, s0
	s_cbranch_execz .LBB124_166
; %bb.157:
	s_and_not1_b32 vcc_lo, exec_lo, s6
	s_cbranch_vccnz .LBB124_159
; %bb.158:
	scratch_load_b32 v126, v7, off
	ds_load_b32 v127, v1
	s_wait_loadcnt_dscnt 0x0
	v_mul_f32_e32 v126, v126, v127
	s_cbranch_execz .LBB124_160
	s_branch .LBB124_161
.LBB124_159:
                                        ; implicit-def: $vgpr126
.LBB124_160:
	ds_load_b32 v126, v1
.LBB124_161:
	s_and_saveexec_b32 s51, s1
	s_cbranch_execz .LBB124_165
; %bb.162:
	v_subrev_nc_u32_e32 v127, 44, v0
	s_movk_i32 s52, 0x1b0
	s_mov_b32 s1, 0
.LBB124_163:                            ; =>This Inner Loop Header: Depth=1
	scratch_load_b32 v128, off, s49
	v_dual_mov_b32 v129, s52 :: v_dual_add_nc_u32 v127, -1, v127
	s_add_co_i32 s52, s52, 4
	s_wait_xcnt 0x0
	s_add_co_i32 s49, s49, 4
	ds_load_b32 v129, v129
	v_cmp_eq_u32_e32 vcc_lo, 0, v127
	s_or_b32 s1, vcc_lo, s1
	s_wait_loadcnt_dscnt 0x0
	v_fmac_f32_e32 v126, v128, v129
	s_and_not1_b32 exec_lo, exec_lo, s1
	s_cbranch_execnz .LBB124_163
; %bb.164:
	s_or_b32 exec_lo, exec_lo, s1
.LBB124_165:
	s_delay_alu instid0(SALU_CYCLE_1)
	s_or_b32 exec_lo, exec_lo, s51
	v_mov_b32_e32 v127, 0
	ds_load_b32 v127, v127 offset:172
	s_wait_dscnt 0x0
	v_mul_f32_e32 v126, v126, v127
	scratch_store_b32 off, v126, off offset:172
.LBB124_166:
	s_wait_xcnt 0x0
	s_or_b32 exec_lo, exec_lo, s50
	scratch_load_b32 v126, off, off offset:168
	v_cmp_lt_u32_e64 s1, 42, v0
	s_wait_loadcnt 0x0
	ds_store_b32 v1, v126
	s_wait_storecnt_dscnt 0x0
	s_barrier_signal -1
	s_barrier_wait -1
	s_wait_xcnt 0x0
	s_and_saveexec_b32 s49, s1
	s_cbranch_execz .LBB124_176
; %bb.167:
	s_and_not1_b32 vcc_lo, exec_lo, s6
	s_cbranch_vccnz .LBB124_169
; %bb.168:
	scratch_load_b32 v126, v7, off
	ds_load_b32 v127, v1
	s_wait_loadcnt_dscnt 0x0
	v_mul_f32_e32 v126, v126, v127
	s_cbranch_execz .LBB124_170
	s_branch .LBB124_171
.LBB124_169:
                                        ; implicit-def: $vgpr126
.LBB124_170:
	ds_load_b32 v126, v1
.LBB124_171:
	s_and_saveexec_b32 s50, s0
	s_cbranch_execz .LBB124_175
; %bb.172:
	v_subrev_nc_u32_e32 v127, 43, v0
	s_movk_i32 s51, 0x1ac
	s_mov_b32 s0, 0
.LBB124_173:                            ; =>This Inner Loop Header: Depth=1
	scratch_load_b32 v128, off, s48
	v_dual_mov_b32 v129, s51 :: v_dual_add_nc_u32 v127, -1, v127
	s_add_co_i32 s51, s51, 4
	s_wait_xcnt 0x0
	s_add_co_i32 s48, s48, 4
	ds_load_b32 v129, v129
	v_cmp_eq_u32_e32 vcc_lo, 0, v127
	s_or_b32 s0, vcc_lo, s0
	s_wait_loadcnt_dscnt 0x0
	v_fmac_f32_e32 v126, v128, v129
	s_and_not1_b32 exec_lo, exec_lo, s0
	s_cbranch_execnz .LBB124_173
; %bb.174:
	s_or_b32 exec_lo, exec_lo, s0
.LBB124_175:
	s_delay_alu instid0(SALU_CYCLE_1)
	s_or_b32 exec_lo, exec_lo, s50
	v_mov_b32_e32 v127, 0
	ds_load_b32 v127, v127 offset:168
	s_wait_dscnt 0x0
	v_mul_f32_e32 v126, v126, v127
	scratch_store_b32 off, v126, off offset:168
.LBB124_176:
	s_wait_xcnt 0x0
	s_or_b32 exec_lo, exec_lo, s49
	scratch_load_b32 v126, off, off offset:164
	v_cmp_lt_u32_e64 s0, 41, v0
	s_wait_loadcnt 0x0
	ds_store_b32 v1, v126
	s_wait_storecnt_dscnt 0x0
	s_barrier_signal -1
	s_barrier_wait -1
	s_wait_xcnt 0x0
	s_and_saveexec_b32 s48, s0
	s_cbranch_execz .LBB124_186
; %bb.177:
	s_and_not1_b32 vcc_lo, exec_lo, s6
	s_cbranch_vccnz .LBB124_179
; %bb.178:
	scratch_load_b32 v126, v7, off
	ds_load_b32 v127, v1
	s_wait_loadcnt_dscnt 0x0
	v_mul_f32_e32 v126, v126, v127
	s_cbranch_execz .LBB124_180
	s_branch .LBB124_181
.LBB124_179:
                                        ; implicit-def: $vgpr126
.LBB124_180:
	ds_load_b32 v126, v1
.LBB124_181:
	s_and_saveexec_b32 s49, s1
	s_cbranch_execz .LBB124_185
; %bb.182:
	v_subrev_nc_u32_e32 v127, 42, v0
	s_movk_i32 s50, 0x1a8
	s_mov_b32 s1, 0
.LBB124_183:                            ; =>This Inner Loop Header: Depth=1
	scratch_load_b32 v128, off, s47
	v_dual_mov_b32 v129, s50 :: v_dual_add_nc_u32 v127, -1, v127
	s_add_co_i32 s50, s50, 4
	s_wait_xcnt 0x0
	s_add_co_i32 s47, s47, 4
	ds_load_b32 v129, v129
	v_cmp_eq_u32_e32 vcc_lo, 0, v127
	s_or_b32 s1, vcc_lo, s1
	s_wait_loadcnt_dscnt 0x0
	v_fmac_f32_e32 v126, v128, v129
	s_and_not1_b32 exec_lo, exec_lo, s1
	s_cbranch_execnz .LBB124_183
; %bb.184:
	s_or_b32 exec_lo, exec_lo, s1
.LBB124_185:
	s_delay_alu instid0(SALU_CYCLE_1)
	s_or_b32 exec_lo, exec_lo, s49
	v_mov_b32_e32 v127, 0
	ds_load_b32 v127, v127 offset:164
	s_wait_dscnt 0x0
	v_mul_f32_e32 v126, v126, v127
	scratch_store_b32 off, v126, off offset:164
.LBB124_186:
	s_wait_xcnt 0x0
	s_or_b32 exec_lo, exec_lo, s48
	scratch_load_b32 v126, off, off offset:160
	v_cmp_lt_u32_e64 s1, 40, v0
	s_wait_loadcnt 0x0
	ds_store_b32 v1, v126
	s_wait_storecnt_dscnt 0x0
	s_barrier_signal -1
	s_barrier_wait -1
	s_wait_xcnt 0x0
	s_and_saveexec_b32 s47, s1
	s_cbranch_execz .LBB124_196
; %bb.187:
	s_and_not1_b32 vcc_lo, exec_lo, s6
	s_cbranch_vccnz .LBB124_189
; %bb.188:
	scratch_load_b32 v126, v7, off
	ds_load_b32 v127, v1
	s_wait_loadcnt_dscnt 0x0
	v_mul_f32_e32 v126, v126, v127
	s_cbranch_execz .LBB124_190
	s_branch .LBB124_191
.LBB124_189:
                                        ; implicit-def: $vgpr126
.LBB124_190:
	ds_load_b32 v126, v1
.LBB124_191:
	s_and_saveexec_b32 s48, s0
	s_cbranch_execz .LBB124_195
; %bb.192:
	v_subrev_nc_u32_e32 v127, 41, v0
	s_movk_i32 s49, 0x1a4
	s_mov_b32 s0, 0
.LBB124_193:                            ; =>This Inner Loop Header: Depth=1
	scratch_load_b32 v128, off, s46
	v_dual_mov_b32 v129, s49 :: v_dual_add_nc_u32 v127, -1, v127
	s_add_co_i32 s49, s49, 4
	s_wait_xcnt 0x0
	s_add_co_i32 s46, s46, 4
	ds_load_b32 v129, v129
	v_cmp_eq_u32_e32 vcc_lo, 0, v127
	s_or_b32 s0, vcc_lo, s0
	s_wait_loadcnt_dscnt 0x0
	v_fmac_f32_e32 v126, v128, v129
	s_and_not1_b32 exec_lo, exec_lo, s0
	s_cbranch_execnz .LBB124_193
; %bb.194:
	s_or_b32 exec_lo, exec_lo, s0
.LBB124_195:
	s_delay_alu instid0(SALU_CYCLE_1)
	s_or_b32 exec_lo, exec_lo, s48
	v_mov_b32_e32 v127, 0
	ds_load_b32 v127, v127 offset:160
	s_wait_dscnt 0x0
	v_mul_f32_e32 v126, v126, v127
	scratch_store_b32 off, v126, off offset:160
.LBB124_196:
	s_wait_xcnt 0x0
	s_or_b32 exec_lo, exec_lo, s47
	scratch_load_b32 v126, off, off offset:156
	v_cmp_lt_u32_e64 s0, 39, v0
	s_wait_loadcnt 0x0
	ds_store_b32 v1, v126
	s_wait_storecnt_dscnt 0x0
	s_barrier_signal -1
	s_barrier_wait -1
	s_wait_xcnt 0x0
	s_and_saveexec_b32 s46, s0
	s_cbranch_execz .LBB124_206
; %bb.197:
	s_and_not1_b32 vcc_lo, exec_lo, s6
	s_cbranch_vccnz .LBB124_199
; %bb.198:
	scratch_load_b32 v126, v7, off
	ds_load_b32 v127, v1
	s_wait_loadcnt_dscnt 0x0
	v_mul_f32_e32 v126, v126, v127
	s_cbranch_execz .LBB124_200
	s_branch .LBB124_201
.LBB124_199:
                                        ; implicit-def: $vgpr126
.LBB124_200:
	ds_load_b32 v126, v1
.LBB124_201:
	s_and_saveexec_b32 s47, s1
	s_cbranch_execz .LBB124_205
; %bb.202:
	v_subrev_nc_u32_e32 v127, 40, v0
	s_movk_i32 s48, 0x1a0
	s_mov_b32 s1, 0
.LBB124_203:                            ; =>This Inner Loop Header: Depth=1
	scratch_load_b32 v128, off, s45
	v_dual_mov_b32 v129, s48 :: v_dual_add_nc_u32 v127, -1, v127
	s_add_co_i32 s48, s48, 4
	s_wait_xcnt 0x0
	s_add_co_i32 s45, s45, 4
	ds_load_b32 v129, v129
	v_cmp_eq_u32_e32 vcc_lo, 0, v127
	s_or_b32 s1, vcc_lo, s1
	s_wait_loadcnt_dscnt 0x0
	v_fmac_f32_e32 v126, v128, v129
	s_and_not1_b32 exec_lo, exec_lo, s1
	s_cbranch_execnz .LBB124_203
; %bb.204:
	s_or_b32 exec_lo, exec_lo, s1
.LBB124_205:
	s_delay_alu instid0(SALU_CYCLE_1)
	s_or_b32 exec_lo, exec_lo, s47
	v_mov_b32_e32 v127, 0
	ds_load_b32 v127, v127 offset:156
	s_wait_dscnt 0x0
	v_mul_f32_e32 v126, v126, v127
	scratch_store_b32 off, v126, off offset:156
.LBB124_206:
	s_wait_xcnt 0x0
	s_or_b32 exec_lo, exec_lo, s46
	scratch_load_b32 v126, off, off offset:152
	v_cmp_lt_u32_e64 s1, 38, v0
	s_wait_loadcnt 0x0
	ds_store_b32 v1, v126
	s_wait_storecnt_dscnt 0x0
	s_barrier_signal -1
	s_barrier_wait -1
	s_wait_xcnt 0x0
	s_and_saveexec_b32 s45, s1
	s_cbranch_execz .LBB124_216
; %bb.207:
	s_and_not1_b32 vcc_lo, exec_lo, s6
	s_cbranch_vccnz .LBB124_209
; %bb.208:
	scratch_load_b32 v126, v7, off
	ds_load_b32 v127, v1
	s_wait_loadcnt_dscnt 0x0
	v_mul_f32_e32 v126, v126, v127
	s_cbranch_execz .LBB124_210
	s_branch .LBB124_211
.LBB124_209:
                                        ; implicit-def: $vgpr126
.LBB124_210:
	ds_load_b32 v126, v1
.LBB124_211:
	s_and_saveexec_b32 s46, s0
	s_cbranch_execz .LBB124_215
; %bb.212:
	v_subrev_nc_u32_e32 v127, 39, v0
	s_movk_i32 s47, 0x19c
	s_mov_b32 s0, 0
.LBB124_213:                            ; =>This Inner Loop Header: Depth=1
	scratch_load_b32 v128, off, s44
	v_dual_mov_b32 v129, s47 :: v_dual_add_nc_u32 v127, -1, v127
	s_add_co_i32 s47, s47, 4
	s_wait_xcnt 0x0
	s_add_co_i32 s44, s44, 4
	ds_load_b32 v129, v129
	v_cmp_eq_u32_e32 vcc_lo, 0, v127
	s_or_b32 s0, vcc_lo, s0
	s_wait_loadcnt_dscnt 0x0
	v_fmac_f32_e32 v126, v128, v129
	s_and_not1_b32 exec_lo, exec_lo, s0
	s_cbranch_execnz .LBB124_213
; %bb.214:
	s_or_b32 exec_lo, exec_lo, s0
.LBB124_215:
	s_delay_alu instid0(SALU_CYCLE_1)
	s_or_b32 exec_lo, exec_lo, s46
	v_mov_b32_e32 v127, 0
	ds_load_b32 v127, v127 offset:152
	s_wait_dscnt 0x0
	v_mul_f32_e32 v126, v126, v127
	scratch_store_b32 off, v126, off offset:152
.LBB124_216:
	s_wait_xcnt 0x0
	s_or_b32 exec_lo, exec_lo, s45
	scratch_load_b32 v126, off, off offset:148
	v_cmp_lt_u32_e64 s0, 37, v0
	s_wait_loadcnt 0x0
	ds_store_b32 v1, v126
	s_wait_storecnt_dscnt 0x0
	s_barrier_signal -1
	s_barrier_wait -1
	s_wait_xcnt 0x0
	s_and_saveexec_b32 s44, s0
	s_cbranch_execz .LBB124_226
; %bb.217:
	s_and_not1_b32 vcc_lo, exec_lo, s6
	s_cbranch_vccnz .LBB124_219
; %bb.218:
	scratch_load_b32 v126, v7, off
	ds_load_b32 v127, v1
	s_wait_loadcnt_dscnt 0x0
	v_mul_f32_e32 v126, v126, v127
	s_cbranch_execz .LBB124_220
	s_branch .LBB124_221
.LBB124_219:
                                        ; implicit-def: $vgpr126
.LBB124_220:
	ds_load_b32 v126, v1
.LBB124_221:
	s_and_saveexec_b32 s45, s1
	s_cbranch_execz .LBB124_225
; %bb.222:
	v_subrev_nc_u32_e32 v127, 38, v0
	s_movk_i32 s46, 0x198
	s_mov_b32 s1, 0
.LBB124_223:                            ; =>This Inner Loop Header: Depth=1
	scratch_load_b32 v128, off, s43
	v_dual_mov_b32 v129, s46 :: v_dual_add_nc_u32 v127, -1, v127
	s_add_co_i32 s46, s46, 4
	s_wait_xcnt 0x0
	s_add_co_i32 s43, s43, 4
	ds_load_b32 v129, v129
	v_cmp_eq_u32_e32 vcc_lo, 0, v127
	s_or_b32 s1, vcc_lo, s1
	s_wait_loadcnt_dscnt 0x0
	v_fmac_f32_e32 v126, v128, v129
	s_and_not1_b32 exec_lo, exec_lo, s1
	s_cbranch_execnz .LBB124_223
; %bb.224:
	s_or_b32 exec_lo, exec_lo, s1
.LBB124_225:
	s_delay_alu instid0(SALU_CYCLE_1)
	s_or_b32 exec_lo, exec_lo, s45
	v_mov_b32_e32 v127, 0
	ds_load_b32 v127, v127 offset:148
	s_wait_dscnt 0x0
	v_mul_f32_e32 v126, v126, v127
	scratch_store_b32 off, v126, off offset:148
.LBB124_226:
	s_wait_xcnt 0x0
	s_or_b32 exec_lo, exec_lo, s44
	scratch_load_b32 v126, off, off offset:144
	v_cmp_lt_u32_e64 s1, 36, v0
	s_wait_loadcnt 0x0
	ds_store_b32 v1, v126
	s_wait_storecnt_dscnt 0x0
	s_barrier_signal -1
	s_barrier_wait -1
	s_wait_xcnt 0x0
	s_and_saveexec_b32 s43, s1
	s_cbranch_execz .LBB124_236
; %bb.227:
	s_and_not1_b32 vcc_lo, exec_lo, s6
	s_cbranch_vccnz .LBB124_229
; %bb.228:
	scratch_load_b32 v126, v7, off
	ds_load_b32 v127, v1
	s_wait_loadcnt_dscnt 0x0
	v_mul_f32_e32 v126, v126, v127
	s_cbranch_execz .LBB124_230
	s_branch .LBB124_231
.LBB124_229:
                                        ; implicit-def: $vgpr126
.LBB124_230:
	ds_load_b32 v126, v1
.LBB124_231:
	s_and_saveexec_b32 s44, s0
	s_cbranch_execz .LBB124_235
; %bb.232:
	v_subrev_nc_u32_e32 v127, 37, v0
	s_movk_i32 s45, 0x194
	s_mov_b32 s0, 0
.LBB124_233:                            ; =>This Inner Loop Header: Depth=1
	scratch_load_b32 v128, off, s42
	v_dual_mov_b32 v129, s45 :: v_dual_add_nc_u32 v127, -1, v127
	s_add_co_i32 s45, s45, 4
	s_wait_xcnt 0x0
	s_add_co_i32 s42, s42, 4
	ds_load_b32 v129, v129
	v_cmp_eq_u32_e32 vcc_lo, 0, v127
	s_or_b32 s0, vcc_lo, s0
	s_wait_loadcnt_dscnt 0x0
	v_fmac_f32_e32 v126, v128, v129
	s_and_not1_b32 exec_lo, exec_lo, s0
	s_cbranch_execnz .LBB124_233
; %bb.234:
	s_or_b32 exec_lo, exec_lo, s0
.LBB124_235:
	s_delay_alu instid0(SALU_CYCLE_1)
	s_or_b32 exec_lo, exec_lo, s44
	v_mov_b32_e32 v127, 0
	ds_load_b32 v127, v127 offset:144
	s_wait_dscnt 0x0
	v_mul_f32_e32 v126, v126, v127
	scratch_store_b32 off, v126, off offset:144
.LBB124_236:
	s_wait_xcnt 0x0
	s_or_b32 exec_lo, exec_lo, s43
	scratch_load_b32 v126, off, off offset:140
	v_cmp_lt_u32_e64 s0, 35, v0
	s_wait_loadcnt 0x0
	ds_store_b32 v1, v126
	s_wait_storecnt_dscnt 0x0
	s_barrier_signal -1
	s_barrier_wait -1
	s_wait_xcnt 0x0
	s_and_saveexec_b32 s42, s0
	s_cbranch_execz .LBB124_246
; %bb.237:
	s_and_not1_b32 vcc_lo, exec_lo, s6
	s_cbranch_vccnz .LBB124_239
; %bb.238:
	scratch_load_b32 v126, v7, off
	ds_load_b32 v127, v1
	s_wait_loadcnt_dscnt 0x0
	v_mul_f32_e32 v126, v126, v127
	s_cbranch_execz .LBB124_240
	s_branch .LBB124_241
.LBB124_239:
                                        ; implicit-def: $vgpr126
.LBB124_240:
	ds_load_b32 v126, v1
.LBB124_241:
	s_and_saveexec_b32 s43, s1
	s_cbranch_execz .LBB124_245
; %bb.242:
	v_subrev_nc_u32_e32 v127, 36, v0
	s_movk_i32 s44, 0x190
	s_mov_b32 s1, 0
.LBB124_243:                            ; =>This Inner Loop Header: Depth=1
	scratch_load_b32 v128, off, s41
	v_dual_mov_b32 v129, s44 :: v_dual_add_nc_u32 v127, -1, v127
	s_add_co_i32 s44, s44, 4
	s_wait_xcnt 0x0
	s_add_co_i32 s41, s41, 4
	ds_load_b32 v129, v129
	v_cmp_eq_u32_e32 vcc_lo, 0, v127
	s_or_b32 s1, vcc_lo, s1
	s_wait_loadcnt_dscnt 0x0
	v_fmac_f32_e32 v126, v128, v129
	s_and_not1_b32 exec_lo, exec_lo, s1
	s_cbranch_execnz .LBB124_243
; %bb.244:
	s_or_b32 exec_lo, exec_lo, s1
.LBB124_245:
	s_delay_alu instid0(SALU_CYCLE_1)
	s_or_b32 exec_lo, exec_lo, s43
	v_mov_b32_e32 v127, 0
	ds_load_b32 v127, v127 offset:140
	s_wait_dscnt 0x0
	v_mul_f32_e32 v126, v126, v127
	scratch_store_b32 off, v126, off offset:140
.LBB124_246:
	s_wait_xcnt 0x0
	s_or_b32 exec_lo, exec_lo, s42
	scratch_load_b32 v126, off, off offset:136
	v_cmp_lt_u32_e64 s1, 34, v0
	s_wait_loadcnt 0x0
	ds_store_b32 v1, v126
	s_wait_storecnt_dscnt 0x0
	s_barrier_signal -1
	s_barrier_wait -1
	s_wait_xcnt 0x0
	s_and_saveexec_b32 s41, s1
	s_cbranch_execz .LBB124_256
; %bb.247:
	s_and_not1_b32 vcc_lo, exec_lo, s6
	s_cbranch_vccnz .LBB124_249
; %bb.248:
	scratch_load_b32 v126, v7, off
	ds_load_b32 v127, v1
	s_wait_loadcnt_dscnt 0x0
	v_mul_f32_e32 v126, v126, v127
	s_cbranch_execz .LBB124_250
	s_branch .LBB124_251
.LBB124_249:
                                        ; implicit-def: $vgpr126
.LBB124_250:
	ds_load_b32 v126, v1
.LBB124_251:
	s_and_saveexec_b32 s42, s0
	s_cbranch_execz .LBB124_255
; %bb.252:
	v_subrev_nc_u32_e32 v127, 35, v0
	s_movk_i32 s43, 0x18c
	s_mov_b32 s0, 0
.LBB124_253:                            ; =>This Inner Loop Header: Depth=1
	scratch_load_b32 v128, off, s40
	v_dual_mov_b32 v129, s43 :: v_dual_add_nc_u32 v127, -1, v127
	s_add_co_i32 s43, s43, 4
	s_wait_xcnt 0x0
	s_add_co_i32 s40, s40, 4
	ds_load_b32 v129, v129
	v_cmp_eq_u32_e32 vcc_lo, 0, v127
	s_or_b32 s0, vcc_lo, s0
	s_wait_loadcnt_dscnt 0x0
	v_fmac_f32_e32 v126, v128, v129
	s_and_not1_b32 exec_lo, exec_lo, s0
	s_cbranch_execnz .LBB124_253
; %bb.254:
	s_or_b32 exec_lo, exec_lo, s0
.LBB124_255:
	s_delay_alu instid0(SALU_CYCLE_1)
	s_or_b32 exec_lo, exec_lo, s42
	v_mov_b32_e32 v127, 0
	ds_load_b32 v127, v127 offset:136
	s_wait_dscnt 0x0
	v_mul_f32_e32 v126, v126, v127
	scratch_store_b32 off, v126, off offset:136
.LBB124_256:
	s_wait_xcnt 0x0
	s_or_b32 exec_lo, exec_lo, s41
	scratch_load_b32 v126, off, off offset:132
	v_cmp_lt_u32_e64 s0, 33, v0
	s_wait_loadcnt 0x0
	ds_store_b32 v1, v126
	s_wait_storecnt_dscnt 0x0
	s_barrier_signal -1
	s_barrier_wait -1
	s_wait_xcnt 0x0
	s_and_saveexec_b32 s40, s0
	s_cbranch_execz .LBB124_266
; %bb.257:
	s_and_not1_b32 vcc_lo, exec_lo, s6
	s_cbranch_vccnz .LBB124_259
; %bb.258:
	scratch_load_b32 v126, v7, off
	ds_load_b32 v127, v1
	s_wait_loadcnt_dscnt 0x0
	v_mul_f32_e32 v126, v126, v127
	s_cbranch_execz .LBB124_260
	s_branch .LBB124_261
.LBB124_259:
                                        ; implicit-def: $vgpr126
.LBB124_260:
	ds_load_b32 v126, v1
.LBB124_261:
	s_and_saveexec_b32 s41, s1
	s_cbranch_execz .LBB124_265
; %bb.262:
	v_subrev_nc_u32_e32 v127, 34, v0
	s_movk_i32 s42, 0x188
	s_mov_b32 s1, 0
.LBB124_263:                            ; =>This Inner Loop Header: Depth=1
	scratch_load_b32 v128, off, s39
	v_dual_mov_b32 v129, s42 :: v_dual_add_nc_u32 v127, -1, v127
	s_add_co_i32 s42, s42, 4
	s_wait_xcnt 0x0
	s_add_co_i32 s39, s39, 4
	ds_load_b32 v129, v129
	v_cmp_eq_u32_e32 vcc_lo, 0, v127
	s_or_b32 s1, vcc_lo, s1
	s_wait_loadcnt_dscnt 0x0
	v_fmac_f32_e32 v126, v128, v129
	s_and_not1_b32 exec_lo, exec_lo, s1
	s_cbranch_execnz .LBB124_263
; %bb.264:
	s_or_b32 exec_lo, exec_lo, s1
.LBB124_265:
	s_delay_alu instid0(SALU_CYCLE_1)
	s_or_b32 exec_lo, exec_lo, s41
	v_mov_b32_e32 v127, 0
	ds_load_b32 v127, v127 offset:132
	s_wait_dscnt 0x0
	v_mul_f32_e32 v126, v126, v127
	scratch_store_b32 off, v126, off offset:132
.LBB124_266:
	s_wait_xcnt 0x0
	s_or_b32 exec_lo, exec_lo, s40
	scratch_load_b32 v126, off, off offset:128
	v_cmp_lt_u32_e64 s1, 32, v0
	s_wait_loadcnt 0x0
	ds_store_b32 v1, v126
	s_wait_storecnt_dscnt 0x0
	s_barrier_signal -1
	s_barrier_wait -1
	s_wait_xcnt 0x0
	s_and_saveexec_b32 s39, s1
	s_cbranch_execz .LBB124_276
; %bb.267:
	s_and_not1_b32 vcc_lo, exec_lo, s6
	s_cbranch_vccnz .LBB124_269
; %bb.268:
	scratch_load_b32 v126, v7, off
	ds_load_b32 v127, v1
	s_wait_loadcnt_dscnt 0x0
	v_mul_f32_e32 v126, v126, v127
	s_cbranch_execz .LBB124_270
	s_branch .LBB124_271
.LBB124_269:
                                        ; implicit-def: $vgpr126
.LBB124_270:
	ds_load_b32 v126, v1
.LBB124_271:
	s_and_saveexec_b32 s40, s0
	s_cbranch_execz .LBB124_275
; %bb.272:
	v_subrev_nc_u32_e32 v127, 33, v0
	s_movk_i32 s41, 0x184
	s_mov_b32 s0, 0
.LBB124_273:                            ; =>This Inner Loop Header: Depth=1
	scratch_load_b32 v128, off, s38
	v_dual_mov_b32 v129, s41 :: v_dual_add_nc_u32 v127, -1, v127
	s_add_co_i32 s41, s41, 4
	s_wait_xcnt 0x0
	s_add_co_i32 s38, s38, 4
	ds_load_b32 v129, v129
	v_cmp_eq_u32_e32 vcc_lo, 0, v127
	s_or_b32 s0, vcc_lo, s0
	s_wait_loadcnt_dscnt 0x0
	v_fmac_f32_e32 v126, v128, v129
	s_and_not1_b32 exec_lo, exec_lo, s0
	s_cbranch_execnz .LBB124_273
; %bb.274:
	s_or_b32 exec_lo, exec_lo, s0
.LBB124_275:
	s_delay_alu instid0(SALU_CYCLE_1)
	s_or_b32 exec_lo, exec_lo, s40
	v_mov_b32_e32 v127, 0
	ds_load_b32 v127, v127 offset:128
	s_wait_dscnt 0x0
	v_mul_f32_e32 v126, v126, v127
	scratch_store_b32 off, v126, off offset:128
.LBB124_276:
	s_wait_xcnt 0x0
	s_or_b32 exec_lo, exec_lo, s39
	scratch_load_b32 v126, off, off offset:124
	v_cmp_lt_u32_e64 s0, 31, v0
	s_wait_loadcnt 0x0
	ds_store_b32 v1, v126
	s_wait_storecnt_dscnt 0x0
	s_barrier_signal -1
	s_barrier_wait -1
	s_wait_xcnt 0x0
	s_and_saveexec_b32 s38, s0
	s_cbranch_execz .LBB124_286
; %bb.277:
	s_and_not1_b32 vcc_lo, exec_lo, s6
	s_cbranch_vccnz .LBB124_279
; %bb.278:
	scratch_load_b32 v126, v7, off
	ds_load_b32 v127, v1
	s_wait_loadcnt_dscnt 0x0
	v_mul_f32_e32 v126, v126, v127
	s_cbranch_execz .LBB124_280
	s_branch .LBB124_281
.LBB124_279:
                                        ; implicit-def: $vgpr126
.LBB124_280:
	ds_load_b32 v126, v1
.LBB124_281:
	s_and_saveexec_b32 s39, s1
	s_cbranch_execz .LBB124_285
; %bb.282:
	v_subrev_nc_u32_e32 v127, 32, v0
	s_movk_i32 s40, 0x180
	s_mov_b32 s1, 0
.LBB124_283:                            ; =>This Inner Loop Header: Depth=1
	scratch_load_b32 v128, off, s37
	v_dual_mov_b32 v129, s40 :: v_dual_add_nc_u32 v127, -1, v127
	s_add_co_i32 s40, s40, 4
	s_wait_xcnt 0x0
	s_add_co_i32 s37, s37, 4
	ds_load_b32 v129, v129
	v_cmp_eq_u32_e32 vcc_lo, 0, v127
	s_or_b32 s1, vcc_lo, s1
	s_wait_loadcnt_dscnt 0x0
	v_fmac_f32_e32 v126, v128, v129
	s_and_not1_b32 exec_lo, exec_lo, s1
	s_cbranch_execnz .LBB124_283
; %bb.284:
	s_or_b32 exec_lo, exec_lo, s1
.LBB124_285:
	s_delay_alu instid0(SALU_CYCLE_1)
	s_or_b32 exec_lo, exec_lo, s39
	v_mov_b32_e32 v127, 0
	ds_load_b32 v127, v127 offset:124
	s_wait_dscnt 0x0
	v_mul_f32_e32 v126, v126, v127
	scratch_store_b32 off, v126, off offset:124
.LBB124_286:
	s_wait_xcnt 0x0
	s_or_b32 exec_lo, exec_lo, s38
	scratch_load_b32 v126, off, off offset:120
	v_cmp_lt_u32_e64 s1, 30, v0
	s_wait_loadcnt 0x0
	ds_store_b32 v1, v126
	s_wait_storecnt_dscnt 0x0
	s_barrier_signal -1
	s_barrier_wait -1
	s_wait_xcnt 0x0
	s_and_saveexec_b32 s37, s1
	s_cbranch_execz .LBB124_296
; %bb.287:
	s_and_not1_b32 vcc_lo, exec_lo, s6
	s_cbranch_vccnz .LBB124_289
; %bb.288:
	scratch_load_b32 v126, v7, off
	ds_load_b32 v127, v1
	s_wait_loadcnt_dscnt 0x0
	v_mul_f32_e32 v126, v126, v127
	s_cbranch_execz .LBB124_290
	s_branch .LBB124_291
.LBB124_289:
                                        ; implicit-def: $vgpr126
.LBB124_290:
	ds_load_b32 v126, v1
.LBB124_291:
	s_and_saveexec_b32 s38, s0
	s_cbranch_execz .LBB124_295
; %bb.292:
	v_subrev_nc_u32_e32 v127, 31, v0
	s_movk_i32 s39, 0x17c
	s_mov_b32 s0, 0
.LBB124_293:                            ; =>This Inner Loop Header: Depth=1
	scratch_load_b32 v128, off, s36
	v_dual_mov_b32 v129, s39 :: v_dual_add_nc_u32 v127, -1, v127
	s_add_co_i32 s39, s39, 4
	s_wait_xcnt 0x0
	s_add_co_i32 s36, s36, 4
	ds_load_b32 v129, v129
	v_cmp_eq_u32_e32 vcc_lo, 0, v127
	s_or_b32 s0, vcc_lo, s0
	s_wait_loadcnt_dscnt 0x0
	v_fmac_f32_e32 v126, v128, v129
	s_and_not1_b32 exec_lo, exec_lo, s0
	s_cbranch_execnz .LBB124_293
; %bb.294:
	s_or_b32 exec_lo, exec_lo, s0
.LBB124_295:
	s_delay_alu instid0(SALU_CYCLE_1)
	s_or_b32 exec_lo, exec_lo, s38
	v_mov_b32_e32 v127, 0
	ds_load_b32 v127, v127 offset:120
	s_wait_dscnt 0x0
	v_mul_f32_e32 v126, v126, v127
	scratch_store_b32 off, v126, off offset:120
.LBB124_296:
	s_wait_xcnt 0x0
	s_or_b32 exec_lo, exec_lo, s37
	scratch_load_b32 v126, off, off offset:116
	v_cmp_lt_u32_e64 s0, 29, v0
	s_wait_loadcnt 0x0
	ds_store_b32 v1, v126
	s_wait_storecnt_dscnt 0x0
	s_barrier_signal -1
	s_barrier_wait -1
	s_wait_xcnt 0x0
	s_and_saveexec_b32 s36, s0
	s_cbranch_execz .LBB124_306
; %bb.297:
	s_and_not1_b32 vcc_lo, exec_lo, s6
	s_cbranch_vccnz .LBB124_299
; %bb.298:
	scratch_load_b32 v126, v7, off
	ds_load_b32 v127, v1
	s_wait_loadcnt_dscnt 0x0
	v_mul_f32_e32 v126, v126, v127
	s_cbranch_execz .LBB124_300
	s_branch .LBB124_301
.LBB124_299:
                                        ; implicit-def: $vgpr126
.LBB124_300:
	ds_load_b32 v126, v1
.LBB124_301:
	s_and_saveexec_b32 s37, s1
	s_cbranch_execz .LBB124_305
; %bb.302:
	v_subrev_nc_u32_e32 v127, 30, v0
	s_movk_i32 s38, 0x178
	s_mov_b32 s1, 0
.LBB124_303:                            ; =>This Inner Loop Header: Depth=1
	scratch_load_b32 v128, off, s35
	v_dual_mov_b32 v129, s38 :: v_dual_add_nc_u32 v127, -1, v127
	s_add_co_i32 s38, s38, 4
	s_wait_xcnt 0x0
	s_add_co_i32 s35, s35, 4
	ds_load_b32 v129, v129
	v_cmp_eq_u32_e32 vcc_lo, 0, v127
	s_or_b32 s1, vcc_lo, s1
	s_wait_loadcnt_dscnt 0x0
	v_fmac_f32_e32 v126, v128, v129
	s_and_not1_b32 exec_lo, exec_lo, s1
	s_cbranch_execnz .LBB124_303
; %bb.304:
	s_or_b32 exec_lo, exec_lo, s1
.LBB124_305:
	s_delay_alu instid0(SALU_CYCLE_1)
	s_or_b32 exec_lo, exec_lo, s37
	v_mov_b32_e32 v127, 0
	ds_load_b32 v127, v127 offset:116
	s_wait_dscnt 0x0
	v_mul_f32_e32 v126, v126, v127
	scratch_store_b32 off, v126, off offset:116
.LBB124_306:
	s_wait_xcnt 0x0
	s_or_b32 exec_lo, exec_lo, s36
	scratch_load_b32 v126, off, off offset:112
	v_cmp_lt_u32_e64 s1, 28, v0
	s_wait_loadcnt 0x0
	ds_store_b32 v1, v126
	s_wait_storecnt_dscnt 0x0
	s_barrier_signal -1
	s_barrier_wait -1
	s_wait_xcnt 0x0
	s_and_saveexec_b32 s35, s1
	s_cbranch_execz .LBB124_316
; %bb.307:
	s_and_not1_b32 vcc_lo, exec_lo, s6
	s_cbranch_vccnz .LBB124_309
; %bb.308:
	scratch_load_b32 v126, v7, off
	ds_load_b32 v127, v1
	s_wait_loadcnt_dscnt 0x0
	v_mul_f32_e32 v126, v126, v127
	s_cbranch_execz .LBB124_310
	s_branch .LBB124_311
.LBB124_309:
                                        ; implicit-def: $vgpr126
.LBB124_310:
	ds_load_b32 v126, v1
.LBB124_311:
	s_and_saveexec_b32 s36, s0
	s_cbranch_execz .LBB124_315
; %bb.312:
	v_subrev_nc_u32_e32 v127, 29, v0
	s_movk_i32 s37, 0x174
	s_mov_b32 s0, 0
.LBB124_313:                            ; =>This Inner Loop Header: Depth=1
	scratch_load_b32 v128, off, s34
	v_dual_mov_b32 v129, s37 :: v_dual_add_nc_u32 v127, -1, v127
	s_add_co_i32 s37, s37, 4
	s_wait_xcnt 0x0
	s_add_co_i32 s34, s34, 4
	ds_load_b32 v129, v129
	v_cmp_eq_u32_e32 vcc_lo, 0, v127
	s_or_b32 s0, vcc_lo, s0
	s_wait_loadcnt_dscnt 0x0
	v_fmac_f32_e32 v126, v128, v129
	s_and_not1_b32 exec_lo, exec_lo, s0
	s_cbranch_execnz .LBB124_313
; %bb.314:
	s_or_b32 exec_lo, exec_lo, s0
.LBB124_315:
	s_delay_alu instid0(SALU_CYCLE_1)
	s_or_b32 exec_lo, exec_lo, s36
	v_mov_b32_e32 v127, 0
	ds_load_b32 v127, v127 offset:112
	s_wait_dscnt 0x0
	v_mul_f32_e32 v126, v126, v127
	scratch_store_b32 off, v126, off offset:112
.LBB124_316:
	s_wait_xcnt 0x0
	s_or_b32 exec_lo, exec_lo, s35
	scratch_load_b32 v126, off, off offset:108
	v_cmp_lt_u32_e64 s0, 27, v0
	s_wait_loadcnt 0x0
	ds_store_b32 v1, v126
	s_wait_storecnt_dscnt 0x0
	s_barrier_signal -1
	s_barrier_wait -1
	s_wait_xcnt 0x0
	s_and_saveexec_b32 s34, s0
	s_cbranch_execz .LBB124_326
; %bb.317:
	s_and_not1_b32 vcc_lo, exec_lo, s6
	s_cbranch_vccnz .LBB124_319
; %bb.318:
	scratch_load_b32 v126, v7, off
	ds_load_b32 v127, v1
	s_wait_loadcnt_dscnt 0x0
	v_mul_f32_e32 v126, v126, v127
	s_cbranch_execz .LBB124_320
	s_branch .LBB124_321
.LBB124_319:
                                        ; implicit-def: $vgpr126
.LBB124_320:
	ds_load_b32 v126, v1
.LBB124_321:
	s_and_saveexec_b32 s35, s1
	s_cbranch_execz .LBB124_325
; %bb.322:
	v_subrev_nc_u32_e32 v127, 28, v0
	s_movk_i32 s36, 0x170
	s_mov_b32 s1, 0
.LBB124_323:                            ; =>This Inner Loop Header: Depth=1
	scratch_load_b32 v128, off, s33
	v_dual_mov_b32 v129, s36 :: v_dual_add_nc_u32 v127, -1, v127
	s_add_co_i32 s36, s36, 4
	s_wait_xcnt 0x0
	s_add_co_i32 s33, s33, 4
	ds_load_b32 v129, v129
	v_cmp_eq_u32_e32 vcc_lo, 0, v127
	s_or_b32 s1, vcc_lo, s1
	s_wait_loadcnt_dscnt 0x0
	v_fmac_f32_e32 v126, v128, v129
	s_and_not1_b32 exec_lo, exec_lo, s1
	s_cbranch_execnz .LBB124_323
; %bb.324:
	s_or_b32 exec_lo, exec_lo, s1
.LBB124_325:
	s_delay_alu instid0(SALU_CYCLE_1)
	s_or_b32 exec_lo, exec_lo, s35
	v_mov_b32_e32 v127, 0
	ds_load_b32 v127, v127 offset:108
	s_wait_dscnt 0x0
	v_mul_f32_e32 v126, v126, v127
	scratch_store_b32 off, v126, off offset:108
.LBB124_326:
	s_wait_xcnt 0x0
	s_or_b32 exec_lo, exec_lo, s34
	scratch_load_b32 v126, off, off offset:104
	v_cmp_lt_u32_e64 s1, 26, v0
	s_wait_loadcnt 0x0
	ds_store_b32 v1, v126
	s_wait_storecnt_dscnt 0x0
	s_barrier_signal -1
	s_barrier_wait -1
	s_wait_xcnt 0x0
	s_and_saveexec_b32 s33, s1
	s_cbranch_execz .LBB124_336
; %bb.327:
	s_and_not1_b32 vcc_lo, exec_lo, s6
	s_cbranch_vccnz .LBB124_329
; %bb.328:
	scratch_load_b32 v126, v7, off
	ds_load_b32 v127, v1
	s_wait_loadcnt_dscnt 0x0
	v_mul_f32_e32 v126, v126, v127
	s_cbranch_execz .LBB124_330
	s_branch .LBB124_331
.LBB124_329:
                                        ; implicit-def: $vgpr126
.LBB124_330:
	ds_load_b32 v126, v1
.LBB124_331:
	s_and_saveexec_b32 s34, s0
	s_cbranch_execz .LBB124_335
; %bb.332:
	v_subrev_nc_u32_e32 v127, 27, v0
	s_movk_i32 s35, 0x16c
	s_mov_b32 s0, 0
.LBB124_333:                            ; =>This Inner Loop Header: Depth=1
	scratch_load_b32 v128, off, s31
	v_dual_mov_b32 v129, s35 :: v_dual_add_nc_u32 v127, -1, v127
	s_add_co_i32 s35, s35, 4
	s_wait_xcnt 0x0
	s_add_co_i32 s31, s31, 4
	ds_load_b32 v129, v129
	v_cmp_eq_u32_e32 vcc_lo, 0, v127
	s_or_b32 s0, vcc_lo, s0
	s_wait_loadcnt_dscnt 0x0
	v_fmac_f32_e32 v126, v128, v129
	s_and_not1_b32 exec_lo, exec_lo, s0
	s_cbranch_execnz .LBB124_333
; %bb.334:
	s_or_b32 exec_lo, exec_lo, s0
.LBB124_335:
	s_delay_alu instid0(SALU_CYCLE_1)
	s_or_b32 exec_lo, exec_lo, s34
	v_mov_b32_e32 v127, 0
	ds_load_b32 v127, v127 offset:104
	s_wait_dscnt 0x0
	v_mul_f32_e32 v126, v126, v127
	scratch_store_b32 off, v126, off offset:104
.LBB124_336:
	s_wait_xcnt 0x0
	s_or_b32 exec_lo, exec_lo, s33
	scratch_load_b32 v126, off, off offset:100
	v_cmp_lt_u32_e64 s0, 25, v0
	s_wait_loadcnt 0x0
	ds_store_b32 v1, v126
	s_wait_storecnt_dscnt 0x0
	s_barrier_signal -1
	s_barrier_wait -1
	s_wait_xcnt 0x0
	s_and_saveexec_b32 s31, s0
	s_cbranch_execz .LBB124_346
; %bb.337:
	s_and_not1_b32 vcc_lo, exec_lo, s6
	s_cbranch_vccnz .LBB124_339
; %bb.338:
	scratch_load_b32 v126, v7, off
	ds_load_b32 v127, v1
	s_wait_loadcnt_dscnt 0x0
	v_mul_f32_e32 v126, v126, v127
	s_cbranch_execz .LBB124_340
	s_branch .LBB124_341
.LBB124_339:
                                        ; implicit-def: $vgpr126
.LBB124_340:
	ds_load_b32 v126, v1
.LBB124_341:
	s_and_saveexec_b32 s33, s1
	s_cbranch_execz .LBB124_345
; %bb.342:
	v_subrev_nc_u32_e32 v127, 26, v0
	s_movk_i32 s34, 0x168
	s_mov_b32 s1, 0
.LBB124_343:                            ; =>This Inner Loop Header: Depth=1
	scratch_load_b32 v128, off, s30
	v_dual_mov_b32 v129, s34 :: v_dual_add_nc_u32 v127, -1, v127
	s_add_co_i32 s34, s34, 4
	s_wait_xcnt 0x0
	s_add_co_i32 s30, s30, 4
	ds_load_b32 v129, v129
	v_cmp_eq_u32_e32 vcc_lo, 0, v127
	s_or_b32 s1, vcc_lo, s1
	s_wait_loadcnt_dscnt 0x0
	v_fmac_f32_e32 v126, v128, v129
	s_and_not1_b32 exec_lo, exec_lo, s1
	s_cbranch_execnz .LBB124_343
; %bb.344:
	s_or_b32 exec_lo, exec_lo, s1
.LBB124_345:
	s_delay_alu instid0(SALU_CYCLE_1)
	s_or_b32 exec_lo, exec_lo, s33
	v_mov_b32_e32 v127, 0
	ds_load_b32 v127, v127 offset:100
	s_wait_dscnt 0x0
	v_mul_f32_e32 v126, v126, v127
	scratch_store_b32 off, v126, off offset:100
.LBB124_346:
	s_wait_xcnt 0x0
	s_or_b32 exec_lo, exec_lo, s31
	scratch_load_b32 v126, off, off offset:96
	v_cmp_lt_u32_e64 s1, 24, v0
	s_wait_loadcnt 0x0
	ds_store_b32 v1, v126
	s_wait_storecnt_dscnt 0x0
	s_barrier_signal -1
	s_barrier_wait -1
	s_wait_xcnt 0x0
	s_and_saveexec_b32 s30, s1
	s_cbranch_execz .LBB124_356
; %bb.347:
	s_and_not1_b32 vcc_lo, exec_lo, s6
	s_cbranch_vccnz .LBB124_349
; %bb.348:
	scratch_load_b32 v126, v7, off
	ds_load_b32 v127, v1
	s_wait_loadcnt_dscnt 0x0
	v_mul_f32_e32 v126, v126, v127
	s_cbranch_execz .LBB124_350
	s_branch .LBB124_351
.LBB124_349:
                                        ; implicit-def: $vgpr126
.LBB124_350:
	ds_load_b32 v126, v1
.LBB124_351:
	s_and_saveexec_b32 s31, s0
	s_cbranch_execz .LBB124_355
; %bb.352:
	v_subrev_nc_u32_e32 v127, 25, v0
	s_movk_i32 s33, 0x164
	s_mov_b32 s0, 0
.LBB124_353:                            ; =>This Inner Loop Header: Depth=1
	scratch_load_b32 v128, off, s29
	v_dual_mov_b32 v129, s33 :: v_dual_add_nc_u32 v127, -1, v127
	s_add_co_i32 s33, s33, 4
	s_wait_xcnt 0x0
	s_add_co_i32 s29, s29, 4
	ds_load_b32 v129, v129
	v_cmp_eq_u32_e32 vcc_lo, 0, v127
	s_or_b32 s0, vcc_lo, s0
	s_wait_loadcnt_dscnt 0x0
	v_fmac_f32_e32 v126, v128, v129
	s_and_not1_b32 exec_lo, exec_lo, s0
	s_cbranch_execnz .LBB124_353
; %bb.354:
	s_or_b32 exec_lo, exec_lo, s0
.LBB124_355:
	s_delay_alu instid0(SALU_CYCLE_1)
	s_or_b32 exec_lo, exec_lo, s31
	v_mov_b32_e32 v127, 0
	ds_load_b32 v127, v127 offset:96
	s_wait_dscnt 0x0
	v_mul_f32_e32 v126, v126, v127
	scratch_store_b32 off, v126, off offset:96
.LBB124_356:
	s_wait_xcnt 0x0
	s_or_b32 exec_lo, exec_lo, s30
	scratch_load_b32 v126, off, off offset:92
	v_cmp_lt_u32_e64 s0, 23, v0
	s_wait_loadcnt 0x0
	ds_store_b32 v1, v126
	s_wait_storecnt_dscnt 0x0
	s_barrier_signal -1
	s_barrier_wait -1
	s_wait_xcnt 0x0
	s_and_saveexec_b32 s29, s0
	s_cbranch_execz .LBB124_366
; %bb.357:
	s_and_not1_b32 vcc_lo, exec_lo, s6
	s_cbranch_vccnz .LBB124_359
; %bb.358:
	scratch_load_b32 v126, v7, off
	ds_load_b32 v127, v1
	s_wait_loadcnt_dscnt 0x0
	v_mul_f32_e32 v126, v126, v127
	s_cbranch_execz .LBB124_360
	s_branch .LBB124_361
.LBB124_359:
                                        ; implicit-def: $vgpr126
.LBB124_360:
	ds_load_b32 v126, v1
.LBB124_361:
	s_and_saveexec_b32 s30, s1
	s_cbranch_execz .LBB124_365
; %bb.362:
	v_subrev_nc_u32_e32 v127, 24, v0
	s_movk_i32 s31, 0x160
	s_mov_b32 s1, 0
.LBB124_363:                            ; =>This Inner Loop Header: Depth=1
	scratch_load_b32 v128, off, s28
	v_dual_mov_b32 v129, s31 :: v_dual_add_nc_u32 v127, -1, v127
	s_add_co_i32 s31, s31, 4
	s_wait_xcnt 0x0
	s_add_co_i32 s28, s28, 4
	ds_load_b32 v129, v129
	v_cmp_eq_u32_e32 vcc_lo, 0, v127
	s_or_b32 s1, vcc_lo, s1
	s_wait_loadcnt_dscnt 0x0
	v_fmac_f32_e32 v126, v128, v129
	s_and_not1_b32 exec_lo, exec_lo, s1
	s_cbranch_execnz .LBB124_363
; %bb.364:
	s_or_b32 exec_lo, exec_lo, s1
.LBB124_365:
	s_delay_alu instid0(SALU_CYCLE_1)
	s_or_b32 exec_lo, exec_lo, s30
	v_mov_b32_e32 v127, 0
	ds_load_b32 v127, v127 offset:92
	s_wait_dscnt 0x0
	v_mul_f32_e32 v126, v126, v127
	scratch_store_b32 off, v126, off offset:92
.LBB124_366:
	s_wait_xcnt 0x0
	s_or_b32 exec_lo, exec_lo, s29
	scratch_load_b32 v126, off, off offset:88
	v_cmp_lt_u32_e64 s1, 22, v0
	s_wait_loadcnt 0x0
	ds_store_b32 v1, v126
	s_wait_storecnt_dscnt 0x0
	s_barrier_signal -1
	s_barrier_wait -1
	s_wait_xcnt 0x0
	s_and_saveexec_b32 s28, s1
	s_cbranch_execz .LBB124_376
; %bb.367:
	s_and_not1_b32 vcc_lo, exec_lo, s6
	s_cbranch_vccnz .LBB124_369
; %bb.368:
	scratch_load_b32 v126, v7, off
	ds_load_b32 v127, v1
	s_wait_loadcnt_dscnt 0x0
	v_mul_f32_e32 v126, v126, v127
	s_cbranch_execz .LBB124_370
	s_branch .LBB124_371
.LBB124_369:
                                        ; implicit-def: $vgpr126
.LBB124_370:
	ds_load_b32 v126, v1
.LBB124_371:
	s_and_saveexec_b32 s29, s0
	s_cbranch_execz .LBB124_375
; %bb.372:
	v_subrev_nc_u32_e32 v127, 23, v0
	s_movk_i32 s30, 0x15c
	s_mov_b32 s0, 0
.LBB124_373:                            ; =>This Inner Loop Header: Depth=1
	scratch_load_b32 v128, off, s27
	v_dual_mov_b32 v129, s30 :: v_dual_add_nc_u32 v127, -1, v127
	s_add_co_i32 s30, s30, 4
	s_wait_xcnt 0x0
	s_add_co_i32 s27, s27, 4
	ds_load_b32 v129, v129
	v_cmp_eq_u32_e32 vcc_lo, 0, v127
	s_or_b32 s0, vcc_lo, s0
	s_wait_loadcnt_dscnt 0x0
	v_fmac_f32_e32 v126, v128, v129
	s_and_not1_b32 exec_lo, exec_lo, s0
	s_cbranch_execnz .LBB124_373
; %bb.374:
	s_or_b32 exec_lo, exec_lo, s0
.LBB124_375:
	s_delay_alu instid0(SALU_CYCLE_1)
	s_or_b32 exec_lo, exec_lo, s29
	v_mov_b32_e32 v127, 0
	ds_load_b32 v127, v127 offset:88
	s_wait_dscnt 0x0
	v_mul_f32_e32 v126, v126, v127
	scratch_store_b32 off, v126, off offset:88
.LBB124_376:
	s_wait_xcnt 0x0
	s_or_b32 exec_lo, exec_lo, s28
	scratch_load_b32 v126, off, off offset:84
	v_cmp_lt_u32_e64 s0, 21, v0
	s_wait_loadcnt 0x0
	ds_store_b32 v1, v126
	s_wait_storecnt_dscnt 0x0
	s_barrier_signal -1
	s_barrier_wait -1
	s_wait_xcnt 0x0
	s_and_saveexec_b32 s27, s0
	s_cbranch_execz .LBB124_386
; %bb.377:
	s_and_not1_b32 vcc_lo, exec_lo, s6
	s_cbranch_vccnz .LBB124_379
; %bb.378:
	scratch_load_b32 v126, v7, off
	ds_load_b32 v127, v1
	s_wait_loadcnt_dscnt 0x0
	v_mul_f32_e32 v126, v126, v127
	s_cbranch_execz .LBB124_380
	s_branch .LBB124_381
.LBB124_379:
                                        ; implicit-def: $vgpr126
.LBB124_380:
	ds_load_b32 v126, v1
.LBB124_381:
	s_and_saveexec_b32 s28, s1
	s_cbranch_execz .LBB124_385
; %bb.382:
	v_subrev_nc_u32_e32 v127, 22, v0
	s_movk_i32 s29, 0x158
	s_mov_b32 s1, 0
.LBB124_383:                            ; =>This Inner Loop Header: Depth=1
	scratch_load_b32 v128, off, s26
	v_dual_mov_b32 v129, s29 :: v_dual_add_nc_u32 v127, -1, v127
	s_add_co_i32 s29, s29, 4
	s_wait_xcnt 0x0
	s_add_co_i32 s26, s26, 4
	ds_load_b32 v129, v129
	v_cmp_eq_u32_e32 vcc_lo, 0, v127
	s_or_b32 s1, vcc_lo, s1
	s_wait_loadcnt_dscnt 0x0
	v_fmac_f32_e32 v126, v128, v129
	s_and_not1_b32 exec_lo, exec_lo, s1
	s_cbranch_execnz .LBB124_383
; %bb.384:
	s_or_b32 exec_lo, exec_lo, s1
.LBB124_385:
	s_delay_alu instid0(SALU_CYCLE_1)
	s_or_b32 exec_lo, exec_lo, s28
	v_mov_b32_e32 v127, 0
	ds_load_b32 v127, v127 offset:84
	s_wait_dscnt 0x0
	v_mul_f32_e32 v126, v126, v127
	scratch_store_b32 off, v126, off offset:84
.LBB124_386:
	s_wait_xcnt 0x0
	s_or_b32 exec_lo, exec_lo, s27
	scratch_load_b32 v126, off, off offset:80
	v_cmp_lt_u32_e64 s1, 20, v0
	s_wait_loadcnt 0x0
	ds_store_b32 v1, v126
	s_wait_storecnt_dscnt 0x0
	s_barrier_signal -1
	s_barrier_wait -1
	s_wait_xcnt 0x0
	s_and_saveexec_b32 s26, s1
	s_cbranch_execz .LBB124_396
; %bb.387:
	s_and_not1_b32 vcc_lo, exec_lo, s6
	s_cbranch_vccnz .LBB124_389
; %bb.388:
	scratch_load_b32 v126, v7, off
	ds_load_b32 v127, v1
	s_wait_loadcnt_dscnt 0x0
	v_mul_f32_e32 v126, v126, v127
	s_cbranch_execz .LBB124_390
	s_branch .LBB124_391
.LBB124_389:
                                        ; implicit-def: $vgpr126
.LBB124_390:
	ds_load_b32 v126, v1
.LBB124_391:
	s_and_saveexec_b32 s27, s0
	s_cbranch_execz .LBB124_395
; %bb.392:
	v_subrev_nc_u32_e32 v127, 21, v0
	s_movk_i32 s28, 0x154
	s_mov_b32 s0, 0
.LBB124_393:                            ; =>This Inner Loop Header: Depth=1
	scratch_load_b32 v128, off, s25
	v_dual_mov_b32 v129, s28 :: v_dual_add_nc_u32 v127, -1, v127
	s_add_co_i32 s28, s28, 4
	s_wait_xcnt 0x0
	s_add_co_i32 s25, s25, 4
	ds_load_b32 v129, v129
	v_cmp_eq_u32_e32 vcc_lo, 0, v127
	s_or_b32 s0, vcc_lo, s0
	s_wait_loadcnt_dscnt 0x0
	v_fmac_f32_e32 v126, v128, v129
	s_and_not1_b32 exec_lo, exec_lo, s0
	s_cbranch_execnz .LBB124_393
; %bb.394:
	s_or_b32 exec_lo, exec_lo, s0
.LBB124_395:
	s_delay_alu instid0(SALU_CYCLE_1)
	s_or_b32 exec_lo, exec_lo, s27
	v_mov_b32_e32 v127, 0
	ds_load_b32 v127, v127 offset:80
	s_wait_dscnt 0x0
	v_mul_f32_e32 v126, v126, v127
	scratch_store_b32 off, v126, off offset:80
.LBB124_396:
	s_wait_xcnt 0x0
	s_or_b32 exec_lo, exec_lo, s26
	scratch_load_b32 v126, off, off offset:76
	v_cmp_lt_u32_e64 s0, 19, v0
	s_wait_loadcnt 0x0
	ds_store_b32 v1, v126
	s_wait_storecnt_dscnt 0x0
	s_barrier_signal -1
	s_barrier_wait -1
	s_wait_xcnt 0x0
	s_and_saveexec_b32 s25, s0
	s_cbranch_execz .LBB124_406
; %bb.397:
	s_and_not1_b32 vcc_lo, exec_lo, s6
	s_cbranch_vccnz .LBB124_399
; %bb.398:
	scratch_load_b32 v126, v7, off
	ds_load_b32 v127, v1
	s_wait_loadcnt_dscnt 0x0
	v_mul_f32_e32 v126, v126, v127
	s_cbranch_execz .LBB124_400
	s_branch .LBB124_401
.LBB124_399:
                                        ; implicit-def: $vgpr126
.LBB124_400:
	ds_load_b32 v126, v1
.LBB124_401:
	s_and_saveexec_b32 s26, s1
	s_cbranch_execz .LBB124_405
; %bb.402:
	v_subrev_nc_u32_e32 v127, 20, v0
	s_movk_i32 s27, 0x150
	s_mov_b32 s1, 0
.LBB124_403:                            ; =>This Inner Loop Header: Depth=1
	scratch_load_b32 v128, off, s24
	v_dual_mov_b32 v129, s27 :: v_dual_add_nc_u32 v127, -1, v127
	s_add_co_i32 s27, s27, 4
	s_wait_xcnt 0x0
	s_add_co_i32 s24, s24, 4
	ds_load_b32 v129, v129
	v_cmp_eq_u32_e32 vcc_lo, 0, v127
	s_or_b32 s1, vcc_lo, s1
	s_wait_loadcnt_dscnt 0x0
	v_fmac_f32_e32 v126, v128, v129
	s_and_not1_b32 exec_lo, exec_lo, s1
	s_cbranch_execnz .LBB124_403
; %bb.404:
	s_or_b32 exec_lo, exec_lo, s1
.LBB124_405:
	s_delay_alu instid0(SALU_CYCLE_1)
	s_or_b32 exec_lo, exec_lo, s26
	v_mov_b32_e32 v127, 0
	ds_load_b32 v127, v127 offset:76
	s_wait_dscnt 0x0
	v_mul_f32_e32 v126, v126, v127
	scratch_store_b32 off, v126, off offset:76
.LBB124_406:
	s_wait_xcnt 0x0
	s_or_b32 exec_lo, exec_lo, s25
	scratch_load_b32 v126, off, off offset:72
	v_cmp_lt_u32_e64 s1, 18, v0
	s_wait_loadcnt 0x0
	ds_store_b32 v1, v126
	s_wait_storecnt_dscnt 0x0
	s_barrier_signal -1
	s_barrier_wait -1
	s_wait_xcnt 0x0
	s_and_saveexec_b32 s24, s1
	s_cbranch_execz .LBB124_416
; %bb.407:
	s_and_not1_b32 vcc_lo, exec_lo, s6
	s_cbranch_vccnz .LBB124_409
; %bb.408:
	scratch_load_b32 v126, v7, off
	ds_load_b32 v127, v1
	s_wait_loadcnt_dscnt 0x0
	v_mul_f32_e32 v126, v126, v127
	s_cbranch_execz .LBB124_410
	s_branch .LBB124_411
.LBB124_409:
                                        ; implicit-def: $vgpr126
.LBB124_410:
	ds_load_b32 v126, v1
.LBB124_411:
	s_and_saveexec_b32 s25, s0
	s_cbranch_execz .LBB124_415
; %bb.412:
	v_subrev_nc_u32_e32 v127, 19, v0
	s_movk_i32 s26, 0x14c
	s_mov_b32 s0, 0
.LBB124_413:                            ; =>This Inner Loop Header: Depth=1
	scratch_load_b32 v128, off, s23
	v_dual_mov_b32 v129, s26 :: v_dual_add_nc_u32 v127, -1, v127
	s_add_co_i32 s26, s26, 4
	s_wait_xcnt 0x0
	s_add_co_i32 s23, s23, 4
	ds_load_b32 v129, v129
	v_cmp_eq_u32_e32 vcc_lo, 0, v127
	s_or_b32 s0, vcc_lo, s0
	s_wait_loadcnt_dscnt 0x0
	v_fmac_f32_e32 v126, v128, v129
	s_and_not1_b32 exec_lo, exec_lo, s0
	s_cbranch_execnz .LBB124_413
; %bb.414:
	s_or_b32 exec_lo, exec_lo, s0
.LBB124_415:
	s_delay_alu instid0(SALU_CYCLE_1)
	s_or_b32 exec_lo, exec_lo, s25
	v_mov_b32_e32 v127, 0
	ds_load_b32 v127, v127 offset:72
	s_wait_dscnt 0x0
	v_mul_f32_e32 v126, v126, v127
	scratch_store_b32 off, v126, off offset:72
.LBB124_416:
	s_wait_xcnt 0x0
	s_or_b32 exec_lo, exec_lo, s24
	scratch_load_b32 v126, off, off offset:68
	v_cmp_lt_u32_e64 s0, 17, v0
	s_wait_loadcnt 0x0
	ds_store_b32 v1, v126
	s_wait_storecnt_dscnt 0x0
	s_barrier_signal -1
	s_barrier_wait -1
	s_wait_xcnt 0x0
	s_and_saveexec_b32 s23, s0
	s_cbranch_execz .LBB124_426
; %bb.417:
	s_and_not1_b32 vcc_lo, exec_lo, s6
	s_cbranch_vccnz .LBB124_419
; %bb.418:
	scratch_load_b32 v126, v7, off
	ds_load_b32 v127, v1
	s_wait_loadcnt_dscnt 0x0
	v_mul_f32_e32 v126, v126, v127
	s_cbranch_execz .LBB124_420
	s_branch .LBB124_421
.LBB124_419:
                                        ; implicit-def: $vgpr126
.LBB124_420:
	ds_load_b32 v126, v1
.LBB124_421:
	s_and_saveexec_b32 s24, s1
	s_cbranch_execz .LBB124_425
; %bb.422:
	v_subrev_nc_u32_e32 v127, 18, v0
	s_movk_i32 s25, 0x148
	s_mov_b32 s1, 0
.LBB124_423:                            ; =>This Inner Loop Header: Depth=1
	scratch_load_b32 v128, off, s22
	v_dual_mov_b32 v129, s25 :: v_dual_add_nc_u32 v127, -1, v127
	s_add_co_i32 s25, s25, 4
	s_wait_xcnt 0x0
	s_add_co_i32 s22, s22, 4
	ds_load_b32 v129, v129
	v_cmp_eq_u32_e32 vcc_lo, 0, v127
	s_or_b32 s1, vcc_lo, s1
	s_wait_loadcnt_dscnt 0x0
	v_fmac_f32_e32 v126, v128, v129
	s_and_not1_b32 exec_lo, exec_lo, s1
	s_cbranch_execnz .LBB124_423
; %bb.424:
	s_or_b32 exec_lo, exec_lo, s1
.LBB124_425:
	s_delay_alu instid0(SALU_CYCLE_1)
	s_or_b32 exec_lo, exec_lo, s24
	v_mov_b32_e32 v127, 0
	ds_load_b32 v127, v127 offset:68
	s_wait_dscnt 0x0
	v_mul_f32_e32 v126, v126, v127
	scratch_store_b32 off, v126, off offset:68
.LBB124_426:
	s_wait_xcnt 0x0
	s_or_b32 exec_lo, exec_lo, s23
	scratch_load_b32 v126, off, off offset:64
	v_cmp_lt_u32_e64 s1, 16, v0
	s_wait_loadcnt 0x0
	ds_store_b32 v1, v126
	s_wait_storecnt_dscnt 0x0
	s_barrier_signal -1
	s_barrier_wait -1
	s_wait_xcnt 0x0
	s_and_saveexec_b32 s22, s1
	s_cbranch_execz .LBB124_436
; %bb.427:
	s_and_not1_b32 vcc_lo, exec_lo, s6
	s_cbranch_vccnz .LBB124_429
; %bb.428:
	scratch_load_b32 v126, v7, off
	ds_load_b32 v127, v1
	s_wait_loadcnt_dscnt 0x0
	v_mul_f32_e32 v126, v126, v127
	s_cbranch_execz .LBB124_430
	s_branch .LBB124_431
.LBB124_429:
                                        ; implicit-def: $vgpr126
.LBB124_430:
	ds_load_b32 v126, v1
.LBB124_431:
	s_and_saveexec_b32 s23, s0
	s_cbranch_execz .LBB124_435
; %bb.432:
	v_subrev_nc_u32_e32 v127, 17, v0
	s_movk_i32 s24, 0x144
	s_mov_b32 s0, 0
.LBB124_433:                            ; =>This Inner Loop Header: Depth=1
	scratch_load_b32 v128, off, s21
	v_dual_mov_b32 v129, s24 :: v_dual_add_nc_u32 v127, -1, v127
	s_add_co_i32 s24, s24, 4
	s_wait_xcnt 0x0
	s_add_co_i32 s21, s21, 4
	ds_load_b32 v129, v129
	v_cmp_eq_u32_e32 vcc_lo, 0, v127
	s_or_b32 s0, vcc_lo, s0
	s_wait_loadcnt_dscnt 0x0
	v_fmac_f32_e32 v126, v128, v129
	s_and_not1_b32 exec_lo, exec_lo, s0
	s_cbranch_execnz .LBB124_433
; %bb.434:
	s_or_b32 exec_lo, exec_lo, s0
.LBB124_435:
	s_delay_alu instid0(SALU_CYCLE_1)
	s_or_b32 exec_lo, exec_lo, s23
	v_mov_b32_e32 v127, 0
	ds_load_b32 v127, v127 offset:64
	s_wait_dscnt 0x0
	v_mul_f32_e32 v126, v126, v127
	scratch_store_b32 off, v126, off offset:64
.LBB124_436:
	s_wait_xcnt 0x0
	s_or_b32 exec_lo, exec_lo, s22
	scratch_load_b32 v126, off, off offset:60
	v_cmp_lt_u32_e64 s0, 15, v0
	s_wait_loadcnt 0x0
	ds_store_b32 v1, v126
	s_wait_storecnt_dscnt 0x0
	s_barrier_signal -1
	s_barrier_wait -1
	s_wait_xcnt 0x0
	s_and_saveexec_b32 s21, s0
	s_cbranch_execz .LBB124_446
; %bb.437:
	s_and_not1_b32 vcc_lo, exec_lo, s6
	s_cbranch_vccnz .LBB124_439
; %bb.438:
	scratch_load_b32 v126, v7, off
	ds_load_b32 v127, v1
	s_wait_loadcnt_dscnt 0x0
	v_mul_f32_e32 v126, v126, v127
	s_cbranch_execz .LBB124_440
	s_branch .LBB124_441
.LBB124_439:
                                        ; implicit-def: $vgpr126
.LBB124_440:
	ds_load_b32 v126, v1
.LBB124_441:
	s_and_saveexec_b32 s22, s1
	s_cbranch_execz .LBB124_445
; %bb.442:
	v_add_nc_u32_e32 v127, -16, v0
	s_movk_i32 s23, 0x140
	s_mov_b32 s1, 0
.LBB124_443:                            ; =>This Inner Loop Header: Depth=1
	scratch_load_b32 v128, off, s20
	v_dual_mov_b32 v129, s23 :: v_dual_add_nc_u32 v127, -1, v127
	s_add_co_i32 s23, s23, 4
	s_wait_xcnt 0x0
	s_add_co_i32 s20, s20, 4
	ds_load_b32 v129, v129
	v_cmp_eq_u32_e32 vcc_lo, 0, v127
	s_or_b32 s1, vcc_lo, s1
	s_wait_loadcnt_dscnt 0x0
	v_fmac_f32_e32 v126, v128, v129
	s_and_not1_b32 exec_lo, exec_lo, s1
	s_cbranch_execnz .LBB124_443
; %bb.444:
	s_or_b32 exec_lo, exec_lo, s1
.LBB124_445:
	s_delay_alu instid0(SALU_CYCLE_1)
	s_or_b32 exec_lo, exec_lo, s22
	v_mov_b32_e32 v127, 0
	ds_load_b32 v127, v127 offset:60
	s_wait_dscnt 0x0
	v_mul_f32_e32 v126, v126, v127
	scratch_store_b32 off, v126, off offset:60
.LBB124_446:
	s_wait_xcnt 0x0
	s_or_b32 exec_lo, exec_lo, s21
	scratch_load_b32 v126, off, off offset:56
	v_cmp_lt_u32_e64 s1, 14, v0
	s_wait_loadcnt 0x0
	ds_store_b32 v1, v126
	s_wait_storecnt_dscnt 0x0
	s_barrier_signal -1
	s_barrier_wait -1
	s_wait_xcnt 0x0
	s_and_saveexec_b32 s20, s1
	s_cbranch_execz .LBB124_456
; %bb.447:
	s_and_not1_b32 vcc_lo, exec_lo, s6
	s_cbranch_vccnz .LBB124_449
; %bb.448:
	scratch_load_b32 v126, v7, off
	ds_load_b32 v127, v1
	s_wait_loadcnt_dscnt 0x0
	v_mul_f32_e32 v126, v126, v127
	s_cbranch_execz .LBB124_450
	s_branch .LBB124_451
.LBB124_449:
                                        ; implicit-def: $vgpr126
.LBB124_450:
	ds_load_b32 v126, v1
.LBB124_451:
	s_and_saveexec_b32 s21, s0
	s_cbranch_execz .LBB124_455
; %bb.452:
	v_add_nc_u32_e32 v127, -15, v0
	s_movk_i32 s22, 0x13c
	s_mov_b32 s0, 0
.LBB124_453:                            ; =>This Inner Loop Header: Depth=1
	scratch_load_b32 v128, off, s19
	v_dual_mov_b32 v129, s22 :: v_dual_add_nc_u32 v127, -1, v127
	s_add_co_i32 s22, s22, 4
	s_wait_xcnt 0x0
	s_add_co_i32 s19, s19, 4
	ds_load_b32 v129, v129
	v_cmp_eq_u32_e32 vcc_lo, 0, v127
	s_or_b32 s0, vcc_lo, s0
	s_wait_loadcnt_dscnt 0x0
	v_fmac_f32_e32 v126, v128, v129
	s_and_not1_b32 exec_lo, exec_lo, s0
	s_cbranch_execnz .LBB124_453
; %bb.454:
	s_or_b32 exec_lo, exec_lo, s0
.LBB124_455:
	s_delay_alu instid0(SALU_CYCLE_1)
	s_or_b32 exec_lo, exec_lo, s21
	v_mov_b32_e32 v127, 0
	ds_load_b32 v127, v127 offset:56
	s_wait_dscnt 0x0
	v_mul_f32_e32 v126, v126, v127
	scratch_store_b32 off, v126, off offset:56
.LBB124_456:
	;; [unrolled: 57-line block ×15, first 2 shown]
	s_wait_xcnt 0x0
	s_or_b32 exec_lo, exec_lo, s7
	scratch_load_b32 v126, off, off
	s_mov_b32 s5, 0
	s_mov_b32 s1, exec_lo
	s_wait_loadcnt 0x0
	ds_store_b32 v1, v126
	s_wait_storecnt_dscnt 0x0
	s_barrier_signal -1
	s_barrier_wait -1
	s_wait_xcnt 0x0
	v_cmpx_ne_u32_e32 0, v0
	s_cbranch_execz .LBB124_596
; %bb.587:
	s_and_not1_b32 vcc_lo, exec_lo, s6
	s_cbranch_vccnz .LBB124_589
; %bb.588:
	scratch_load_b32 v126, v7, off
	ds_load_b32 v127, v1
	s_wait_loadcnt_dscnt 0x0
	v_mul_f32_e32 v126, v126, v127
	s_cbranch_execz .LBB124_590
	s_branch .LBB124_591
.LBB124_589:
                                        ; implicit-def: $vgpr126
.LBB124_590:
	ds_load_b32 v126, v1
.LBB124_591:
	s_and_saveexec_b32 s7, s0
	s_cbranch_execz .LBB124_595
; %bb.592:
	v_add_nc_u32_e32 v127, -1, v0
	s_movk_i32 s8, 0x104
	s_mov_b32 s0, 0
.LBB124_593:                            ; =>This Inner Loop Header: Depth=1
	scratch_load_b32 v128, off, s4
	v_dual_mov_b32 v129, s8 :: v_dual_add_nc_u32 v127, -1, v127
	s_add_co_i32 s8, s8, 4
	s_wait_xcnt 0x0
	s_add_co_i32 s4, s4, 4
	ds_load_b32 v129, v129
	v_cmp_eq_u32_e32 vcc_lo, 0, v127
	s_or_b32 s0, vcc_lo, s0
	s_wait_loadcnt_dscnt 0x0
	v_fmac_f32_e32 v126, v128, v129
	s_and_not1_b32 exec_lo, exec_lo, s0
	s_cbranch_execnz .LBB124_593
; %bb.594:
	s_or_b32 exec_lo, exec_lo, s0
.LBB124_595:
	s_delay_alu instid0(SALU_CYCLE_1)
	s_or_b32 exec_lo, exec_lo, s7
	v_mov_b32_e32 v127, 0
	ds_load_b32 v127, v127
	s_wait_dscnt 0x0
	v_mul_f32_e32 v126, v126, v127
	scratch_store_b32 off, v126, off
.LBB124_596:
	s_wait_xcnt 0x0
	s_or_b32 exec_lo, exec_lo, s1
.LBB124_597:
	v_lshl_add_u64 v[182:183], v[8:9], 2, s[2:3]
	v_lshl_add_u64 v[180:181], v[10:11], 2, s[2:3]
	;; [unrolled: 1-line block ×59, first 2 shown]
	s_and_b32 vcc_lo, exec_lo, s5
	s_cbranch_vccz .LBB124_1189
; %bb.598:
	scratch_load_b32 v68, off, off offset:4
	v_cmp_eq_u32_e64 s0, 0, v0
	s_wait_loadcnt 0x0
	ds_store_b32 v1, v68
	s_wait_storecnt_dscnt 0x0
	s_barrier_signal -1
	s_barrier_wait -1
	s_wait_xcnt 0x0
	s_and_saveexec_b32 s1, s0
	s_cbranch_execz .LBB124_604
; %bb.599:
	s_and_b32 vcc_lo, exec_lo, s6
	s_cbranch_vccz .LBB124_601
; %bb.600:
	scratch_load_b32 v68, v7, off
	ds_load_b32 v69, v1
	s_wait_loadcnt_dscnt 0x0
	v_mul_f32_e32 v68, v68, v69
	s_cbranch_execz .LBB124_602
	s_branch .LBB124_603
.LBB124_601:
                                        ; implicit-def: $vgpr68
.LBB124_602:
	ds_load_b32 v68, v1
.LBB124_603:
	v_mov_b32_e32 v69, 0
	ds_load_b32 v69, v69 offset:4
	s_wait_dscnt 0x0
	v_mul_f32_e32 v68, v68, v69
	scratch_store_b32 off, v68, off offset:4
.LBB124_604:
	s_wait_xcnt 0x0
	s_or_b32 exec_lo, exec_lo, s1
	scratch_load_b32 v69, off, off offset:8
	v_cndmask_b32_e64 v68, 0, 1, s6
	s_mov_b32 s1, exec_lo
	s_wait_loadcnt 0x0
	ds_store_b32 v1, v69
	s_wait_storecnt_dscnt 0x0
	s_barrier_signal -1
	s_barrier_wait -1
	s_wait_xcnt 0x0
	v_cmpx_gt_u32_e32 2, v0
	s_cbranch_execz .LBB124_610
; %bb.605:
	s_and_not1_b32 vcc_lo, exec_lo, s6
	s_cbranch_vccnz .LBB124_607
; %bb.606:
	scratch_load_b32 v69, v7, off
	ds_load_b32 v70, v1
	s_wait_loadcnt_dscnt 0x0
	v_mul_f32_e32 v69, v69, v70
	s_cbranch_execz .LBB124_608
	s_branch .LBB124_609
.LBB124_607:
                                        ; implicit-def: $vgpr69
.LBB124_608:
	ds_load_b32 v69, v1
.LBB124_609:
	scratch_load_b32 v72, off, off offset:4
	v_mov_b32_e32 v70, 0
	ds_load_2addr_b32 v[70:71], v70 offset0:2 offset1:65
	s_wait_loadcnt_dscnt 0x0
	v_fma_f32 v71, v72, v71, v69
	s_delay_alu instid0(VALU_DEP_1) | instskip(NEXT) | instid1(VALU_DEP_1)
	v_cndmask_b32_e64 v69, v69, v71, s0
	v_mul_f32_e32 v69, v69, v70
	scratch_store_b32 off, v69, off offset:8
.LBB124_610:
	s_wait_xcnt 0x0
	s_or_b32 exec_lo, exec_lo, s1
	scratch_load_b32 v69, off, off offset:12
	s_mov_b32 s1, exec_lo
	s_wait_loadcnt 0x0
	ds_store_b32 v1, v69
	s_wait_storecnt_dscnt 0x0
	s_barrier_signal -1
	s_barrier_wait -1
	s_wait_xcnt 0x0
	v_cmpx_gt_u32_e32 3, v0
	s_cbranch_execz .LBB124_618
; %bb.611:
	v_cmp_ne_u32_e32 vcc_lo, 1, v68
	s_cbranch_vccnz .LBB124_613
; %bb.612:
	scratch_load_b32 v69, v7, off
	ds_load_b32 v70, v1
	s_wait_loadcnt_dscnt 0x0
	v_mul_f32_e32 v69, v69, v70
	s_cbranch_execz .LBB124_614
	s_branch .LBB124_615
.LBB124_613:
                                        ; implicit-def: $vgpr69
.LBB124_614:
	ds_load_b32 v69, v1
.LBB124_615:
	s_mov_b32 s2, exec_lo
	v_cmpx_ne_u32_e32 2, v0
	s_cbranch_execz .LBB124_617
; %bb.616:
	scratch_load_b32 v70, v7, off offset:4
	scratch_load_b32 v71, off, off offset:8
	ds_load_b32 v72, v1 offset:4
	v_mov_b32_e32 v73, 0
	ds_load_b32 v73, v73 offset:264
	s_wait_loadcnt_dscnt 0x101
	v_fmac_f32_e32 v69, v70, v72
	s_wait_loadcnt_dscnt 0x0
	s_delay_alu instid0(VALU_DEP_1) | instskip(NEXT) | instid1(VALU_DEP_1)
	v_fma_f32 v70, v71, v73, v69
	v_cndmask_b32_e64 v69, v69, v70, s0
.LBB124_617:
	s_or_b32 exec_lo, exec_lo, s2
	v_mov_b32_e32 v70, 0
	ds_load_b32 v70, v70 offset:12
	s_wait_dscnt 0x0
	v_mul_f32_e32 v69, v69, v70
	scratch_store_b32 off, v69, off offset:12
.LBB124_618:
	s_wait_xcnt 0x0
	s_or_b32 exec_lo, exec_lo, s1
	scratch_load_b32 v69, off, off offset:16
	s_mov_b32 s0, exec_lo
	s_wait_loadcnt 0x0
	ds_store_b32 v1, v69
	s_wait_storecnt_dscnt 0x0
	s_barrier_signal -1
	s_barrier_wait -1
	s_wait_xcnt 0x0
	v_cmpx_gt_u32_e32 4, v0
	s_cbranch_execz .LBB124_628
; %bb.619:
	v_cmp_ne_u32_e32 vcc_lo, 1, v68
	s_cbranch_vccnz .LBB124_621
; %bb.620:
	scratch_load_b32 v69, v7, off
	ds_load_b32 v70, v1
	s_wait_loadcnt_dscnt 0x0
	v_mul_f32_e32 v69, v69, v70
	s_cbranch_execz .LBB124_622
	s_branch .LBB124_623
.LBB124_621:
                                        ; implicit-def: $vgpr69
.LBB124_622:
	ds_load_b32 v69, v1
.LBB124_623:
	s_mov_b32 s1, exec_lo
	v_cmpx_ne_u32_e32 3, v0
	s_cbranch_execz .LBB124_627
; %bb.624:
	v_add_nc_u32_e32 v70, 0x104, v6
	v_add3_u32 v71, 0, v6, 4
	v_mov_b32_e32 v72, v0
	s_mov_b32 s2, 0
.LBB124_625:                            ; =>This Inner Loop Header: Depth=1
	scratch_load_b32 v73, v71, off
	ds_load_b32 v74, v70
	v_dual_add_nc_u32 v72, 1, v72 :: v_dual_add_nc_u32 v70, 4, v70
	s_wait_xcnt 0x0
	v_add_nc_u32_e32 v71, 4, v71
	s_delay_alu instid0(VALU_DEP_2)
	v_cmp_lt_u32_e32 vcc_lo, 2, v72
	s_or_b32 s2, vcc_lo, s2
	s_wait_loadcnt_dscnt 0x0
	v_fmac_f32_e32 v69, v73, v74
	s_and_not1_b32 exec_lo, exec_lo, s2
	s_cbranch_execnz .LBB124_625
; %bb.626:
	s_or_b32 exec_lo, exec_lo, s2
.LBB124_627:
	s_delay_alu instid0(SALU_CYCLE_1)
	s_or_b32 exec_lo, exec_lo, s1
	v_mov_b32_e32 v70, 0
	ds_load_b32 v70, v70 offset:16
	s_wait_dscnt 0x0
	v_mul_f32_e32 v69, v69, v70
	scratch_store_b32 off, v69, off offset:16
.LBB124_628:
	s_wait_xcnt 0x0
	s_or_b32 exec_lo, exec_lo, s0
	scratch_load_b32 v69, off, off offset:20
	s_mov_b32 s0, exec_lo
	s_wait_loadcnt 0x0
	ds_store_b32 v1, v69
	s_wait_storecnt_dscnt 0x0
	s_barrier_signal -1
	s_barrier_wait -1
	s_wait_xcnt 0x0
	v_cmpx_gt_u32_e32 5, v0
	s_cbranch_execz .LBB124_638
; %bb.629:
	v_cmp_ne_u32_e32 vcc_lo, 1, v68
	s_cbranch_vccnz .LBB124_631
; %bb.630:
	scratch_load_b32 v69, v7, off
	ds_load_b32 v70, v1
	s_wait_loadcnt_dscnt 0x0
	v_mul_f32_e32 v69, v69, v70
	s_cbranch_execz .LBB124_632
	s_branch .LBB124_633
.LBB124_631:
                                        ; implicit-def: $vgpr69
.LBB124_632:
	ds_load_b32 v69, v1
.LBB124_633:
	s_mov_b32 s1, exec_lo
	v_cmpx_ne_u32_e32 4, v0
	s_cbranch_execz .LBB124_637
; %bb.634:
	v_add_nc_u32_e32 v70, 0x104, v6
	v_add3_u32 v71, 0, v6, 4
	v_mov_b32_e32 v72, v0
	s_mov_b32 s2, 0
.LBB124_635:                            ; =>This Inner Loop Header: Depth=1
	scratch_load_b32 v73, v71, off
	ds_load_b32 v74, v70
	v_dual_add_nc_u32 v72, 1, v72 :: v_dual_add_nc_u32 v70, 4, v70
	s_wait_xcnt 0x0
	v_add_nc_u32_e32 v71, 4, v71
	s_delay_alu instid0(VALU_DEP_2)
	v_cmp_lt_u32_e32 vcc_lo, 3, v72
	s_or_b32 s2, vcc_lo, s2
	s_wait_loadcnt_dscnt 0x0
	v_fmac_f32_e32 v69, v73, v74
	s_and_not1_b32 exec_lo, exec_lo, s2
	s_cbranch_execnz .LBB124_635
; %bb.636:
	s_or_b32 exec_lo, exec_lo, s2
.LBB124_637:
	s_delay_alu instid0(SALU_CYCLE_1)
	s_or_b32 exec_lo, exec_lo, s1
	v_mov_b32_e32 v70, 0
	ds_load_b32 v70, v70 offset:20
	s_wait_dscnt 0x0
	v_mul_f32_e32 v69, v69, v70
	scratch_store_b32 off, v69, off offset:20
.LBB124_638:
	s_wait_xcnt 0x0
	s_or_b32 exec_lo, exec_lo, s0
	scratch_load_b32 v69, off, off offset:24
	s_mov_b32 s0, exec_lo
	s_wait_loadcnt 0x0
	ds_store_b32 v1, v69
	s_wait_storecnt_dscnt 0x0
	s_barrier_signal -1
	s_barrier_wait -1
	s_wait_xcnt 0x0
	v_cmpx_gt_u32_e32 6, v0
	s_cbranch_execz .LBB124_648
; %bb.639:
	v_cmp_ne_u32_e32 vcc_lo, 1, v68
	s_cbranch_vccnz .LBB124_641
; %bb.640:
	scratch_load_b32 v69, v7, off
	ds_load_b32 v70, v1
	s_wait_loadcnt_dscnt 0x0
	v_mul_f32_e32 v69, v69, v70
	s_cbranch_execz .LBB124_642
	s_branch .LBB124_643
.LBB124_641:
                                        ; implicit-def: $vgpr69
.LBB124_642:
	ds_load_b32 v69, v1
.LBB124_643:
	s_mov_b32 s1, exec_lo
	v_cmpx_ne_u32_e32 5, v0
	s_cbranch_execz .LBB124_647
; %bb.644:
	v_add_nc_u32_e32 v70, 0x104, v6
	v_add3_u32 v71, 0, v6, 4
	v_mov_b32_e32 v72, v0
	s_mov_b32 s2, 0
.LBB124_645:                            ; =>This Inner Loop Header: Depth=1
	scratch_load_b32 v73, v71, off
	ds_load_b32 v74, v70
	v_dual_add_nc_u32 v72, 1, v72 :: v_dual_add_nc_u32 v70, 4, v70
	s_wait_xcnt 0x0
	v_add_nc_u32_e32 v71, 4, v71
	s_delay_alu instid0(VALU_DEP_2)
	v_cmp_lt_u32_e32 vcc_lo, 4, v72
	s_or_b32 s2, vcc_lo, s2
	s_wait_loadcnt_dscnt 0x0
	v_fmac_f32_e32 v69, v73, v74
	s_and_not1_b32 exec_lo, exec_lo, s2
	s_cbranch_execnz .LBB124_645
; %bb.646:
	s_or_b32 exec_lo, exec_lo, s2
.LBB124_647:
	s_delay_alu instid0(SALU_CYCLE_1)
	s_or_b32 exec_lo, exec_lo, s1
	v_mov_b32_e32 v70, 0
	ds_load_b32 v70, v70 offset:24
	s_wait_dscnt 0x0
	v_mul_f32_e32 v69, v69, v70
	scratch_store_b32 off, v69, off offset:24
.LBB124_648:
	s_wait_xcnt 0x0
	s_or_b32 exec_lo, exec_lo, s0
	scratch_load_b32 v69, off, off offset:28
	s_mov_b32 s0, exec_lo
	s_wait_loadcnt 0x0
	ds_store_b32 v1, v69
	s_wait_storecnt_dscnt 0x0
	s_barrier_signal -1
	s_barrier_wait -1
	s_wait_xcnt 0x0
	v_cmpx_gt_u32_e32 7, v0
	s_cbranch_execz .LBB124_658
; %bb.649:
	v_cmp_ne_u32_e32 vcc_lo, 1, v68
	s_cbranch_vccnz .LBB124_651
; %bb.650:
	scratch_load_b32 v69, v7, off
	ds_load_b32 v70, v1
	s_wait_loadcnt_dscnt 0x0
	v_mul_f32_e32 v69, v69, v70
	s_cbranch_execz .LBB124_652
	s_branch .LBB124_653
.LBB124_651:
                                        ; implicit-def: $vgpr69
.LBB124_652:
	ds_load_b32 v69, v1
.LBB124_653:
	s_mov_b32 s1, exec_lo
	v_cmpx_ne_u32_e32 6, v0
	s_cbranch_execz .LBB124_657
; %bb.654:
	v_add_nc_u32_e32 v70, 0x104, v6
	v_add3_u32 v71, 0, v6, 4
	v_mov_b32_e32 v72, v0
	s_mov_b32 s2, 0
.LBB124_655:                            ; =>This Inner Loop Header: Depth=1
	scratch_load_b32 v73, v71, off
	ds_load_b32 v74, v70
	v_dual_add_nc_u32 v72, 1, v72 :: v_dual_add_nc_u32 v70, 4, v70
	s_wait_xcnt 0x0
	v_add_nc_u32_e32 v71, 4, v71
	s_delay_alu instid0(VALU_DEP_2)
	v_cmp_lt_u32_e32 vcc_lo, 5, v72
	s_or_b32 s2, vcc_lo, s2
	s_wait_loadcnt_dscnt 0x0
	v_fmac_f32_e32 v69, v73, v74
	s_and_not1_b32 exec_lo, exec_lo, s2
	s_cbranch_execnz .LBB124_655
; %bb.656:
	s_or_b32 exec_lo, exec_lo, s2
.LBB124_657:
	s_delay_alu instid0(SALU_CYCLE_1)
	s_or_b32 exec_lo, exec_lo, s1
	v_mov_b32_e32 v70, 0
	ds_load_b32 v70, v70 offset:28
	s_wait_dscnt 0x0
	v_mul_f32_e32 v69, v69, v70
	scratch_store_b32 off, v69, off offset:28
.LBB124_658:
	s_wait_xcnt 0x0
	s_or_b32 exec_lo, exec_lo, s0
	scratch_load_b32 v69, off, off offset:32
	s_mov_b32 s0, exec_lo
	s_wait_loadcnt 0x0
	ds_store_b32 v1, v69
	s_wait_storecnt_dscnt 0x0
	s_barrier_signal -1
	s_barrier_wait -1
	s_wait_xcnt 0x0
	v_cmpx_gt_u32_e32 8, v0
	s_cbranch_execz .LBB124_668
; %bb.659:
	v_cmp_ne_u32_e32 vcc_lo, 1, v68
	s_cbranch_vccnz .LBB124_661
; %bb.660:
	scratch_load_b32 v69, v7, off
	ds_load_b32 v70, v1
	s_wait_loadcnt_dscnt 0x0
	v_mul_f32_e32 v69, v69, v70
	s_cbranch_execz .LBB124_662
	s_branch .LBB124_663
.LBB124_661:
                                        ; implicit-def: $vgpr69
.LBB124_662:
	ds_load_b32 v69, v1
.LBB124_663:
	s_mov_b32 s1, exec_lo
	v_cmpx_ne_u32_e32 7, v0
	s_cbranch_execz .LBB124_667
; %bb.664:
	v_add_nc_u32_e32 v70, 0x104, v6
	v_add3_u32 v71, 0, v6, 4
	v_mov_b32_e32 v72, v0
	s_mov_b32 s2, 0
.LBB124_665:                            ; =>This Inner Loop Header: Depth=1
	scratch_load_b32 v73, v71, off
	ds_load_b32 v74, v70
	v_dual_add_nc_u32 v72, 1, v72 :: v_dual_add_nc_u32 v70, 4, v70
	s_wait_xcnt 0x0
	v_add_nc_u32_e32 v71, 4, v71
	s_delay_alu instid0(VALU_DEP_2)
	v_cmp_lt_u32_e32 vcc_lo, 6, v72
	s_or_b32 s2, vcc_lo, s2
	s_wait_loadcnt_dscnt 0x0
	v_fmac_f32_e32 v69, v73, v74
	s_and_not1_b32 exec_lo, exec_lo, s2
	s_cbranch_execnz .LBB124_665
; %bb.666:
	s_or_b32 exec_lo, exec_lo, s2
.LBB124_667:
	s_delay_alu instid0(SALU_CYCLE_1)
	s_or_b32 exec_lo, exec_lo, s1
	v_mov_b32_e32 v70, 0
	ds_load_b32 v70, v70 offset:32
	s_wait_dscnt 0x0
	v_mul_f32_e32 v69, v69, v70
	scratch_store_b32 off, v69, off offset:32
.LBB124_668:
	s_wait_xcnt 0x0
	s_or_b32 exec_lo, exec_lo, s0
	scratch_load_b32 v69, off, off offset:36
	s_mov_b32 s0, exec_lo
	s_wait_loadcnt 0x0
	ds_store_b32 v1, v69
	s_wait_storecnt_dscnt 0x0
	s_barrier_signal -1
	s_barrier_wait -1
	s_wait_xcnt 0x0
	v_cmpx_gt_u32_e32 9, v0
	s_cbranch_execz .LBB124_678
; %bb.669:
	v_cmp_ne_u32_e32 vcc_lo, 1, v68
	s_cbranch_vccnz .LBB124_671
; %bb.670:
	scratch_load_b32 v69, v7, off
	ds_load_b32 v70, v1
	s_wait_loadcnt_dscnt 0x0
	v_mul_f32_e32 v69, v69, v70
	s_cbranch_execz .LBB124_672
	s_branch .LBB124_673
.LBB124_671:
                                        ; implicit-def: $vgpr69
.LBB124_672:
	ds_load_b32 v69, v1
.LBB124_673:
	s_mov_b32 s1, exec_lo
	v_cmpx_ne_u32_e32 8, v0
	s_cbranch_execz .LBB124_677
; %bb.674:
	v_add_nc_u32_e32 v70, 0x104, v6
	v_add3_u32 v71, 0, v6, 4
	v_mov_b32_e32 v72, v0
	s_mov_b32 s2, 0
.LBB124_675:                            ; =>This Inner Loop Header: Depth=1
	scratch_load_b32 v73, v71, off
	ds_load_b32 v74, v70
	v_dual_add_nc_u32 v72, 1, v72 :: v_dual_add_nc_u32 v70, 4, v70
	s_wait_xcnt 0x0
	v_add_nc_u32_e32 v71, 4, v71
	s_delay_alu instid0(VALU_DEP_2)
	v_cmp_lt_u32_e32 vcc_lo, 7, v72
	s_or_b32 s2, vcc_lo, s2
	s_wait_loadcnt_dscnt 0x0
	v_fmac_f32_e32 v69, v73, v74
	s_and_not1_b32 exec_lo, exec_lo, s2
	s_cbranch_execnz .LBB124_675
; %bb.676:
	s_or_b32 exec_lo, exec_lo, s2
.LBB124_677:
	s_delay_alu instid0(SALU_CYCLE_1)
	s_or_b32 exec_lo, exec_lo, s1
	v_mov_b32_e32 v70, 0
	ds_load_b32 v70, v70 offset:36
	s_wait_dscnt 0x0
	v_mul_f32_e32 v69, v69, v70
	scratch_store_b32 off, v69, off offset:36
.LBB124_678:
	s_wait_xcnt 0x0
	s_or_b32 exec_lo, exec_lo, s0
	scratch_load_b32 v69, off, off offset:40
	s_mov_b32 s0, exec_lo
	s_wait_loadcnt 0x0
	ds_store_b32 v1, v69
	s_wait_storecnt_dscnt 0x0
	s_barrier_signal -1
	s_barrier_wait -1
	s_wait_xcnt 0x0
	v_cmpx_gt_u32_e32 10, v0
	s_cbranch_execz .LBB124_688
; %bb.679:
	v_cmp_ne_u32_e32 vcc_lo, 1, v68
	s_cbranch_vccnz .LBB124_681
; %bb.680:
	scratch_load_b32 v69, v7, off
	ds_load_b32 v70, v1
	s_wait_loadcnt_dscnt 0x0
	v_mul_f32_e32 v69, v69, v70
	s_cbranch_execz .LBB124_682
	s_branch .LBB124_683
.LBB124_681:
                                        ; implicit-def: $vgpr69
.LBB124_682:
	ds_load_b32 v69, v1
.LBB124_683:
	s_mov_b32 s1, exec_lo
	v_cmpx_ne_u32_e32 9, v0
	s_cbranch_execz .LBB124_687
; %bb.684:
	v_add_nc_u32_e32 v70, 0x104, v6
	v_add3_u32 v71, 0, v6, 4
	v_mov_b32_e32 v72, v0
	s_mov_b32 s2, 0
.LBB124_685:                            ; =>This Inner Loop Header: Depth=1
	scratch_load_b32 v73, v71, off
	ds_load_b32 v74, v70
	v_dual_add_nc_u32 v72, 1, v72 :: v_dual_add_nc_u32 v70, 4, v70
	s_wait_xcnt 0x0
	v_add_nc_u32_e32 v71, 4, v71
	s_delay_alu instid0(VALU_DEP_2)
	v_cmp_lt_u32_e32 vcc_lo, 8, v72
	s_or_b32 s2, vcc_lo, s2
	s_wait_loadcnt_dscnt 0x0
	v_fmac_f32_e32 v69, v73, v74
	s_and_not1_b32 exec_lo, exec_lo, s2
	s_cbranch_execnz .LBB124_685
; %bb.686:
	s_or_b32 exec_lo, exec_lo, s2
.LBB124_687:
	s_delay_alu instid0(SALU_CYCLE_1)
	s_or_b32 exec_lo, exec_lo, s1
	v_mov_b32_e32 v70, 0
	ds_load_b32 v70, v70 offset:40
	s_wait_dscnt 0x0
	v_mul_f32_e32 v69, v69, v70
	scratch_store_b32 off, v69, off offset:40
.LBB124_688:
	s_wait_xcnt 0x0
	s_or_b32 exec_lo, exec_lo, s0
	scratch_load_b32 v69, off, off offset:44
	s_mov_b32 s0, exec_lo
	s_wait_loadcnt 0x0
	ds_store_b32 v1, v69
	s_wait_storecnt_dscnt 0x0
	s_barrier_signal -1
	s_barrier_wait -1
	s_wait_xcnt 0x0
	v_cmpx_gt_u32_e32 11, v0
	s_cbranch_execz .LBB124_698
; %bb.689:
	v_cmp_ne_u32_e32 vcc_lo, 1, v68
	s_cbranch_vccnz .LBB124_691
; %bb.690:
	scratch_load_b32 v69, v7, off
	ds_load_b32 v70, v1
	s_wait_loadcnt_dscnt 0x0
	v_mul_f32_e32 v69, v69, v70
	s_cbranch_execz .LBB124_692
	s_branch .LBB124_693
.LBB124_691:
                                        ; implicit-def: $vgpr69
.LBB124_692:
	ds_load_b32 v69, v1
.LBB124_693:
	s_mov_b32 s1, exec_lo
	v_cmpx_ne_u32_e32 10, v0
	s_cbranch_execz .LBB124_697
; %bb.694:
	v_add_nc_u32_e32 v70, 0x104, v6
	v_add3_u32 v71, 0, v6, 4
	v_mov_b32_e32 v72, v0
	s_mov_b32 s2, 0
.LBB124_695:                            ; =>This Inner Loop Header: Depth=1
	scratch_load_b32 v73, v71, off
	ds_load_b32 v74, v70
	v_dual_add_nc_u32 v72, 1, v72 :: v_dual_add_nc_u32 v70, 4, v70
	s_wait_xcnt 0x0
	v_add_nc_u32_e32 v71, 4, v71
	s_delay_alu instid0(VALU_DEP_2)
	v_cmp_lt_u32_e32 vcc_lo, 9, v72
	s_or_b32 s2, vcc_lo, s2
	s_wait_loadcnt_dscnt 0x0
	v_fmac_f32_e32 v69, v73, v74
	s_and_not1_b32 exec_lo, exec_lo, s2
	s_cbranch_execnz .LBB124_695
; %bb.696:
	s_or_b32 exec_lo, exec_lo, s2
.LBB124_697:
	s_delay_alu instid0(SALU_CYCLE_1)
	s_or_b32 exec_lo, exec_lo, s1
	v_mov_b32_e32 v70, 0
	ds_load_b32 v70, v70 offset:44
	s_wait_dscnt 0x0
	v_mul_f32_e32 v69, v69, v70
	scratch_store_b32 off, v69, off offset:44
.LBB124_698:
	s_wait_xcnt 0x0
	s_or_b32 exec_lo, exec_lo, s0
	scratch_load_b32 v69, off, off offset:48
	s_mov_b32 s0, exec_lo
	s_wait_loadcnt 0x0
	ds_store_b32 v1, v69
	s_wait_storecnt_dscnt 0x0
	s_barrier_signal -1
	s_barrier_wait -1
	s_wait_xcnt 0x0
	v_cmpx_gt_u32_e32 12, v0
	s_cbranch_execz .LBB124_708
; %bb.699:
	v_cmp_ne_u32_e32 vcc_lo, 1, v68
	s_cbranch_vccnz .LBB124_701
; %bb.700:
	scratch_load_b32 v69, v7, off
	ds_load_b32 v70, v1
	s_wait_loadcnt_dscnt 0x0
	v_mul_f32_e32 v69, v69, v70
	s_cbranch_execz .LBB124_702
	s_branch .LBB124_703
.LBB124_701:
                                        ; implicit-def: $vgpr69
.LBB124_702:
	ds_load_b32 v69, v1
.LBB124_703:
	s_mov_b32 s1, exec_lo
	v_cmpx_ne_u32_e32 11, v0
	s_cbranch_execz .LBB124_707
; %bb.704:
	v_add_nc_u32_e32 v70, 0x104, v6
	v_add3_u32 v71, 0, v6, 4
	v_mov_b32_e32 v72, v0
	s_mov_b32 s2, 0
.LBB124_705:                            ; =>This Inner Loop Header: Depth=1
	scratch_load_b32 v73, v71, off
	ds_load_b32 v74, v70
	v_dual_add_nc_u32 v72, 1, v72 :: v_dual_add_nc_u32 v70, 4, v70
	s_wait_xcnt 0x0
	v_add_nc_u32_e32 v71, 4, v71
	s_delay_alu instid0(VALU_DEP_2)
	v_cmp_lt_u32_e32 vcc_lo, 10, v72
	s_or_b32 s2, vcc_lo, s2
	s_wait_loadcnt_dscnt 0x0
	v_fmac_f32_e32 v69, v73, v74
	s_and_not1_b32 exec_lo, exec_lo, s2
	s_cbranch_execnz .LBB124_705
; %bb.706:
	s_or_b32 exec_lo, exec_lo, s2
.LBB124_707:
	s_delay_alu instid0(SALU_CYCLE_1)
	s_or_b32 exec_lo, exec_lo, s1
	v_mov_b32_e32 v70, 0
	ds_load_b32 v70, v70 offset:48
	s_wait_dscnt 0x0
	v_mul_f32_e32 v69, v69, v70
	scratch_store_b32 off, v69, off offset:48
.LBB124_708:
	s_wait_xcnt 0x0
	s_or_b32 exec_lo, exec_lo, s0
	scratch_load_b32 v69, off, off offset:52
	s_mov_b32 s0, exec_lo
	s_wait_loadcnt 0x0
	ds_store_b32 v1, v69
	s_wait_storecnt_dscnt 0x0
	s_barrier_signal -1
	s_barrier_wait -1
	s_wait_xcnt 0x0
	v_cmpx_gt_u32_e32 13, v0
	s_cbranch_execz .LBB124_718
; %bb.709:
	v_cmp_ne_u32_e32 vcc_lo, 1, v68
	s_cbranch_vccnz .LBB124_711
; %bb.710:
	scratch_load_b32 v69, v7, off
	ds_load_b32 v70, v1
	s_wait_loadcnt_dscnt 0x0
	v_mul_f32_e32 v69, v69, v70
	s_cbranch_execz .LBB124_712
	s_branch .LBB124_713
.LBB124_711:
                                        ; implicit-def: $vgpr69
.LBB124_712:
	ds_load_b32 v69, v1
.LBB124_713:
	s_mov_b32 s1, exec_lo
	v_cmpx_ne_u32_e32 12, v0
	s_cbranch_execz .LBB124_717
; %bb.714:
	v_add_nc_u32_e32 v70, 0x104, v6
	v_add3_u32 v71, 0, v6, 4
	v_mov_b32_e32 v72, v0
	s_mov_b32 s2, 0
.LBB124_715:                            ; =>This Inner Loop Header: Depth=1
	scratch_load_b32 v73, v71, off
	ds_load_b32 v74, v70
	v_dual_add_nc_u32 v72, 1, v72 :: v_dual_add_nc_u32 v70, 4, v70
	s_wait_xcnt 0x0
	v_add_nc_u32_e32 v71, 4, v71
	s_delay_alu instid0(VALU_DEP_2)
	v_cmp_lt_u32_e32 vcc_lo, 11, v72
	s_or_b32 s2, vcc_lo, s2
	s_wait_loadcnt_dscnt 0x0
	v_fmac_f32_e32 v69, v73, v74
	s_and_not1_b32 exec_lo, exec_lo, s2
	s_cbranch_execnz .LBB124_715
; %bb.716:
	s_or_b32 exec_lo, exec_lo, s2
.LBB124_717:
	s_delay_alu instid0(SALU_CYCLE_1)
	s_or_b32 exec_lo, exec_lo, s1
	v_mov_b32_e32 v70, 0
	ds_load_b32 v70, v70 offset:52
	s_wait_dscnt 0x0
	v_mul_f32_e32 v69, v69, v70
	scratch_store_b32 off, v69, off offset:52
.LBB124_718:
	s_wait_xcnt 0x0
	s_or_b32 exec_lo, exec_lo, s0
	scratch_load_b32 v69, off, off offset:56
	s_mov_b32 s0, exec_lo
	s_wait_loadcnt 0x0
	ds_store_b32 v1, v69
	s_wait_storecnt_dscnt 0x0
	s_barrier_signal -1
	s_barrier_wait -1
	s_wait_xcnt 0x0
	v_cmpx_gt_u32_e32 14, v0
	s_cbranch_execz .LBB124_728
; %bb.719:
	v_cmp_ne_u32_e32 vcc_lo, 1, v68
	s_cbranch_vccnz .LBB124_721
; %bb.720:
	scratch_load_b32 v69, v7, off
	ds_load_b32 v70, v1
	s_wait_loadcnt_dscnt 0x0
	v_mul_f32_e32 v69, v69, v70
	s_cbranch_execz .LBB124_722
	s_branch .LBB124_723
.LBB124_721:
                                        ; implicit-def: $vgpr69
.LBB124_722:
	ds_load_b32 v69, v1
.LBB124_723:
	s_mov_b32 s1, exec_lo
	v_cmpx_ne_u32_e32 13, v0
	s_cbranch_execz .LBB124_727
; %bb.724:
	v_add_nc_u32_e32 v70, 0x104, v6
	v_add3_u32 v71, 0, v6, 4
	v_mov_b32_e32 v72, v0
	s_mov_b32 s2, 0
.LBB124_725:                            ; =>This Inner Loop Header: Depth=1
	scratch_load_b32 v73, v71, off
	ds_load_b32 v74, v70
	v_dual_add_nc_u32 v72, 1, v72 :: v_dual_add_nc_u32 v70, 4, v70
	s_wait_xcnt 0x0
	v_add_nc_u32_e32 v71, 4, v71
	s_delay_alu instid0(VALU_DEP_2)
	v_cmp_lt_u32_e32 vcc_lo, 12, v72
	s_or_b32 s2, vcc_lo, s2
	s_wait_loadcnt_dscnt 0x0
	v_fmac_f32_e32 v69, v73, v74
	s_and_not1_b32 exec_lo, exec_lo, s2
	s_cbranch_execnz .LBB124_725
; %bb.726:
	s_or_b32 exec_lo, exec_lo, s2
.LBB124_727:
	s_delay_alu instid0(SALU_CYCLE_1)
	s_or_b32 exec_lo, exec_lo, s1
	v_mov_b32_e32 v70, 0
	ds_load_b32 v70, v70 offset:56
	s_wait_dscnt 0x0
	v_mul_f32_e32 v69, v69, v70
	scratch_store_b32 off, v69, off offset:56
.LBB124_728:
	s_wait_xcnt 0x0
	s_or_b32 exec_lo, exec_lo, s0
	scratch_load_b32 v69, off, off offset:60
	s_mov_b32 s0, exec_lo
	s_wait_loadcnt 0x0
	ds_store_b32 v1, v69
	s_wait_storecnt_dscnt 0x0
	s_barrier_signal -1
	s_barrier_wait -1
	s_wait_xcnt 0x0
	v_cmpx_gt_u32_e32 15, v0
	s_cbranch_execz .LBB124_738
; %bb.729:
	v_cmp_ne_u32_e32 vcc_lo, 1, v68
	s_cbranch_vccnz .LBB124_731
; %bb.730:
	scratch_load_b32 v69, v7, off
	ds_load_b32 v70, v1
	s_wait_loadcnt_dscnt 0x0
	v_mul_f32_e32 v69, v69, v70
	s_cbranch_execz .LBB124_732
	s_branch .LBB124_733
.LBB124_731:
                                        ; implicit-def: $vgpr69
.LBB124_732:
	ds_load_b32 v69, v1
.LBB124_733:
	s_mov_b32 s1, exec_lo
	v_cmpx_ne_u32_e32 14, v0
	s_cbranch_execz .LBB124_737
; %bb.734:
	v_add_nc_u32_e32 v70, 0x104, v6
	v_add3_u32 v71, 0, v6, 4
	v_mov_b32_e32 v72, v0
	s_mov_b32 s2, 0
.LBB124_735:                            ; =>This Inner Loop Header: Depth=1
	scratch_load_b32 v73, v71, off
	ds_load_b32 v74, v70
	v_dual_add_nc_u32 v72, 1, v72 :: v_dual_add_nc_u32 v70, 4, v70
	s_wait_xcnt 0x0
	v_add_nc_u32_e32 v71, 4, v71
	s_delay_alu instid0(VALU_DEP_2)
	v_cmp_lt_u32_e32 vcc_lo, 13, v72
	s_or_b32 s2, vcc_lo, s2
	s_wait_loadcnt_dscnt 0x0
	v_fmac_f32_e32 v69, v73, v74
	s_and_not1_b32 exec_lo, exec_lo, s2
	s_cbranch_execnz .LBB124_735
; %bb.736:
	s_or_b32 exec_lo, exec_lo, s2
.LBB124_737:
	s_delay_alu instid0(SALU_CYCLE_1)
	s_or_b32 exec_lo, exec_lo, s1
	v_mov_b32_e32 v70, 0
	ds_load_b32 v70, v70 offset:60
	s_wait_dscnt 0x0
	v_mul_f32_e32 v69, v69, v70
	scratch_store_b32 off, v69, off offset:60
.LBB124_738:
	s_wait_xcnt 0x0
	s_or_b32 exec_lo, exec_lo, s0
	scratch_load_b32 v69, off, off offset:64
	s_mov_b32 s0, exec_lo
	s_wait_loadcnt 0x0
	ds_store_b32 v1, v69
	s_wait_storecnt_dscnt 0x0
	s_barrier_signal -1
	s_barrier_wait -1
	s_wait_xcnt 0x0
	v_cmpx_gt_u32_e32 16, v0
	s_cbranch_execz .LBB124_748
; %bb.739:
	v_cmp_ne_u32_e32 vcc_lo, 1, v68
	s_cbranch_vccnz .LBB124_741
; %bb.740:
	scratch_load_b32 v69, v7, off
	ds_load_b32 v70, v1
	s_wait_loadcnt_dscnt 0x0
	v_mul_f32_e32 v69, v69, v70
	s_cbranch_execz .LBB124_742
	s_branch .LBB124_743
.LBB124_741:
                                        ; implicit-def: $vgpr69
.LBB124_742:
	ds_load_b32 v69, v1
.LBB124_743:
	s_mov_b32 s1, exec_lo
	v_cmpx_ne_u32_e32 15, v0
	s_cbranch_execz .LBB124_747
; %bb.744:
	v_add_nc_u32_e32 v70, 0x104, v6
	v_add3_u32 v71, 0, v6, 4
	v_mov_b32_e32 v72, v0
	s_mov_b32 s2, 0
.LBB124_745:                            ; =>This Inner Loop Header: Depth=1
	scratch_load_b32 v73, v71, off
	ds_load_b32 v74, v70
	v_dual_add_nc_u32 v72, 1, v72 :: v_dual_add_nc_u32 v70, 4, v70
	s_wait_xcnt 0x0
	v_add_nc_u32_e32 v71, 4, v71
	s_delay_alu instid0(VALU_DEP_2)
	v_cmp_lt_u32_e32 vcc_lo, 14, v72
	s_or_b32 s2, vcc_lo, s2
	s_wait_loadcnt_dscnt 0x0
	v_fmac_f32_e32 v69, v73, v74
	s_and_not1_b32 exec_lo, exec_lo, s2
	s_cbranch_execnz .LBB124_745
; %bb.746:
	s_or_b32 exec_lo, exec_lo, s2
.LBB124_747:
	s_delay_alu instid0(SALU_CYCLE_1)
	s_or_b32 exec_lo, exec_lo, s1
	v_mov_b32_e32 v70, 0
	ds_load_b32 v70, v70 offset:64
	s_wait_dscnt 0x0
	v_mul_f32_e32 v69, v69, v70
	scratch_store_b32 off, v69, off offset:64
.LBB124_748:
	s_wait_xcnt 0x0
	s_or_b32 exec_lo, exec_lo, s0
	scratch_load_b32 v69, off, off offset:68
	s_mov_b32 s0, exec_lo
	s_wait_loadcnt 0x0
	ds_store_b32 v1, v69
	s_wait_storecnt_dscnt 0x0
	s_barrier_signal -1
	s_barrier_wait -1
	s_wait_xcnt 0x0
	v_cmpx_gt_u32_e32 17, v0
	s_cbranch_execz .LBB124_758
; %bb.749:
	v_cmp_ne_u32_e32 vcc_lo, 1, v68
	s_cbranch_vccnz .LBB124_751
; %bb.750:
	scratch_load_b32 v69, v7, off
	ds_load_b32 v70, v1
	s_wait_loadcnt_dscnt 0x0
	v_mul_f32_e32 v69, v69, v70
	s_cbranch_execz .LBB124_752
	s_branch .LBB124_753
.LBB124_751:
                                        ; implicit-def: $vgpr69
.LBB124_752:
	ds_load_b32 v69, v1
.LBB124_753:
	s_mov_b32 s1, exec_lo
	v_cmpx_ne_u32_e32 16, v0
	s_cbranch_execz .LBB124_757
; %bb.754:
	v_add_nc_u32_e32 v70, 0x104, v6
	v_add3_u32 v71, 0, v6, 4
	v_mov_b32_e32 v72, v0
	s_mov_b32 s2, 0
.LBB124_755:                            ; =>This Inner Loop Header: Depth=1
	scratch_load_b32 v73, v71, off
	ds_load_b32 v74, v70
	v_dual_add_nc_u32 v72, 1, v72 :: v_dual_add_nc_u32 v70, 4, v70
	s_wait_xcnt 0x0
	v_add_nc_u32_e32 v71, 4, v71
	s_delay_alu instid0(VALU_DEP_2)
	v_cmp_lt_u32_e32 vcc_lo, 15, v72
	s_or_b32 s2, vcc_lo, s2
	s_wait_loadcnt_dscnt 0x0
	v_fmac_f32_e32 v69, v73, v74
	s_and_not1_b32 exec_lo, exec_lo, s2
	s_cbranch_execnz .LBB124_755
; %bb.756:
	s_or_b32 exec_lo, exec_lo, s2
.LBB124_757:
	s_delay_alu instid0(SALU_CYCLE_1)
	s_or_b32 exec_lo, exec_lo, s1
	v_mov_b32_e32 v70, 0
	ds_load_b32 v70, v70 offset:68
	s_wait_dscnt 0x0
	v_mul_f32_e32 v69, v69, v70
	scratch_store_b32 off, v69, off offset:68
.LBB124_758:
	s_wait_xcnt 0x0
	s_or_b32 exec_lo, exec_lo, s0
	scratch_load_b32 v69, off, off offset:72
	s_mov_b32 s0, exec_lo
	s_wait_loadcnt 0x0
	ds_store_b32 v1, v69
	s_wait_storecnt_dscnt 0x0
	s_barrier_signal -1
	s_barrier_wait -1
	s_wait_xcnt 0x0
	v_cmpx_gt_u32_e32 18, v0
	s_cbranch_execz .LBB124_768
; %bb.759:
	v_cmp_ne_u32_e32 vcc_lo, 1, v68
	s_cbranch_vccnz .LBB124_761
; %bb.760:
	scratch_load_b32 v69, v7, off
	ds_load_b32 v70, v1
	s_wait_loadcnt_dscnt 0x0
	v_mul_f32_e32 v69, v69, v70
	s_cbranch_execz .LBB124_762
	s_branch .LBB124_763
.LBB124_761:
                                        ; implicit-def: $vgpr69
.LBB124_762:
	ds_load_b32 v69, v1
.LBB124_763:
	s_mov_b32 s1, exec_lo
	v_cmpx_ne_u32_e32 17, v0
	s_cbranch_execz .LBB124_767
; %bb.764:
	v_add_nc_u32_e32 v70, 0x104, v6
	v_add3_u32 v71, 0, v6, 4
	v_mov_b32_e32 v72, v0
	s_mov_b32 s2, 0
.LBB124_765:                            ; =>This Inner Loop Header: Depth=1
	scratch_load_b32 v73, v71, off
	ds_load_b32 v74, v70
	v_dual_add_nc_u32 v72, 1, v72 :: v_dual_add_nc_u32 v70, 4, v70
	s_wait_xcnt 0x0
	v_add_nc_u32_e32 v71, 4, v71
	s_delay_alu instid0(VALU_DEP_2)
	v_cmp_lt_u32_e32 vcc_lo, 16, v72
	s_or_b32 s2, vcc_lo, s2
	s_wait_loadcnt_dscnt 0x0
	v_fmac_f32_e32 v69, v73, v74
	s_and_not1_b32 exec_lo, exec_lo, s2
	s_cbranch_execnz .LBB124_765
; %bb.766:
	s_or_b32 exec_lo, exec_lo, s2
.LBB124_767:
	s_delay_alu instid0(SALU_CYCLE_1)
	s_or_b32 exec_lo, exec_lo, s1
	v_mov_b32_e32 v70, 0
	ds_load_b32 v70, v70 offset:72
	s_wait_dscnt 0x0
	v_mul_f32_e32 v69, v69, v70
	scratch_store_b32 off, v69, off offset:72
.LBB124_768:
	s_wait_xcnt 0x0
	s_or_b32 exec_lo, exec_lo, s0
	scratch_load_b32 v69, off, off offset:76
	s_mov_b32 s0, exec_lo
	s_wait_loadcnt 0x0
	ds_store_b32 v1, v69
	s_wait_storecnt_dscnt 0x0
	s_barrier_signal -1
	s_barrier_wait -1
	s_wait_xcnt 0x0
	v_cmpx_gt_u32_e32 19, v0
	s_cbranch_execz .LBB124_778
; %bb.769:
	v_cmp_ne_u32_e32 vcc_lo, 1, v68
	s_cbranch_vccnz .LBB124_771
; %bb.770:
	scratch_load_b32 v69, v7, off
	ds_load_b32 v70, v1
	s_wait_loadcnt_dscnt 0x0
	v_mul_f32_e32 v69, v69, v70
	s_cbranch_execz .LBB124_772
	s_branch .LBB124_773
.LBB124_771:
                                        ; implicit-def: $vgpr69
.LBB124_772:
	ds_load_b32 v69, v1
.LBB124_773:
	s_mov_b32 s1, exec_lo
	v_cmpx_ne_u32_e32 18, v0
	s_cbranch_execz .LBB124_777
; %bb.774:
	v_add_nc_u32_e32 v70, 0x104, v6
	v_add3_u32 v71, 0, v6, 4
	v_mov_b32_e32 v72, v0
	s_mov_b32 s2, 0
.LBB124_775:                            ; =>This Inner Loop Header: Depth=1
	scratch_load_b32 v73, v71, off
	ds_load_b32 v74, v70
	v_dual_add_nc_u32 v72, 1, v72 :: v_dual_add_nc_u32 v70, 4, v70
	s_wait_xcnt 0x0
	v_add_nc_u32_e32 v71, 4, v71
	s_delay_alu instid0(VALU_DEP_2)
	v_cmp_lt_u32_e32 vcc_lo, 17, v72
	s_or_b32 s2, vcc_lo, s2
	s_wait_loadcnt_dscnt 0x0
	v_fmac_f32_e32 v69, v73, v74
	s_and_not1_b32 exec_lo, exec_lo, s2
	s_cbranch_execnz .LBB124_775
; %bb.776:
	s_or_b32 exec_lo, exec_lo, s2
.LBB124_777:
	s_delay_alu instid0(SALU_CYCLE_1)
	s_or_b32 exec_lo, exec_lo, s1
	v_mov_b32_e32 v70, 0
	ds_load_b32 v70, v70 offset:76
	s_wait_dscnt 0x0
	v_mul_f32_e32 v69, v69, v70
	scratch_store_b32 off, v69, off offset:76
.LBB124_778:
	s_wait_xcnt 0x0
	s_or_b32 exec_lo, exec_lo, s0
	scratch_load_b32 v69, off, off offset:80
	s_mov_b32 s0, exec_lo
	s_wait_loadcnt 0x0
	ds_store_b32 v1, v69
	s_wait_storecnt_dscnt 0x0
	s_barrier_signal -1
	s_barrier_wait -1
	s_wait_xcnt 0x0
	v_cmpx_gt_u32_e32 20, v0
	s_cbranch_execz .LBB124_788
; %bb.779:
	v_cmp_ne_u32_e32 vcc_lo, 1, v68
	s_cbranch_vccnz .LBB124_781
; %bb.780:
	scratch_load_b32 v69, v7, off
	ds_load_b32 v70, v1
	s_wait_loadcnt_dscnt 0x0
	v_mul_f32_e32 v69, v69, v70
	s_cbranch_execz .LBB124_782
	s_branch .LBB124_783
.LBB124_781:
                                        ; implicit-def: $vgpr69
.LBB124_782:
	ds_load_b32 v69, v1
.LBB124_783:
	s_mov_b32 s1, exec_lo
	v_cmpx_ne_u32_e32 19, v0
	s_cbranch_execz .LBB124_787
; %bb.784:
	v_add_nc_u32_e32 v70, 0x104, v6
	v_add3_u32 v71, 0, v6, 4
	v_mov_b32_e32 v72, v0
	s_mov_b32 s2, 0
.LBB124_785:                            ; =>This Inner Loop Header: Depth=1
	scratch_load_b32 v73, v71, off
	ds_load_b32 v74, v70
	v_dual_add_nc_u32 v72, 1, v72 :: v_dual_add_nc_u32 v70, 4, v70
	s_wait_xcnt 0x0
	v_add_nc_u32_e32 v71, 4, v71
	s_delay_alu instid0(VALU_DEP_2)
	v_cmp_lt_u32_e32 vcc_lo, 18, v72
	s_or_b32 s2, vcc_lo, s2
	s_wait_loadcnt_dscnt 0x0
	v_fmac_f32_e32 v69, v73, v74
	s_and_not1_b32 exec_lo, exec_lo, s2
	s_cbranch_execnz .LBB124_785
; %bb.786:
	s_or_b32 exec_lo, exec_lo, s2
.LBB124_787:
	s_delay_alu instid0(SALU_CYCLE_1)
	s_or_b32 exec_lo, exec_lo, s1
	v_mov_b32_e32 v70, 0
	ds_load_b32 v70, v70 offset:80
	s_wait_dscnt 0x0
	v_mul_f32_e32 v69, v69, v70
	scratch_store_b32 off, v69, off offset:80
.LBB124_788:
	s_wait_xcnt 0x0
	s_or_b32 exec_lo, exec_lo, s0
	scratch_load_b32 v69, off, off offset:84
	s_mov_b32 s0, exec_lo
	s_wait_loadcnt 0x0
	ds_store_b32 v1, v69
	s_wait_storecnt_dscnt 0x0
	s_barrier_signal -1
	s_barrier_wait -1
	s_wait_xcnt 0x0
	v_cmpx_gt_u32_e32 21, v0
	s_cbranch_execz .LBB124_798
; %bb.789:
	v_cmp_ne_u32_e32 vcc_lo, 1, v68
	s_cbranch_vccnz .LBB124_791
; %bb.790:
	scratch_load_b32 v69, v7, off
	ds_load_b32 v70, v1
	s_wait_loadcnt_dscnt 0x0
	v_mul_f32_e32 v69, v69, v70
	s_cbranch_execz .LBB124_792
	s_branch .LBB124_793
.LBB124_791:
                                        ; implicit-def: $vgpr69
.LBB124_792:
	ds_load_b32 v69, v1
.LBB124_793:
	s_mov_b32 s1, exec_lo
	v_cmpx_ne_u32_e32 20, v0
	s_cbranch_execz .LBB124_797
; %bb.794:
	v_add_nc_u32_e32 v70, 0x104, v6
	v_add3_u32 v71, 0, v6, 4
	v_mov_b32_e32 v72, v0
	s_mov_b32 s2, 0
.LBB124_795:                            ; =>This Inner Loop Header: Depth=1
	scratch_load_b32 v73, v71, off
	ds_load_b32 v74, v70
	v_dual_add_nc_u32 v72, 1, v72 :: v_dual_add_nc_u32 v70, 4, v70
	s_wait_xcnt 0x0
	v_add_nc_u32_e32 v71, 4, v71
	s_delay_alu instid0(VALU_DEP_2)
	v_cmp_lt_u32_e32 vcc_lo, 19, v72
	s_or_b32 s2, vcc_lo, s2
	s_wait_loadcnt_dscnt 0x0
	v_fmac_f32_e32 v69, v73, v74
	s_and_not1_b32 exec_lo, exec_lo, s2
	s_cbranch_execnz .LBB124_795
; %bb.796:
	s_or_b32 exec_lo, exec_lo, s2
.LBB124_797:
	s_delay_alu instid0(SALU_CYCLE_1)
	s_or_b32 exec_lo, exec_lo, s1
	v_mov_b32_e32 v70, 0
	ds_load_b32 v70, v70 offset:84
	s_wait_dscnt 0x0
	v_mul_f32_e32 v69, v69, v70
	scratch_store_b32 off, v69, off offset:84
.LBB124_798:
	s_wait_xcnt 0x0
	s_or_b32 exec_lo, exec_lo, s0
	scratch_load_b32 v69, off, off offset:88
	s_mov_b32 s0, exec_lo
	s_wait_loadcnt 0x0
	ds_store_b32 v1, v69
	s_wait_storecnt_dscnt 0x0
	s_barrier_signal -1
	s_barrier_wait -1
	s_wait_xcnt 0x0
	v_cmpx_gt_u32_e32 22, v0
	s_cbranch_execz .LBB124_808
; %bb.799:
	v_cmp_ne_u32_e32 vcc_lo, 1, v68
	s_cbranch_vccnz .LBB124_801
; %bb.800:
	scratch_load_b32 v69, v7, off
	ds_load_b32 v70, v1
	s_wait_loadcnt_dscnt 0x0
	v_mul_f32_e32 v69, v69, v70
	s_cbranch_execz .LBB124_802
	s_branch .LBB124_803
.LBB124_801:
                                        ; implicit-def: $vgpr69
.LBB124_802:
	ds_load_b32 v69, v1
.LBB124_803:
	s_mov_b32 s1, exec_lo
	v_cmpx_ne_u32_e32 21, v0
	s_cbranch_execz .LBB124_807
; %bb.804:
	v_add_nc_u32_e32 v70, 0x104, v6
	v_add3_u32 v71, 0, v6, 4
	v_mov_b32_e32 v72, v0
	s_mov_b32 s2, 0
.LBB124_805:                            ; =>This Inner Loop Header: Depth=1
	scratch_load_b32 v73, v71, off
	ds_load_b32 v74, v70
	v_dual_add_nc_u32 v72, 1, v72 :: v_dual_add_nc_u32 v70, 4, v70
	s_wait_xcnt 0x0
	v_add_nc_u32_e32 v71, 4, v71
	s_delay_alu instid0(VALU_DEP_2)
	v_cmp_lt_u32_e32 vcc_lo, 20, v72
	s_or_b32 s2, vcc_lo, s2
	s_wait_loadcnt_dscnt 0x0
	v_fmac_f32_e32 v69, v73, v74
	s_and_not1_b32 exec_lo, exec_lo, s2
	s_cbranch_execnz .LBB124_805
; %bb.806:
	s_or_b32 exec_lo, exec_lo, s2
.LBB124_807:
	s_delay_alu instid0(SALU_CYCLE_1)
	s_or_b32 exec_lo, exec_lo, s1
	v_mov_b32_e32 v70, 0
	ds_load_b32 v70, v70 offset:88
	s_wait_dscnt 0x0
	v_mul_f32_e32 v69, v69, v70
	scratch_store_b32 off, v69, off offset:88
.LBB124_808:
	s_wait_xcnt 0x0
	s_or_b32 exec_lo, exec_lo, s0
	scratch_load_b32 v69, off, off offset:92
	s_mov_b32 s0, exec_lo
	s_wait_loadcnt 0x0
	ds_store_b32 v1, v69
	s_wait_storecnt_dscnt 0x0
	s_barrier_signal -1
	s_barrier_wait -1
	s_wait_xcnt 0x0
	v_cmpx_gt_u32_e32 23, v0
	s_cbranch_execz .LBB124_818
; %bb.809:
	v_cmp_ne_u32_e32 vcc_lo, 1, v68
	s_cbranch_vccnz .LBB124_811
; %bb.810:
	scratch_load_b32 v69, v7, off
	ds_load_b32 v70, v1
	s_wait_loadcnt_dscnt 0x0
	v_mul_f32_e32 v69, v69, v70
	s_cbranch_execz .LBB124_812
	s_branch .LBB124_813
.LBB124_811:
                                        ; implicit-def: $vgpr69
.LBB124_812:
	ds_load_b32 v69, v1
.LBB124_813:
	s_mov_b32 s1, exec_lo
	v_cmpx_ne_u32_e32 22, v0
	s_cbranch_execz .LBB124_817
; %bb.814:
	v_add_nc_u32_e32 v70, 0x104, v6
	v_add3_u32 v71, 0, v6, 4
	v_mov_b32_e32 v72, v0
	s_mov_b32 s2, 0
.LBB124_815:                            ; =>This Inner Loop Header: Depth=1
	scratch_load_b32 v73, v71, off
	ds_load_b32 v74, v70
	v_dual_add_nc_u32 v72, 1, v72 :: v_dual_add_nc_u32 v70, 4, v70
	s_wait_xcnt 0x0
	v_add_nc_u32_e32 v71, 4, v71
	s_delay_alu instid0(VALU_DEP_2)
	v_cmp_lt_u32_e32 vcc_lo, 21, v72
	s_or_b32 s2, vcc_lo, s2
	s_wait_loadcnt_dscnt 0x0
	v_fmac_f32_e32 v69, v73, v74
	s_and_not1_b32 exec_lo, exec_lo, s2
	s_cbranch_execnz .LBB124_815
; %bb.816:
	s_or_b32 exec_lo, exec_lo, s2
.LBB124_817:
	s_delay_alu instid0(SALU_CYCLE_1)
	s_or_b32 exec_lo, exec_lo, s1
	v_mov_b32_e32 v70, 0
	ds_load_b32 v70, v70 offset:92
	s_wait_dscnt 0x0
	v_mul_f32_e32 v69, v69, v70
	scratch_store_b32 off, v69, off offset:92
.LBB124_818:
	s_wait_xcnt 0x0
	s_or_b32 exec_lo, exec_lo, s0
	scratch_load_b32 v69, off, off offset:96
	s_mov_b32 s0, exec_lo
	s_wait_loadcnt 0x0
	ds_store_b32 v1, v69
	s_wait_storecnt_dscnt 0x0
	s_barrier_signal -1
	s_barrier_wait -1
	s_wait_xcnt 0x0
	v_cmpx_gt_u32_e32 24, v0
	s_cbranch_execz .LBB124_828
; %bb.819:
	v_cmp_ne_u32_e32 vcc_lo, 1, v68
	s_cbranch_vccnz .LBB124_821
; %bb.820:
	scratch_load_b32 v69, v7, off
	ds_load_b32 v70, v1
	s_wait_loadcnt_dscnt 0x0
	v_mul_f32_e32 v69, v69, v70
	s_cbranch_execz .LBB124_822
	s_branch .LBB124_823
.LBB124_821:
                                        ; implicit-def: $vgpr69
.LBB124_822:
	ds_load_b32 v69, v1
.LBB124_823:
	s_mov_b32 s1, exec_lo
	v_cmpx_ne_u32_e32 23, v0
	s_cbranch_execz .LBB124_827
; %bb.824:
	v_add_nc_u32_e32 v70, 0x104, v6
	v_add3_u32 v71, 0, v6, 4
	v_mov_b32_e32 v72, v0
	s_mov_b32 s2, 0
.LBB124_825:                            ; =>This Inner Loop Header: Depth=1
	scratch_load_b32 v73, v71, off
	ds_load_b32 v74, v70
	v_dual_add_nc_u32 v72, 1, v72 :: v_dual_add_nc_u32 v70, 4, v70
	s_wait_xcnt 0x0
	v_add_nc_u32_e32 v71, 4, v71
	s_delay_alu instid0(VALU_DEP_2)
	v_cmp_lt_u32_e32 vcc_lo, 22, v72
	s_or_b32 s2, vcc_lo, s2
	s_wait_loadcnt_dscnt 0x0
	v_fmac_f32_e32 v69, v73, v74
	s_and_not1_b32 exec_lo, exec_lo, s2
	s_cbranch_execnz .LBB124_825
; %bb.826:
	s_or_b32 exec_lo, exec_lo, s2
.LBB124_827:
	s_delay_alu instid0(SALU_CYCLE_1)
	s_or_b32 exec_lo, exec_lo, s1
	v_mov_b32_e32 v70, 0
	ds_load_b32 v70, v70 offset:96
	s_wait_dscnt 0x0
	v_mul_f32_e32 v69, v69, v70
	scratch_store_b32 off, v69, off offset:96
.LBB124_828:
	s_wait_xcnt 0x0
	s_or_b32 exec_lo, exec_lo, s0
	scratch_load_b32 v69, off, off offset:100
	s_mov_b32 s0, exec_lo
	s_wait_loadcnt 0x0
	ds_store_b32 v1, v69
	s_wait_storecnt_dscnt 0x0
	s_barrier_signal -1
	s_barrier_wait -1
	s_wait_xcnt 0x0
	v_cmpx_gt_u32_e32 25, v0
	s_cbranch_execz .LBB124_838
; %bb.829:
	v_cmp_ne_u32_e32 vcc_lo, 1, v68
	s_cbranch_vccnz .LBB124_831
; %bb.830:
	scratch_load_b32 v69, v7, off
	ds_load_b32 v70, v1
	s_wait_loadcnt_dscnt 0x0
	v_mul_f32_e32 v69, v69, v70
	s_cbranch_execz .LBB124_832
	s_branch .LBB124_833
.LBB124_831:
                                        ; implicit-def: $vgpr69
.LBB124_832:
	ds_load_b32 v69, v1
.LBB124_833:
	s_mov_b32 s1, exec_lo
	v_cmpx_ne_u32_e32 24, v0
	s_cbranch_execz .LBB124_837
; %bb.834:
	v_add_nc_u32_e32 v70, 0x104, v6
	v_add3_u32 v71, 0, v6, 4
	v_mov_b32_e32 v72, v0
	s_mov_b32 s2, 0
.LBB124_835:                            ; =>This Inner Loop Header: Depth=1
	scratch_load_b32 v73, v71, off
	ds_load_b32 v74, v70
	v_dual_add_nc_u32 v72, 1, v72 :: v_dual_add_nc_u32 v70, 4, v70
	s_wait_xcnt 0x0
	v_add_nc_u32_e32 v71, 4, v71
	s_delay_alu instid0(VALU_DEP_2)
	v_cmp_lt_u32_e32 vcc_lo, 23, v72
	s_or_b32 s2, vcc_lo, s2
	s_wait_loadcnt_dscnt 0x0
	v_fmac_f32_e32 v69, v73, v74
	s_and_not1_b32 exec_lo, exec_lo, s2
	s_cbranch_execnz .LBB124_835
; %bb.836:
	s_or_b32 exec_lo, exec_lo, s2
.LBB124_837:
	s_delay_alu instid0(SALU_CYCLE_1)
	s_or_b32 exec_lo, exec_lo, s1
	v_mov_b32_e32 v70, 0
	ds_load_b32 v70, v70 offset:100
	s_wait_dscnt 0x0
	v_mul_f32_e32 v69, v69, v70
	scratch_store_b32 off, v69, off offset:100
.LBB124_838:
	s_wait_xcnt 0x0
	s_or_b32 exec_lo, exec_lo, s0
	scratch_load_b32 v69, off, off offset:104
	s_mov_b32 s0, exec_lo
	s_wait_loadcnt 0x0
	ds_store_b32 v1, v69
	s_wait_storecnt_dscnt 0x0
	s_barrier_signal -1
	s_barrier_wait -1
	s_wait_xcnt 0x0
	v_cmpx_gt_u32_e32 26, v0
	s_cbranch_execz .LBB124_848
; %bb.839:
	v_cmp_ne_u32_e32 vcc_lo, 1, v68
	s_cbranch_vccnz .LBB124_841
; %bb.840:
	scratch_load_b32 v69, v7, off
	ds_load_b32 v70, v1
	s_wait_loadcnt_dscnt 0x0
	v_mul_f32_e32 v69, v69, v70
	s_cbranch_execz .LBB124_842
	s_branch .LBB124_843
.LBB124_841:
                                        ; implicit-def: $vgpr69
.LBB124_842:
	ds_load_b32 v69, v1
.LBB124_843:
	s_mov_b32 s1, exec_lo
	v_cmpx_ne_u32_e32 25, v0
	s_cbranch_execz .LBB124_847
; %bb.844:
	v_add_nc_u32_e32 v70, 0x104, v6
	v_add3_u32 v71, 0, v6, 4
	v_mov_b32_e32 v72, v0
	s_mov_b32 s2, 0
.LBB124_845:                            ; =>This Inner Loop Header: Depth=1
	scratch_load_b32 v73, v71, off
	ds_load_b32 v74, v70
	v_dual_add_nc_u32 v72, 1, v72 :: v_dual_add_nc_u32 v70, 4, v70
	s_wait_xcnt 0x0
	v_add_nc_u32_e32 v71, 4, v71
	s_delay_alu instid0(VALU_DEP_2)
	v_cmp_lt_u32_e32 vcc_lo, 24, v72
	s_or_b32 s2, vcc_lo, s2
	s_wait_loadcnt_dscnt 0x0
	v_fmac_f32_e32 v69, v73, v74
	s_and_not1_b32 exec_lo, exec_lo, s2
	s_cbranch_execnz .LBB124_845
; %bb.846:
	s_or_b32 exec_lo, exec_lo, s2
.LBB124_847:
	s_delay_alu instid0(SALU_CYCLE_1)
	s_or_b32 exec_lo, exec_lo, s1
	v_mov_b32_e32 v70, 0
	ds_load_b32 v70, v70 offset:104
	s_wait_dscnt 0x0
	v_mul_f32_e32 v69, v69, v70
	scratch_store_b32 off, v69, off offset:104
.LBB124_848:
	s_wait_xcnt 0x0
	s_or_b32 exec_lo, exec_lo, s0
	scratch_load_b32 v69, off, off offset:108
	s_mov_b32 s0, exec_lo
	s_wait_loadcnt 0x0
	ds_store_b32 v1, v69
	s_wait_storecnt_dscnt 0x0
	s_barrier_signal -1
	s_barrier_wait -1
	s_wait_xcnt 0x0
	v_cmpx_gt_u32_e32 27, v0
	s_cbranch_execz .LBB124_858
; %bb.849:
	v_cmp_ne_u32_e32 vcc_lo, 1, v68
	s_cbranch_vccnz .LBB124_851
; %bb.850:
	scratch_load_b32 v69, v7, off
	ds_load_b32 v70, v1
	s_wait_loadcnt_dscnt 0x0
	v_mul_f32_e32 v69, v69, v70
	s_cbranch_execz .LBB124_852
	s_branch .LBB124_853
.LBB124_851:
                                        ; implicit-def: $vgpr69
.LBB124_852:
	ds_load_b32 v69, v1
.LBB124_853:
	s_mov_b32 s1, exec_lo
	v_cmpx_ne_u32_e32 26, v0
	s_cbranch_execz .LBB124_857
; %bb.854:
	v_add_nc_u32_e32 v70, 0x104, v6
	v_add3_u32 v71, 0, v6, 4
	v_mov_b32_e32 v72, v0
	s_mov_b32 s2, 0
.LBB124_855:                            ; =>This Inner Loop Header: Depth=1
	scratch_load_b32 v73, v71, off
	ds_load_b32 v74, v70
	v_dual_add_nc_u32 v72, 1, v72 :: v_dual_add_nc_u32 v70, 4, v70
	s_wait_xcnt 0x0
	v_add_nc_u32_e32 v71, 4, v71
	s_delay_alu instid0(VALU_DEP_2)
	v_cmp_lt_u32_e32 vcc_lo, 25, v72
	s_or_b32 s2, vcc_lo, s2
	s_wait_loadcnt_dscnt 0x0
	v_fmac_f32_e32 v69, v73, v74
	s_and_not1_b32 exec_lo, exec_lo, s2
	s_cbranch_execnz .LBB124_855
; %bb.856:
	s_or_b32 exec_lo, exec_lo, s2
.LBB124_857:
	s_delay_alu instid0(SALU_CYCLE_1)
	s_or_b32 exec_lo, exec_lo, s1
	v_mov_b32_e32 v70, 0
	ds_load_b32 v70, v70 offset:108
	s_wait_dscnt 0x0
	v_mul_f32_e32 v69, v69, v70
	scratch_store_b32 off, v69, off offset:108
.LBB124_858:
	s_wait_xcnt 0x0
	s_or_b32 exec_lo, exec_lo, s0
	scratch_load_b32 v69, off, off offset:112
	s_mov_b32 s0, exec_lo
	s_wait_loadcnt 0x0
	ds_store_b32 v1, v69
	s_wait_storecnt_dscnt 0x0
	s_barrier_signal -1
	s_barrier_wait -1
	s_wait_xcnt 0x0
	v_cmpx_gt_u32_e32 28, v0
	s_cbranch_execz .LBB124_868
; %bb.859:
	v_cmp_ne_u32_e32 vcc_lo, 1, v68
	s_cbranch_vccnz .LBB124_861
; %bb.860:
	scratch_load_b32 v69, v7, off
	ds_load_b32 v70, v1
	s_wait_loadcnt_dscnt 0x0
	v_mul_f32_e32 v69, v69, v70
	s_cbranch_execz .LBB124_862
	s_branch .LBB124_863
.LBB124_861:
                                        ; implicit-def: $vgpr69
.LBB124_862:
	ds_load_b32 v69, v1
.LBB124_863:
	s_mov_b32 s1, exec_lo
	v_cmpx_ne_u32_e32 27, v0
	s_cbranch_execz .LBB124_867
; %bb.864:
	v_add_nc_u32_e32 v70, 0x104, v6
	v_add3_u32 v71, 0, v6, 4
	v_mov_b32_e32 v72, v0
	s_mov_b32 s2, 0
.LBB124_865:                            ; =>This Inner Loop Header: Depth=1
	scratch_load_b32 v73, v71, off
	ds_load_b32 v74, v70
	v_dual_add_nc_u32 v72, 1, v72 :: v_dual_add_nc_u32 v70, 4, v70
	s_wait_xcnt 0x0
	v_add_nc_u32_e32 v71, 4, v71
	s_delay_alu instid0(VALU_DEP_2)
	v_cmp_lt_u32_e32 vcc_lo, 26, v72
	s_or_b32 s2, vcc_lo, s2
	s_wait_loadcnt_dscnt 0x0
	v_fmac_f32_e32 v69, v73, v74
	s_and_not1_b32 exec_lo, exec_lo, s2
	s_cbranch_execnz .LBB124_865
; %bb.866:
	s_or_b32 exec_lo, exec_lo, s2
.LBB124_867:
	s_delay_alu instid0(SALU_CYCLE_1)
	s_or_b32 exec_lo, exec_lo, s1
	v_mov_b32_e32 v70, 0
	ds_load_b32 v70, v70 offset:112
	s_wait_dscnt 0x0
	v_mul_f32_e32 v69, v69, v70
	scratch_store_b32 off, v69, off offset:112
.LBB124_868:
	s_wait_xcnt 0x0
	s_or_b32 exec_lo, exec_lo, s0
	scratch_load_b32 v69, off, off offset:116
	s_mov_b32 s0, exec_lo
	s_wait_loadcnt 0x0
	ds_store_b32 v1, v69
	s_wait_storecnt_dscnt 0x0
	s_barrier_signal -1
	s_barrier_wait -1
	s_wait_xcnt 0x0
	v_cmpx_gt_u32_e32 29, v0
	s_cbranch_execz .LBB124_878
; %bb.869:
	v_cmp_ne_u32_e32 vcc_lo, 1, v68
	s_cbranch_vccnz .LBB124_871
; %bb.870:
	scratch_load_b32 v69, v7, off
	ds_load_b32 v70, v1
	s_wait_loadcnt_dscnt 0x0
	v_mul_f32_e32 v69, v69, v70
	s_cbranch_execz .LBB124_872
	s_branch .LBB124_873
.LBB124_871:
                                        ; implicit-def: $vgpr69
.LBB124_872:
	ds_load_b32 v69, v1
.LBB124_873:
	s_mov_b32 s1, exec_lo
	v_cmpx_ne_u32_e32 28, v0
	s_cbranch_execz .LBB124_877
; %bb.874:
	v_add_nc_u32_e32 v70, 0x104, v6
	v_add3_u32 v71, 0, v6, 4
	v_mov_b32_e32 v72, v0
	s_mov_b32 s2, 0
.LBB124_875:                            ; =>This Inner Loop Header: Depth=1
	scratch_load_b32 v73, v71, off
	ds_load_b32 v74, v70
	v_dual_add_nc_u32 v72, 1, v72 :: v_dual_add_nc_u32 v70, 4, v70
	s_wait_xcnt 0x0
	v_add_nc_u32_e32 v71, 4, v71
	s_delay_alu instid0(VALU_DEP_2)
	v_cmp_lt_u32_e32 vcc_lo, 27, v72
	s_or_b32 s2, vcc_lo, s2
	s_wait_loadcnt_dscnt 0x0
	v_fmac_f32_e32 v69, v73, v74
	s_and_not1_b32 exec_lo, exec_lo, s2
	s_cbranch_execnz .LBB124_875
; %bb.876:
	s_or_b32 exec_lo, exec_lo, s2
.LBB124_877:
	s_delay_alu instid0(SALU_CYCLE_1)
	s_or_b32 exec_lo, exec_lo, s1
	v_mov_b32_e32 v70, 0
	ds_load_b32 v70, v70 offset:116
	s_wait_dscnt 0x0
	v_mul_f32_e32 v69, v69, v70
	scratch_store_b32 off, v69, off offset:116
.LBB124_878:
	s_wait_xcnt 0x0
	s_or_b32 exec_lo, exec_lo, s0
	scratch_load_b32 v69, off, off offset:120
	s_mov_b32 s0, exec_lo
	s_wait_loadcnt 0x0
	ds_store_b32 v1, v69
	s_wait_storecnt_dscnt 0x0
	s_barrier_signal -1
	s_barrier_wait -1
	s_wait_xcnt 0x0
	v_cmpx_gt_u32_e32 30, v0
	s_cbranch_execz .LBB124_888
; %bb.879:
	v_cmp_ne_u32_e32 vcc_lo, 1, v68
	s_cbranch_vccnz .LBB124_881
; %bb.880:
	scratch_load_b32 v69, v7, off
	ds_load_b32 v70, v1
	s_wait_loadcnt_dscnt 0x0
	v_mul_f32_e32 v69, v69, v70
	s_cbranch_execz .LBB124_882
	s_branch .LBB124_883
.LBB124_881:
                                        ; implicit-def: $vgpr69
.LBB124_882:
	ds_load_b32 v69, v1
.LBB124_883:
	s_mov_b32 s1, exec_lo
	v_cmpx_ne_u32_e32 29, v0
	s_cbranch_execz .LBB124_887
; %bb.884:
	v_add_nc_u32_e32 v70, 0x104, v6
	v_add3_u32 v71, 0, v6, 4
	v_mov_b32_e32 v72, v0
	s_mov_b32 s2, 0
.LBB124_885:                            ; =>This Inner Loop Header: Depth=1
	scratch_load_b32 v73, v71, off
	ds_load_b32 v74, v70
	v_dual_add_nc_u32 v72, 1, v72 :: v_dual_add_nc_u32 v70, 4, v70
	s_wait_xcnt 0x0
	v_add_nc_u32_e32 v71, 4, v71
	s_delay_alu instid0(VALU_DEP_2)
	v_cmp_lt_u32_e32 vcc_lo, 28, v72
	s_or_b32 s2, vcc_lo, s2
	s_wait_loadcnt_dscnt 0x0
	v_fmac_f32_e32 v69, v73, v74
	s_and_not1_b32 exec_lo, exec_lo, s2
	s_cbranch_execnz .LBB124_885
; %bb.886:
	s_or_b32 exec_lo, exec_lo, s2
.LBB124_887:
	s_delay_alu instid0(SALU_CYCLE_1)
	s_or_b32 exec_lo, exec_lo, s1
	v_mov_b32_e32 v70, 0
	ds_load_b32 v70, v70 offset:120
	s_wait_dscnt 0x0
	v_mul_f32_e32 v69, v69, v70
	scratch_store_b32 off, v69, off offset:120
.LBB124_888:
	s_wait_xcnt 0x0
	s_or_b32 exec_lo, exec_lo, s0
	scratch_load_b32 v69, off, off offset:124
	s_mov_b32 s0, exec_lo
	s_wait_loadcnt 0x0
	ds_store_b32 v1, v69
	s_wait_storecnt_dscnt 0x0
	s_barrier_signal -1
	s_barrier_wait -1
	s_wait_xcnt 0x0
	v_cmpx_gt_u32_e32 31, v0
	s_cbranch_execz .LBB124_898
; %bb.889:
	v_cmp_ne_u32_e32 vcc_lo, 1, v68
	s_cbranch_vccnz .LBB124_891
; %bb.890:
	scratch_load_b32 v69, v7, off
	ds_load_b32 v70, v1
	s_wait_loadcnt_dscnt 0x0
	v_mul_f32_e32 v69, v69, v70
	s_cbranch_execz .LBB124_892
	s_branch .LBB124_893
.LBB124_891:
                                        ; implicit-def: $vgpr69
.LBB124_892:
	ds_load_b32 v69, v1
.LBB124_893:
	s_mov_b32 s1, exec_lo
	v_cmpx_ne_u32_e32 30, v0
	s_cbranch_execz .LBB124_897
; %bb.894:
	v_add_nc_u32_e32 v70, 0x104, v6
	v_add3_u32 v71, 0, v6, 4
	v_mov_b32_e32 v72, v0
	s_mov_b32 s2, 0
.LBB124_895:                            ; =>This Inner Loop Header: Depth=1
	scratch_load_b32 v73, v71, off
	ds_load_b32 v74, v70
	v_dual_add_nc_u32 v72, 1, v72 :: v_dual_add_nc_u32 v70, 4, v70
	s_wait_xcnt 0x0
	v_add_nc_u32_e32 v71, 4, v71
	s_delay_alu instid0(VALU_DEP_2)
	v_cmp_lt_u32_e32 vcc_lo, 29, v72
	s_or_b32 s2, vcc_lo, s2
	s_wait_loadcnt_dscnt 0x0
	v_fmac_f32_e32 v69, v73, v74
	s_and_not1_b32 exec_lo, exec_lo, s2
	s_cbranch_execnz .LBB124_895
; %bb.896:
	s_or_b32 exec_lo, exec_lo, s2
.LBB124_897:
	s_delay_alu instid0(SALU_CYCLE_1)
	s_or_b32 exec_lo, exec_lo, s1
	v_mov_b32_e32 v70, 0
	ds_load_b32 v70, v70 offset:124
	s_wait_dscnt 0x0
	v_mul_f32_e32 v69, v69, v70
	scratch_store_b32 off, v69, off offset:124
.LBB124_898:
	s_wait_xcnt 0x0
	s_or_b32 exec_lo, exec_lo, s0
	scratch_load_b32 v69, off, off offset:128
	s_mov_b32 s0, exec_lo
	s_wait_loadcnt 0x0
	ds_store_b32 v1, v69
	s_wait_storecnt_dscnt 0x0
	s_barrier_signal -1
	s_barrier_wait -1
	s_wait_xcnt 0x0
	v_cmpx_gt_u32_e32 32, v0
	s_cbranch_execz .LBB124_908
; %bb.899:
	v_cmp_ne_u32_e32 vcc_lo, 1, v68
	s_cbranch_vccnz .LBB124_901
; %bb.900:
	scratch_load_b32 v69, v7, off
	ds_load_b32 v70, v1
	s_wait_loadcnt_dscnt 0x0
	v_mul_f32_e32 v69, v69, v70
	s_cbranch_execz .LBB124_902
	s_branch .LBB124_903
.LBB124_901:
                                        ; implicit-def: $vgpr69
.LBB124_902:
	ds_load_b32 v69, v1
.LBB124_903:
	s_mov_b32 s1, exec_lo
	v_cmpx_ne_u32_e32 31, v0
	s_cbranch_execz .LBB124_907
; %bb.904:
	v_add_nc_u32_e32 v70, 0x104, v6
	v_add3_u32 v71, 0, v6, 4
	v_mov_b32_e32 v72, v0
	s_mov_b32 s2, 0
.LBB124_905:                            ; =>This Inner Loop Header: Depth=1
	scratch_load_b32 v73, v71, off
	ds_load_b32 v74, v70
	v_dual_add_nc_u32 v72, 1, v72 :: v_dual_add_nc_u32 v70, 4, v70
	s_wait_xcnt 0x0
	v_add_nc_u32_e32 v71, 4, v71
	s_delay_alu instid0(VALU_DEP_2)
	v_cmp_lt_u32_e32 vcc_lo, 30, v72
	s_or_b32 s2, vcc_lo, s2
	s_wait_loadcnt_dscnt 0x0
	v_fmac_f32_e32 v69, v73, v74
	s_and_not1_b32 exec_lo, exec_lo, s2
	s_cbranch_execnz .LBB124_905
; %bb.906:
	s_or_b32 exec_lo, exec_lo, s2
.LBB124_907:
	s_delay_alu instid0(SALU_CYCLE_1)
	s_or_b32 exec_lo, exec_lo, s1
	v_mov_b32_e32 v70, 0
	ds_load_b32 v70, v70 offset:128
	s_wait_dscnt 0x0
	v_mul_f32_e32 v69, v69, v70
	scratch_store_b32 off, v69, off offset:128
.LBB124_908:
	s_wait_xcnt 0x0
	s_or_b32 exec_lo, exec_lo, s0
	scratch_load_b32 v69, off, off offset:132
	s_mov_b32 s0, exec_lo
	s_wait_loadcnt 0x0
	ds_store_b32 v1, v69
	s_wait_storecnt_dscnt 0x0
	s_barrier_signal -1
	s_barrier_wait -1
	s_wait_xcnt 0x0
	v_cmpx_gt_u32_e32 33, v0
	s_cbranch_execz .LBB124_918
; %bb.909:
	v_cmp_ne_u32_e32 vcc_lo, 1, v68
	s_cbranch_vccnz .LBB124_911
; %bb.910:
	scratch_load_b32 v69, v7, off
	ds_load_b32 v70, v1
	s_wait_loadcnt_dscnt 0x0
	v_mul_f32_e32 v69, v69, v70
	s_cbranch_execz .LBB124_912
	s_branch .LBB124_913
.LBB124_911:
                                        ; implicit-def: $vgpr69
.LBB124_912:
	ds_load_b32 v69, v1
.LBB124_913:
	s_mov_b32 s1, exec_lo
	v_cmpx_ne_u32_e32 32, v0
	s_cbranch_execz .LBB124_917
; %bb.914:
	v_add_nc_u32_e32 v70, 0x104, v6
	v_add3_u32 v71, 0, v6, 4
	v_mov_b32_e32 v72, v0
	s_mov_b32 s2, 0
.LBB124_915:                            ; =>This Inner Loop Header: Depth=1
	scratch_load_b32 v73, v71, off
	ds_load_b32 v74, v70
	v_dual_add_nc_u32 v72, 1, v72 :: v_dual_add_nc_u32 v70, 4, v70
	s_wait_xcnt 0x0
	v_add_nc_u32_e32 v71, 4, v71
	s_delay_alu instid0(VALU_DEP_2)
	v_cmp_lt_u32_e32 vcc_lo, 31, v72
	s_or_b32 s2, vcc_lo, s2
	s_wait_loadcnt_dscnt 0x0
	v_fmac_f32_e32 v69, v73, v74
	s_and_not1_b32 exec_lo, exec_lo, s2
	s_cbranch_execnz .LBB124_915
; %bb.916:
	s_or_b32 exec_lo, exec_lo, s2
.LBB124_917:
	s_delay_alu instid0(SALU_CYCLE_1)
	s_or_b32 exec_lo, exec_lo, s1
	v_mov_b32_e32 v70, 0
	ds_load_b32 v70, v70 offset:132
	s_wait_dscnt 0x0
	v_mul_f32_e32 v69, v69, v70
	scratch_store_b32 off, v69, off offset:132
.LBB124_918:
	s_wait_xcnt 0x0
	s_or_b32 exec_lo, exec_lo, s0
	scratch_load_b32 v69, off, off offset:136
	s_mov_b32 s0, exec_lo
	s_wait_loadcnt 0x0
	ds_store_b32 v1, v69
	s_wait_storecnt_dscnt 0x0
	s_barrier_signal -1
	s_barrier_wait -1
	s_wait_xcnt 0x0
	v_cmpx_gt_u32_e32 34, v0
	s_cbranch_execz .LBB124_928
; %bb.919:
	v_cmp_ne_u32_e32 vcc_lo, 1, v68
	s_cbranch_vccnz .LBB124_921
; %bb.920:
	scratch_load_b32 v69, v7, off
	ds_load_b32 v70, v1
	s_wait_loadcnt_dscnt 0x0
	v_mul_f32_e32 v69, v69, v70
	s_cbranch_execz .LBB124_922
	s_branch .LBB124_923
.LBB124_921:
                                        ; implicit-def: $vgpr69
.LBB124_922:
	ds_load_b32 v69, v1
.LBB124_923:
	s_mov_b32 s1, exec_lo
	v_cmpx_ne_u32_e32 33, v0
	s_cbranch_execz .LBB124_927
; %bb.924:
	v_add_nc_u32_e32 v70, 0x104, v6
	v_add3_u32 v71, 0, v6, 4
	v_mov_b32_e32 v72, v0
	s_mov_b32 s2, 0
.LBB124_925:                            ; =>This Inner Loop Header: Depth=1
	scratch_load_b32 v73, v71, off
	ds_load_b32 v74, v70
	v_dual_add_nc_u32 v72, 1, v72 :: v_dual_add_nc_u32 v70, 4, v70
	s_wait_xcnt 0x0
	v_add_nc_u32_e32 v71, 4, v71
	s_delay_alu instid0(VALU_DEP_2)
	v_cmp_lt_u32_e32 vcc_lo, 32, v72
	s_or_b32 s2, vcc_lo, s2
	s_wait_loadcnt_dscnt 0x0
	v_fmac_f32_e32 v69, v73, v74
	s_and_not1_b32 exec_lo, exec_lo, s2
	s_cbranch_execnz .LBB124_925
; %bb.926:
	s_or_b32 exec_lo, exec_lo, s2
.LBB124_927:
	s_delay_alu instid0(SALU_CYCLE_1)
	s_or_b32 exec_lo, exec_lo, s1
	v_mov_b32_e32 v70, 0
	ds_load_b32 v70, v70 offset:136
	s_wait_dscnt 0x0
	v_mul_f32_e32 v69, v69, v70
	scratch_store_b32 off, v69, off offset:136
.LBB124_928:
	s_wait_xcnt 0x0
	s_or_b32 exec_lo, exec_lo, s0
	scratch_load_b32 v69, off, off offset:140
	s_mov_b32 s0, exec_lo
	s_wait_loadcnt 0x0
	ds_store_b32 v1, v69
	s_wait_storecnt_dscnt 0x0
	s_barrier_signal -1
	s_barrier_wait -1
	s_wait_xcnt 0x0
	v_cmpx_gt_u32_e32 35, v0
	s_cbranch_execz .LBB124_938
; %bb.929:
	v_cmp_ne_u32_e32 vcc_lo, 1, v68
	s_cbranch_vccnz .LBB124_931
; %bb.930:
	scratch_load_b32 v69, v7, off
	ds_load_b32 v70, v1
	s_wait_loadcnt_dscnt 0x0
	v_mul_f32_e32 v69, v69, v70
	s_cbranch_execz .LBB124_932
	s_branch .LBB124_933
.LBB124_931:
                                        ; implicit-def: $vgpr69
.LBB124_932:
	ds_load_b32 v69, v1
.LBB124_933:
	s_mov_b32 s1, exec_lo
	v_cmpx_ne_u32_e32 34, v0
	s_cbranch_execz .LBB124_937
; %bb.934:
	v_add_nc_u32_e32 v70, 0x104, v6
	v_add3_u32 v71, 0, v6, 4
	v_mov_b32_e32 v72, v0
	s_mov_b32 s2, 0
.LBB124_935:                            ; =>This Inner Loop Header: Depth=1
	scratch_load_b32 v73, v71, off
	ds_load_b32 v74, v70
	v_dual_add_nc_u32 v72, 1, v72 :: v_dual_add_nc_u32 v70, 4, v70
	s_wait_xcnt 0x0
	v_add_nc_u32_e32 v71, 4, v71
	s_delay_alu instid0(VALU_DEP_2)
	v_cmp_lt_u32_e32 vcc_lo, 33, v72
	s_or_b32 s2, vcc_lo, s2
	s_wait_loadcnt_dscnt 0x0
	v_fmac_f32_e32 v69, v73, v74
	s_and_not1_b32 exec_lo, exec_lo, s2
	s_cbranch_execnz .LBB124_935
; %bb.936:
	s_or_b32 exec_lo, exec_lo, s2
.LBB124_937:
	s_delay_alu instid0(SALU_CYCLE_1)
	s_or_b32 exec_lo, exec_lo, s1
	v_mov_b32_e32 v70, 0
	ds_load_b32 v70, v70 offset:140
	s_wait_dscnt 0x0
	v_mul_f32_e32 v69, v69, v70
	scratch_store_b32 off, v69, off offset:140
.LBB124_938:
	s_wait_xcnt 0x0
	s_or_b32 exec_lo, exec_lo, s0
	scratch_load_b32 v69, off, off offset:144
	s_mov_b32 s0, exec_lo
	s_wait_loadcnt 0x0
	ds_store_b32 v1, v69
	s_wait_storecnt_dscnt 0x0
	s_barrier_signal -1
	s_barrier_wait -1
	s_wait_xcnt 0x0
	v_cmpx_gt_u32_e32 36, v0
	s_cbranch_execz .LBB124_948
; %bb.939:
	v_cmp_ne_u32_e32 vcc_lo, 1, v68
	s_cbranch_vccnz .LBB124_941
; %bb.940:
	scratch_load_b32 v69, v7, off
	ds_load_b32 v70, v1
	s_wait_loadcnt_dscnt 0x0
	v_mul_f32_e32 v69, v69, v70
	s_cbranch_execz .LBB124_942
	s_branch .LBB124_943
.LBB124_941:
                                        ; implicit-def: $vgpr69
.LBB124_942:
	ds_load_b32 v69, v1
.LBB124_943:
	s_mov_b32 s1, exec_lo
	v_cmpx_ne_u32_e32 35, v0
	s_cbranch_execz .LBB124_947
; %bb.944:
	v_add_nc_u32_e32 v70, 0x104, v6
	v_add3_u32 v71, 0, v6, 4
	v_mov_b32_e32 v72, v0
	s_mov_b32 s2, 0
.LBB124_945:                            ; =>This Inner Loop Header: Depth=1
	scratch_load_b32 v73, v71, off
	ds_load_b32 v74, v70
	v_dual_add_nc_u32 v72, 1, v72 :: v_dual_add_nc_u32 v70, 4, v70
	s_wait_xcnt 0x0
	v_add_nc_u32_e32 v71, 4, v71
	s_delay_alu instid0(VALU_DEP_2)
	v_cmp_lt_u32_e32 vcc_lo, 34, v72
	s_or_b32 s2, vcc_lo, s2
	s_wait_loadcnt_dscnt 0x0
	v_fmac_f32_e32 v69, v73, v74
	s_and_not1_b32 exec_lo, exec_lo, s2
	s_cbranch_execnz .LBB124_945
; %bb.946:
	s_or_b32 exec_lo, exec_lo, s2
.LBB124_947:
	s_delay_alu instid0(SALU_CYCLE_1)
	s_or_b32 exec_lo, exec_lo, s1
	v_mov_b32_e32 v70, 0
	ds_load_b32 v70, v70 offset:144
	s_wait_dscnt 0x0
	v_mul_f32_e32 v69, v69, v70
	scratch_store_b32 off, v69, off offset:144
.LBB124_948:
	s_wait_xcnt 0x0
	s_or_b32 exec_lo, exec_lo, s0
	scratch_load_b32 v69, off, off offset:148
	s_mov_b32 s0, exec_lo
	s_wait_loadcnt 0x0
	ds_store_b32 v1, v69
	s_wait_storecnt_dscnt 0x0
	s_barrier_signal -1
	s_barrier_wait -1
	s_wait_xcnt 0x0
	v_cmpx_gt_u32_e32 37, v0
	s_cbranch_execz .LBB124_958
; %bb.949:
	v_cmp_ne_u32_e32 vcc_lo, 1, v68
	s_cbranch_vccnz .LBB124_951
; %bb.950:
	scratch_load_b32 v69, v7, off
	ds_load_b32 v70, v1
	s_wait_loadcnt_dscnt 0x0
	v_mul_f32_e32 v69, v69, v70
	s_cbranch_execz .LBB124_952
	s_branch .LBB124_953
.LBB124_951:
                                        ; implicit-def: $vgpr69
.LBB124_952:
	ds_load_b32 v69, v1
.LBB124_953:
	s_mov_b32 s1, exec_lo
	v_cmpx_ne_u32_e32 36, v0
	s_cbranch_execz .LBB124_957
; %bb.954:
	v_add_nc_u32_e32 v70, 0x104, v6
	v_add3_u32 v71, 0, v6, 4
	v_mov_b32_e32 v72, v0
	s_mov_b32 s2, 0
.LBB124_955:                            ; =>This Inner Loop Header: Depth=1
	scratch_load_b32 v73, v71, off
	ds_load_b32 v74, v70
	v_dual_add_nc_u32 v72, 1, v72 :: v_dual_add_nc_u32 v70, 4, v70
	s_wait_xcnt 0x0
	v_add_nc_u32_e32 v71, 4, v71
	s_delay_alu instid0(VALU_DEP_2)
	v_cmp_lt_u32_e32 vcc_lo, 35, v72
	s_or_b32 s2, vcc_lo, s2
	s_wait_loadcnt_dscnt 0x0
	v_fmac_f32_e32 v69, v73, v74
	s_and_not1_b32 exec_lo, exec_lo, s2
	s_cbranch_execnz .LBB124_955
; %bb.956:
	s_or_b32 exec_lo, exec_lo, s2
.LBB124_957:
	s_delay_alu instid0(SALU_CYCLE_1)
	s_or_b32 exec_lo, exec_lo, s1
	v_mov_b32_e32 v70, 0
	ds_load_b32 v70, v70 offset:148
	s_wait_dscnt 0x0
	v_mul_f32_e32 v69, v69, v70
	scratch_store_b32 off, v69, off offset:148
.LBB124_958:
	s_wait_xcnt 0x0
	s_or_b32 exec_lo, exec_lo, s0
	scratch_load_b32 v69, off, off offset:152
	s_mov_b32 s0, exec_lo
	s_wait_loadcnt 0x0
	ds_store_b32 v1, v69
	s_wait_storecnt_dscnt 0x0
	s_barrier_signal -1
	s_barrier_wait -1
	s_wait_xcnt 0x0
	v_cmpx_gt_u32_e32 38, v0
	s_cbranch_execz .LBB124_968
; %bb.959:
	v_cmp_ne_u32_e32 vcc_lo, 1, v68
	s_cbranch_vccnz .LBB124_961
; %bb.960:
	scratch_load_b32 v69, v7, off
	ds_load_b32 v70, v1
	s_wait_loadcnt_dscnt 0x0
	v_mul_f32_e32 v69, v69, v70
	s_cbranch_execz .LBB124_962
	s_branch .LBB124_963
.LBB124_961:
                                        ; implicit-def: $vgpr69
.LBB124_962:
	ds_load_b32 v69, v1
.LBB124_963:
	s_mov_b32 s1, exec_lo
	v_cmpx_ne_u32_e32 37, v0
	s_cbranch_execz .LBB124_967
; %bb.964:
	v_add_nc_u32_e32 v70, 0x104, v6
	v_add3_u32 v71, 0, v6, 4
	v_mov_b32_e32 v72, v0
	s_mov_b32 s2, 0
.LBB124_965:                            ; =>This Inner Loop Header: Depth=1
	scratch_load_b32 v73, v71, off
	ds_load_b32 v74, v70
	v_dual_add_nc_u32 v72, 1, v72 :: v_dual_add_nc_u32 v70, 4, v70
	s_wait_xcnt 0x0
	v_add_nc_u32_e32 v71, 4, v71
	s_delay_alu instid0(VALU_DEP_2)
	v_cmp_lt_u32_e32 vcc_lo, 36, v72
	s_or_b32 s2, vcc_lo, s2
	s_wait_loadcnt_dscnt 0x0
	v_fmac_f32_e32 v69, v73, v74
	s_and_not1_b32 exec_lo, exec_lo, s2
	s_cbranch_execnz .LBB124_965
; %bb.966:
	s_or_b32 exec_lo, exec_lo, s2
.LBB124_967:
	s_delay_alu instid0(SALU_CYCLE_1)
	s_or_b32 exec_lo, exec_lo, s1
	v_mov_b32_e32 v70, 0
	ds_load_b32 v70, v70 offset:152
	s_wait_dscnt 0x0
	v_mul_f32_e32 v69, v69, v70
	scratch_store_b32 off, v69, off offset:152
.LBB124_968:
	s_wait_xcnt 0x0
	s_or_b32 exec_lo, exec_lo, s0
	scratch_load_b32 v69, off, off offset:156
	s_mov_b32 s0, exec_lo
	s_wait_loadcnt 0x0
	ds_store_b32 v1, v69
	s_wait_storecnt_dscnt 0x0
	s_barrier_signal -1
	s_barrier_wait -1
	s_wait_xcnt 0x0
	v_cmpx_gt_u32_e32 39, v0
	s_cbranch_execz .LBB124_978
; %bb.969:
	v_cmp_ne_u32_e32 vcc_lo, 1, v68
	s_cbranch_vccnz .LBB124_971
; %bb.970:
	scratch_load_b32 v69, v7, off
	ds_load_b32 v70, v1
	s_wait_loadcnt_dscnt 0x0
	v_mul_f32_e32 v69, v69, v70
	s_cbranch_execz .LBB124_972
	s_branch .LBB124_973
.LBB124_971:
                                        ; implicit-def: $vgpr69
.LBB124_972:
	ds_load_b32 v69, v1
.LBB124_973:
	s_mov_b32 s1, exec_lo
	v_cmpx_ne_u32_e32 38, v0
	s_cbranch_execz .LBB124_977
; %bb.974:
	v_add_nc_u32_e32 v70, 0x104, v6
	v_add3_u32 v71, 0, v6, 4
	v_mov_b32_e32 v72, v0
	s_mov_b32 s2, 0
.LBB124_975:                            ; =>This Inner Loop Header: Depth=1
	scratch_load_b32 v73, v71, off
	ds_load_b32 v74, v70
	v_dual_add_nc_u32 v72, 1, v72 :: v_dual_add_nc_u32 v70, 4, v70
	s_wait_xcnt 0x0
	v_add_nc_u32_e32 v71, 4, v71
	s_delay_alu instid0(VALU_DEP_2)
	v_cmp_lt_u32_e32 vcc_lo, 37, v72
	s_or_b32 s2, vcc_lo, s2
	s_wait_loadcnt_dscnt 0x0
	v_fmac_f32_e32 v69, v73, v74
	s_and_not1_b32 exec_lo, exec_lo, s2
	s_cbranch_execnz .LBB124_975
; %bb.976:
	s_or_b32 exec_lo, exec_lo, s2
.LBB124_977:
	s_delay_alu instid0(SALU_CYCLE_1)
	s_or_b32 exec_lo, exec_lo, s1
	v_mov_b32_e32 v70, 0
	ds_load_b32 v70, v70 offset:156
	s_wait_dscnt 0x0
	v_mul_f32_e32 v69, v69, v70
	scratch_store_b32 off, v69, off offset:156
.LBB124_978:
	s_wait_xcnt 0x0
	s_or_b32 exec_lo, exec_lo, s0
	scratch_load_b32 v69, off, off offset:160
	s_mov_b32 s0, exec_lo
	s_wait_loadcnt 0x0
	ds_store_b32 v1, v69
	s_wait_storecnt_dscnt 0x0
	s_barrier_signal -1
	s_barrier_wait -1
	s_wait_xcnt 0x0
	v_cmpx_gt_u32_e32 40, v0
	s_cbranch_execz .LBB124_988
; %bb.979:
	v_cmp_ne_u32_e32 vcc_lo, 1, v68
	s_cbranch_vccnz .LBB124_981
; %bb.980:
	scratch_load_b32 v69, v7, off
	ds_load_b32 v70, v1
	s_wait_loadcnt_dscnt 0x0
	v_mul_f32_e32 v69, v69, v70
	s_cbranch_execz .LBB124_982
	s_branch .LBB124_983
.LBB124_981:
                                        ; implicit-def: $vgpr69
.LBB124_982:
	ds_load_b32 v69, v1
.LBB124_983:
	s_mov_b32 s1, exec_lo
	v_cmpx_ne_u32_e32 39, v0
	s_cbranch_execz .LBB124_987
; %bb.984:
	v_add_nc_u32_e32 v70, 0x104, v6
	v_add3_u32 v71, 0, v6, 4
	v_mov_b32_e32 v72, v0
	s_mov_b32 s2, 0
.LBB124_985:                            ; =>This Inner Loop Header: Depth=1
	scratch_load_b32 v73, v71, off
	ds_load_b32 v74, v70
	v_dual_add_nc_u32 v72, 1, v72 :: v_dual_add_nc_u32 v70, 4, v70
	s_wait_xcnt 0x0
	v_add_nc_u32_e32 v71, 4, v71
	s_delay_alu instid0(VALU_DEP_2)
	v_cmp_lt_u32_e32 vcc_lo, 38, v72
	s_or_b32 s2, vcc_lo, s2
	s_wait_loadcnt_dscnt 0x0
	v_fmac_f32_e32 v69, v73, v74
	s_and_not1_b32 exec_lo, exec_lo, s2
	s_cbranch_execnz .LBB124_985
; %bb.986:
	s_or_b32 exec_lo, exec_lo, s2
.LBB124_987:
	s_delay_alu instid0(SALU_CYCLE_1)
	s_or_b32 exec_lo, exec_lo, s1
	v_mov_b32_e32 v70, 0
	ds_load_b32 v70, v70 offset:160
	s_wait_dscnt 0x0
	v_mul_f32_e32 v69, v69, v70
	scratch_store_b32 off, v69, off offset:160
.LBB124_988:
	s_wait_xcnt 0x0
	s_or_b32 exec_lo, exec_lo, s0
	scratch_load_b32 v69, off, off offset:164
	s_mov_b32 s0, exec_lo
	s_wait_loadcnt 0x0
	ds_store_b32 v1, v69
	s_wait_storecnt_dscnt 0x0
	s_barrier_signal -1
	s_barrier_wait -1
	s_wait_xcnt 0x0
	v_cmpx_gt_u32_e32 41, v0
	s_cbranch_execz .LBB124_998
; %bb.989:
	v_cmp_ne_u32_e32 vcc_lo, 1, v68
	s_cbranch_vccnz .LBB124_991
; %bb.990:
	scratch_load_b32 v69, v7, off
	ds_load_b32 v70, v1
	s_wait_loadcnt_dscnt 0x0
	v_mul_f32_e32 v69, v69, v70
	s_cbranch_execz .LBB124_992
	s_branch .LBB124_993
.LBB124_991:
                                        ; implicit-def: $vgpr69
.LBB124_992:
	ds_load_b32 v69, v1
.LBB124_993:
	s_mov_b32 s1, exec_lo
	v_cmpx_ne_u32_e32 40, v0
	s_cbranch_execz .LBB124_997
; %bb.994:
	v_add_nc_u32_e32 v70, 0x104, v6
	v_add3_u32 v71, 0, v6, 4
	v_mov_b32_e32 v72, v0
	s_mov_b32 s2, 0
.LBB124_995:                            ; =>This Inner Loop Header: Depth=1
	scratch_load_b32 v73, v71, off
	ds_load_b32 v74, v70
	v_dual_add_nc_u32 v72, 1, v72 :: v_dual_add_nc_u32 v70, 4, v70
	s_wait_xcnt 0x0
	v_add_nc_u32_e32 v71, 4, v71
	s_delay_alu instid0(VALU_DEP_2)
	v_cmp_lt_u32_e32 vcc_lo, 39, v72
	s_or_b32 s2, vcc_lo, s2
	s_wait_loadcnt_dscnt 0x0
	v_fmac_f32_e32 v69, v73, v74
	s_and_not1_b32 exec_lo, exec_lo, s2
	s_cbranch_execnz .LBB124_995
; %bb.996:
	s_or_b32 exec_lo, exec_lo, s2
.LBB124_997:
	s_delay_alu instid0(SALU_CYCLE_1)
	s_or_b32 exec_lo, exec_lo, s1
	v_mov_b32_e32 v70, 0
	ds_load_b32 v70, v70 offset:164
	s_wait_dscnt 0x0
	v_mul_f32_e32 v69, v69, v70
	scratch_store_b32 off, v69, off offset:164
.LBB124_998:
	s_wait_xcnt 0x0
	s_or_b32 exec_lo, exec_lo, s0
	scratch_load_b32 v69, off, off offset:168
	s_mov_b32 s0, exec_lo
	s_wait_loadcnt 0x0
	ds_store_b32 v1, v69
	s_wait_storecnt_dscnt 0x0
	s_barrier_signal -1
	s_barrier_wait -1
	s_wait_xcnt 0x0
	v_cmpx_gt_u32_e32 42, v0
	s_cbranch_execz .LBB124_1008
; %bb.999:
	v_cmp_ne_u32_e32 vcc_lo, 1, v68
	s_cbranch_vccnz .LBB124_1001
; %bb.1000:
	scratch_load_b32 v69, v7, off
	ds_load_b32 v70, v1
	s_wait_loadcnt_dscnt 0x0
	v_mul_f32_e32 v69, v69, v70
	s_cbranch_execz .LBB124_1002
	s_branch .LBB124_1003
.LBB124_1001:
                                        ; implicit-def: $vgpr69
.LBB124_1002:
	ds_load_b32 v69, v1
.LBB124_1003:
	s_mov_b32 s1, exec_lo
	v_cmpx_ne_u32_e32 41, v0
	s_cbranch_execz .LBB124_1007
; %bb.1004:
	v_add_nc_u32_e32 v70, 0x104, v6
	v_add3_u32 v71, 0, v6, 4
	v_mov_b32_e32 v72, v0
	s_mov_b32 s2, 0
.LBB124_1005:                           ; =>This Inner Loop Header: Depth=1
	scratch_load_b32 v73, v71, off
	ds_load_b32 v74, v70
	v_dual_add_nc_u32 v72, 1, v72 :: v_dual_add_nc_u32 v70, 4, v70
	s_wait_xcnt 0x0
	v_add_nc_u32_e32 v71, 4, v71
	s_delay_alu instid0(VALU_DEP_2)
	v_cmp_lt_u32_e32 vcc_lo, 40, v72
	s_or_b32 s2, vcc_lo, s2
	s_wait_loadcnt_dscnt 0x0
	v_fmac_f32_e32 v69, v73, v74
	s_and_not1_b32 exec_lo, exec_lo, s2
	s_cbranch_execnz .LBB124_1005
; %bb.1006:
	s_or_b32 exec_lo, exec_lo, s2
.LBB124_1007:
	s_delay_alu instid0(SALU_CYCLE_1)
	s_or_b32 exec_lo, exec_lo, s1
	v_mov_b32_e32 v70, 0
	ds_load_b32 v70, v70 offset:168
	s_wait_dscnt 0x0
	v_mul_f32_e32 v69, v69, v70
	scratch_store_b32 off, v69, off offset:168
.LBB124_1008:
	s_wait_xcnt 0x0
	s_or_b32 exec_lo, exec_lo, s0
	scratch_load_b32 v69, off, off offset:172
	s_mov_b32 s0, exec_lo
	s_wait_loadcnt 0x0
	ds_store_b32 v1, v69
	s_wait_storecnt_dscnt 0x0
	s_barrier_signal -1
	s_barrier_wait -1
	s_wait_xcnt 0x0
	v_cmpx_gt_u32_e32 43, v0
	s_cbranch_execz .LBB124_1018
; %bb.1009:
	v_cmp_ne_u32_e32 vcc_lo, 1, v68
	s_cbranch_vccnz .LBB124_1011
; %bb.1010:
	scratch_load_b32 v69, v7, off
	ds_load_b32 v70, v1
	s_wait_loadcnt_dscnt 0x0
	v_mul_f32_e32 v69, v69, v70
	s_cbranch_execz .LBB124_1012
	s_branch .LBB124_1013
.LBB124_1011:
                                        ; implicit-def: $vgpr69
.LBB124_1012:
	ds_load_b32 v69, v1
.LBB124_1013:
	s_mov_b32 s1, exec_lo
	v_cmpx_ne_u32_e32 42, v0
	s_cbranch_execz .LBB124_1017
; %bb.1014:
	v_add_nc_u32_e32 v70, 0x104, v6
	v_add3_u32 v71, 0, v6, 4
	v_mov_b32_e32 v72, v0
	s_mov_b32 s2, 0
.LBB124_1015:                           ; =>This Inner Loop Header: Depth=1
	scratch_load_b32 v73, v71, off
	ds_load_b32 v74, v70
	v_dual_add_nc_u32 v72, 1, v72 :: v_dual_add_nc_u32 v70, 4, v70
	s_wait_xcnt 0x0
	v_add_nc_u32_e32 v71, 4, v71
	s_delay_alu instid0(VALU_DEP_2)
	v_cmp_lt_u32_e32 vcc_lo, 41, v72
	s_or_b32 s2, vcc_lo, s2
	s_wait_loadcnt_dscnt 0x0
	v_fmac_f32_e32 v69, v73, v74
	s_and_not1_b32 exec_lo, exec_lo, s2
	s_cbranch_execnz .LBB124_1015
; %bb.1016:
	s_or_b32 exec_lo, exec_lo, s2
.LBB124_1017:
	s_delay_alu instid0(SALU_CYCLE_1)
	s_or_b32 exec_lo, exec_lo, s1
	v_mov_b32_e32 v70, 0
	ds_load_b32 v70, v70 offset:172
	s_wait_dscnt 0x0
	v_mul_f32_e32 v69, v69, v70
	scratch_store_b32 off, v69, off offset:172
.LBB124_1018:
	;; [unrolled: 59-line block ×17, first 2 shown]
	s_wait_xcnt 0x0
	s_or_b32 exec_lo, exec_lo, s0
	scratch_load_b32 v69, off, off offset:236
	v_cmp_gt_u32_e64 s0, 59, v0
	s_wait_loadcnt 0x0
	ds_store_b32 v1, v69
	s_wait_storecnt_dscnt 0x0
	s_barrier_signal -1
	s_barrier_wait -1
	s_wait_xcnt 0x0
	s_and_saveexec_b32 s1, s0
	s_cbranch_execz .LBB124_1178
; %bb.1169:
	v_cmp_ne_u32_e32 vcc_lo, 1, v68
	s_cbranch_vccnz .LBB124_1171
; %bb.1170:
	scratch_load_b32 v69, v7, off
	ds_load_b32 v70, v1
	s_wait_loadcnt_dscnt 0x0
	v_mul_f32_e32 v69, v69, v70
	s_cbranch_execz .LBB124_1172
	s_branch .LBB124_1173
.LBB124_1171:
                                        ; implicit-def: $vgpr69
.LBB124_1172:
	ds_load_b32 v69, v1
.LBB124_1173:
	s_mov_b32 s2, exec_lo
	v_cmpx_ne_u32_e32 58, v0
	s_cbranch_execz .LBB124_1177
; %bb.1174:
	v_add_nc_u32_e32 v70, 0x104, v6
	v_add3_u32 v71, 0, v6, 4
	v_mov_b32_e32 v72, v0
	s_mov_b32 s3, 0
.LBB124_1175:                           ; =>This Inner Loop Header: Depth=1
	scratch_load_b32 v73, v71, off
	ds_load_b32 v74, v70
	v_dual_add_nc_u32 v72, 1, v72 :: v_dual_add_nc_u32 v70, 4, v70
	s_wait_xcnt 0x0
	v_add_nc_u32_e32 v71, 4, v71
	s_delay_alu instid0(VALU_DEP_2)
	v_cmp_lt_u32_e32 vcc_lo, 57, v72
	s_or_b32 s3, vcc_lo, s3
	s_wait_loadcnt_dscnt 0x0
	v_fmac_f32_e32 v69, v73, v74
	s_and_not1_b32 exec_lo, exec_lo, s3
	s_cbranch_execnz .LBB124_1175
; %bb.1176:
	s_or_b32 exec_lo, exec_lo, s3
.LBB124_1177:
	s_delay_alu instid0(SALU_CYCLE_1)
	s_or_b32 exec_lo, exec_lo, s2
	v_mov_b32_e32 v70, 0
	ds_load_b32 v70, v70 offset:236
	s_wait_dscnt 0x0
	v_mul_f32_e32 v69, v69, v70
	scratch_store_b32 off, v69, off offset:236
.LBB124_1178:
	s_wait_xcnt 0x0
	s_or_b32 exec_lo, exec_lo, s1
	scratch_load_b32 v69, off, off offset:240
	s_mov_b32 s1, exec_lo
	s_wait_loadcnt 0x0
	ds_store_b32 v1, v69
	s_wait_storecnt_dscnt 0x0
	s_barrier_signal -1
	s_barrier_wait -1
	s_wait_xcnt 0x0
	v_cmpx_ne_u32_e32 60, v0
	s_cbranch_execz .LBB124_1188
; %bb.1179:
	v_cmp_ne_u32_e32 vcc_lo, 1, v68
	s_cbranch_vccnz .LBB124_1181
; %bb.1180:
	scratch_load_b32 v7, v7, off
	ds_load_b32 v68, v1
	s_wait_loadcnt_dscnt 0x0
	v_mul_f32_e32 v7, v7, v68
	s_cbranch_execz .LBB124_1182
	s_branch .LBB124_1183
.LBB124_1181:
                                        ; implicit-def: $vgpr7
.LBB124_1182:
	ds_load_b32 v7, v1
.LBB124_1183:
	s_and_saveexec_b32 s2, s0
	s_cbranch_execz .LBB124_1187
; %bb.1184:
	v_add_nc_u32_e32 v1, 0x104, v6
	v_add3_u32 v6, 0, v6, 4
	s_mov_b32 s0, 0
.LBB124_1185:                           ; =>This Inner Loop Header: Depth=1
	scratch_load_b32 v68, v6, off
	ds_load_b32 v69, v1
	v_dual_add_nc_u32 v0, 1, v0 :: v_dual_add_nc_u32 v1, 4, v1
	s_wait_xcnt 0x0
	v_add_nc_u32_e32 v6, 4, v6
	s_delay_alu instid0(VALU_DEP_2)
	v_cmp_lt_u32_e32 vcc_lo, 58, v0
	s_or_b32 s0, vcc_lo, s0
	s_wait_loadcnt_dscnt 0x0
	v_fmac_f32_e32 v7, v68, v69
	s_and_not1_b32 exec_lo, exec_lo, s0
	s_cbranch_execnz .LBB124_1185
; %bb.1186:
	s_or_b32 exec_lo, exec_lo, s0
.LBB124_1187:
	s_delay_alu instid0(SALU_CYCLE_1)
	s_or_b32 exec_lo, exec_lo, s2
	v_mov_b32_e32 v0, 0
	ds_load_b32 v0, v0 offset:240
	s_wait_dscnt 0x0
	v_mul_f32_e32 v0, v7, v0
	scratch_store_b32 off, v0, off offset:240
.LBB124_1188:
	s_wait_xcnt 0x0
	s_or_b32 exec_lo, exec_lo, s1
.LBB124_1189:
	scratch_load_b32 v0, off, off
	s_wait_loadcnt 0x0
	flat_store_b32 v[2:3], v0
	scratch_load_b32 v0, off, off offset:4
	s_wait_loadcnt 0x0
	flat_store_b32 v[4:5], v0
	scratch_load_b32 v0, off, off offset:8
	s_wait_loadcnt 0x0
	flat_store_b32 v[182:183], v0
	scratch_load_b32 v0, off, off offset:12
	s_wait_loadcnt 0x0
	flat_store_b32 v[180:181], v0
	scratch_load_b32 v0, off, off offset:16
	s_wait_loadcnt 0x0
	flat_store_b32 v[178:179], v0
	scratch_load_b32 v0, off, off offset:20
	s_wait_loadcnt 0x0
	flat_store_b32 v[176:177], v0
	scratch_load_b32 v0, off, off offset:24
	s_wait_loadcnt 0x0
	flat_store_b32 v[174:175], v0
	scratch_load_b32 v0, off, off offset:28
	s_wait_loadcnt 0x0
	flat_store_b32 v[172:173], v0
	scratch_load_b32 v0, off, off offset:32
	s_wait_loadcnt 0x0
	flat_store_b32 v[170:171], v0
	scratch_load_b32 v0, off, off offset:36
	s_wait_loadcnt 0x0
	flat_store_b32 v[168:169], v0
	scratch_load_b32 v0, off, off offset:40
	s_wait_loadcnt 0x0
	flat_store_b32 v[166:167], v0
	scratch_load_b32 v0, off, off offset:44
	s_wait_loadcnt 0x0
	flat_store_b32 v[164:165], v0
	scratch_load_b32 v0, off, off offset:48
	s_wait_loadcnt 0x0
	flat_store_b32 v[162:163], v0
	scratch_load_b32 v0, off, off offset:52
	s_wait_loadcnt 0x0
	flat_store_b32 v[160:161], v0
	scratch_load_b32 v0, off, off offset:56
	s_wait_loadcnt 0x0
	flat_store_b32 v[158:159], v0
	scratch_load_b32 v0, off, off offset:60
	s_wait_loadcnt 0x0
	flat_store_b32 v[156:157], v0
	scratch_load_b32 v0, off, off offset:64
	s_wait_loadcnt 0x0
	flat_store_b32 v[154:155], v0
	scratch_load_b32 v0, off, off offset:68
	s_wait_loadcnt 0x0
	flat_store_b32 v[152:153], v0
	scratch_load_b32 v0, off, off offset:72
	s_wait_loadcnt 0x0
	flat_store_b32 v[150:151], v0
	scratch_load_b32 v0, off, off offset:76
	s_wait_loadcnt 0x0
	flat_store_b32 v[148:149], v0
	scratch_load_b32 v0, off, off offset:80
	s_wait_loadcnt 0x0
	flat_store_b32 v[146:147], v0
	scratch_load_b32 v0, off, off offset:84
	s_wait_loadcnt 0x0
	flat_store_b32 v[144:145], v0
	scratch_load_b32 v0, off, off offset:88
	s_wait_loadcnt 0x0
	flat_store_b32 v[142:143], v0
	scratch_load_b32 v0, off, off offset:92
	s_wait_loadcnt 0x0
	flat_store_b32 v[140:141], v0
	scratch_load_b32 v0, off, off offset:96
	s_wait_loadcnt 0x0
	flat_store_b32 v[138:139], v0
	scratch_load_b32 v0, off, off offset:100
	s_wait_loadcnt 0x0
	flat_store_b32 v[136:137], v0
	scratch_load_b32 v0, off, off offset:104
	s_wait_loadcnt 0x0
	flat_store_b32 v[134:135], v0
	scratch_load_b32 v0, off, off offset:108
	s_wait_loadcnt 0x0
	flat_store_b32 v[132:133], v0
	scratch_load_b32 v0, off, off offset:112
	s_wait_loadcnt 0x0
	flat_store_b32 v[130:131], v0
	scratch_load_b32 v0, off, off offset:116
	s_wait_loadcnt 0x0
	flat_store_b32 v[128:129], v0
	scratch_load_b32 v0, off, off offset:120
	s_wait_loadcnt 0x0
	flat_store_b32 v[126:127], v0
	scratch_load_b32 v0, off, off offset:124
	s_wait_loadcnt 0x0
	flat_store_b32 v[66:67], v0
	scratch_load_b32 v0, off, off offset:128
	s_wait_loadcnt 0x0
	flat_store_b32 v[64:65], v0
	scratch_load_b32 v0, off, off offset:132
	s_wait_loadcnt 0x0
	flat_store_b32 v[62:63], v0
	scratch_load_b32 v0, off, off offset:136
	s_wait_loadcnt 0x0
	flat_store_b32 v[60:61], v0
	scratch_load_b32 v0, off, off offset:140
	s_wait_loadcnt 0x0
	flat_store_b32 v[58:59], v0
	scratch_load_b32 v0, off, off offset:144
	s_wait_loadcnt 0x0
	flat_store_b32 v[56:57], v0
	scratch_load_b32 v0, off, off offset:148
	s_wait_loadcnt 0x0
	flat_store_b32 v[54:55], v0
	scratch_load_b32 v0, off, off offset:152
	s_wait_loadcnt 0x0
	flat_store_b32 v[52:53], v0
	scratch_load_b32 v0, off, off offset:156
	s_wait_loadcnt 0x0
	flat_store_b32 v[50:51], v0
	scratch_load_b32 v0, off, off offset:160
	s_wait_loadcnt 0x0
	flat_store_b32 v[48:49], v0
	scratch_load_b32 v0, off, off offset:164
	s_wait_loadcnt 0x0
	flat_store_b32 v[46:47], v0
	scratch_load_b32 v0, off, off offset:168
	s_wait_loadcnt 0x0
	flat_store_b32 v[44:45], v0
	scratch_load_b32 v0, off, off offset:172
	s_wait_loadcnt 0x0
	flat_store_b32 v[42:43], v0
	scratch_load_b32 v0, off, off offset:176
	s_wait_loadcnt 0x0
	flat_store_b32 v[40:41], v0
	scratch_load_b32 v0, off, off offset:180
	s_wait_loadcnt 0x0
	flat_store_b32 v[38:39], v0
	scratch_load_b32 v0, off, off offset:184
	s_wait_loadcnt 0x0
	flat_store_b32 v[36:37], v0
	scratch_load_b32 v0, off, off offset:188
	s_wait_loadcnt 0x0
	flat_store_b32 v[34:35], v0
	scratch_load_b32 v0, off, off offset:192
	s_wait_loadcnt 0x0
	flat_store_b32 v[32:33], v0
	scratch_load_b32 v0, off, off offset:196
	s_wait_loadcnt 0x0
	flat_store_b32 v[30:31], v0
	scratch_load_b32 v0, off, off offset:200
	s_wait_loadcnt 0x0
	flat_store_b32 v[28:29], v0
	scratch_load_b32 v0, off, off offset:204
	s_wait_loadcnt 0x0
	flat_store_b32 v[26:27], v0
	scratch_load_b32 v0, off, off offset:208
	s_wait_loadcnt 0x0
	flat_store_b32 v[24:25], v0
	scratch_load_b32 v0, off, off offset:212
	s_wait_loadcnt 0x0
	flat_store_b32 v[22:23], v0
	scratch_load_b32 v0, off, off offset:216
	s_wait_loadcnt 0x0
	flat_store_b32 v[20:21], v0
	scratch_load_b32 v0, off, off offset:220
	s_wait_loadcnt 0x0
	flat_store_b32 v[18:19], v0
	scratch_load_b32 v0, off, off offset:224
	s_wait_loadcnt 0x0
	flat_store_b32 v[16:17], v0
	scratch_load_b32 v0, off, off offset:228
	s_wait_loadcnt 0x0
	flat_store_b32 v[14:15], v0
	scratch_load_b32 v0, off, off offset:232
	s_wait_loadcnt 0x0
	flat_store_b32 v[12:13], v0
	scratch_load_b32 v0, off, off offset:236
	s_wait_loadcnt 0x0
	flat_store_b32 v[10:11], v0
	scratch_load_b32 v0, off, off offset:240
	s_wait_loadcnt 0x0
	flat_store_b32 v[8:9], v0
.LBB124_1190:
	s_sendmsg sendmsg(MSG_DEALLOC_VGPRS)
	s_endpgm
	.section	.rodata,"a",@progbits
	.p2align	6, 0x0
	.amdhsa_kernel _ZN9rocsolver6v33100L18trti2_kernel_smallILi61EfPKPfEEv13rocblas_fill_17rocblas_diagonal_T1_iil
		.amdhsa_group_segment_fixed_size 500
		.amdhsa_private_segment_fixed_size 256
		.amdhsa_kernarg_size 32
		.amdhsa_user_sgpr_count 2
		.amdhsa_user_sgpr_dispatch_ptr 0
		.amdhsa_user_sgpr_queue_ptr 0
		.amdhsa_user_sgpr_kernarg_segment_ptr 1
		.amdhsa_user_sgpr_dispatch_id 0
		.amdhsa_user_sgpr_kernarg_preload_length 0
		.amdhsa_user_sgpr_kernarg_preload_offset 0
		.amdhsa_user_sgpr_private_segment_size 0
		.amdhsa_wavefront_size32 1
		.amdhsa_uses_dynamic_stack 0
		.amdhsa_enable_private_segment 1
		.amdhsa_system_sgpr_workgroup_id_x 1
		.amdhsa_system_sgpr_workgroup_id_y 0
		.amdhsa_system_sgpr_workgroup_id_z 0
		.amdhsa_system_sgpr_workgroup_info 0
		.amdhsa_system_vgpr_workitem_id 0
		.amdhsa_next_free_vgpr 184
		.amdhsa_next_free_sgpr 67
		.amdhsa_named_barrier_count 0
		.amdhsa_reserve_vcc 1
		.amdhsa_float_round_mode_32 0
		.amdhsa_float_round_mode_16_64 0
		.amdhsa_float_denorm_mode_32 3
		.amdhsa_float_denorm_mode_16_64 3
		.amdhsa_fp16_overflow 0
		.amdhsa_memory_ordered 1
		.amdhsa_forward_progress 1
		.amdhsa_inst_pref_size 255
		.amdhsa_round_robin_scheduling 0
		.amdhsa_exception_fp_ieee_invalid_op 0
		.amdhsa_exception_fp_denorm_src 0
		.amdhsa_exception_fp_ieee_div_zero 0
		.amdhsa_exception_fp_ieee_overflow 0
		.amdhsa_exception_fp_ieee_underflow 0
		.amdhsa_exception_fp_ieee_inexact 0
		.amdhsa_exception_int_div_zero 0
	.end_amdhsa_kernel
	.section	.text._ZN9rocsolver6v33100L18trti2_kernel_smallILi61EfPKPfEEv13rocblas_fill_17rocblas_diagonal_T1_iil,"axG",@progbits,_ZN9rocsolver6v33100L18trti2_kernel_smallILi61EfPKPfEEv13rocblas_fill_17rocblas_diagonal_T1_iil,comdat
.Lfunc_end124:
	.size	_ZN9rocsolver6v33100L18trti2_kernel_smallILi61EfPKPfEEv13rocblas_fill_17rocblas_diagonal_T1_iil, .Lfunc_end124-_ZN9rocsolver6v33100L18trti2_kernel_smallILi61EfPKPfEEv13rocblas_fill_17rocblas_diagonal_T1_iil
                                        ; -- End function
	.set _ZN9rocsolver6v33100L18trti2_kernel_smallILi61EfPKPfEEv13rocblas_fill_17rocblas_diagonal_T1_iil.num_vgpr, 184
	.set _ZN9rocsolver6v33100L18trti2_kernel_smallILi61EfPKPfEEv13rocblas_fill_17rocblas_diagonal_T1_iil.num_agpr, 0
	.set _ZN9rocsolver6v33100L18trti2_kernel_smallILi61EfPKPfEEv13rocblas_fill_17rocblas_diagonal_T1_iil.numbered_sgpr, 67
	.set _ZN9rocsolver6v33100L18trti2_kernel_smallILi61EfPKPfEEv13rocblas_fill_17rocblas_diagonal_T1_iil.num_named_barrier, 0
	.set _ZN9rocsolver6v33100L18trti2_kernel_smallILi61EfPKPfEEv13rocblas_fill_17rocblas_diagonal_T1_iil.private_seg_size, 256
	.set _ZN9rocsolver6v33100L18trti2_kernel_smallILi61EfPKPfEEv13rocblas_fill_17rocblas_diagonal_T1_iil.uses_vcc, 1
	.set _ZN9rocsolver6v33100L18trti2_kernel_smallILi61EfPKPfEEv13rocblas_fill_17rocblas_diagonal_T1_iil.uses_flat_scratch, 0
	.set _ZN9rocsolver6v33100L18trti2_kernel_smallILi61EfPKPfEEv13rocblas_fill_17rocblas_diagonal_T1_iil.has_dyn_sized_stack, 0
	.set _ZN9rocsolver6v33100L18trti2_kernel_smallILi61EfPKPfEEv13rocblas_fill_17rocblas_diagonal_T1_iil.has_recursion, 0
	.set _ZN9rocsolver6v33100L18trti2_kernel_smallILi61EfPKPfEEv13rocblas_fill_17rocblas_diagonal_T1_iil.has_indirect_call, 0
	.section	.AMDGPU.csdata,"",@progbits
; Kernel info:
; codeLenInByte = 35360
; TotalNumSgprs: 69
; NumVgprs: 184
; ScratchSize: 256
; MemoryBound: 0
; FloatMode: 240
; IeeeMode: 1
; LDSByteSize: 500 bytes/workgroup (compile time only)
; SGPRBlocks: 0
; VGPRBlocks: 11
; NumSGPRsForWavesPerEU: 69
; NumVGPRsForWavesPerEU: 184
; NamedBarCnt: 0
; Occupancy: 5
; WaveLimiterHint : 1
; COMPUTE_PGM_RSRC2:SCRATCH_EN: 1
; COMPUTE_PGM_RSRC2:USER_SGPR: 2
; COMPUTE_PGM_RSRC2:TRAP_HANDLER: 0
; COMPUTE_PGM_RSRC2:TGID_X_EN: 1
; COMPUTE_PGM_RSRC2:TGID_Y_EN: 0
; COMPUTE_PGM_RSRC2:TGID_Z_EN: 0
; COMPUTE_PGM_RSRC2:TIDIG_COMP_CNT: 0
	.section	.text._ZN9rocsolver6v33100L18trti2_kernel_smallILi62EfPKPfEEv13rocblas_fill_17rocblas_diagonal_T1_iil,"axG",@progbits,_ZN9rocsolver6v33100L18trti2_kernel_smallILi62EfPKPfEEv13rocblas_fill_17rocblas_diagonal_T1_iil,comdat
	.globl	_ZN9rocsolver6v33100L18trti2_kernel_smallILi62EfPKPfEEv13rocblas_fill_17rocblas_diagonal_T1_iil ; -- Begin function _ZN9rocsolver6v33100L18trti2_kernel_smallILi62EfPKPfEEv13rocblas_fill_17rocblas_diagonal_T1_iil
	.p2align	8
	.type	_ZN9rocsolver6v33100L18trti2_kernel_smallILi62EfPKPfEEv13rocblas_fill_17rocblas_diagonal_T1_iil,@function
_ZN9rocsolver6v33100L18trti2_kernel_smallILi62EfPKPfEEv13rocblas_fill_17rocblas_diagonal_T1_iil: ; @_ZN9rocsolver6v33100L18trti2_kernel_smallILi62EfPKPfEEv13rocblas_fill_17rocblas_diagonal_T1_iil
; %bb.0:
	s_mov_b32 s2, exec_lo
	v_cmpx_gt_u32_e32 62, v0
	s_cbranch_execz .LBB125_1210
; %bb.1:
	s_clause 0x1
	s_load_b64 s[2:3], s[0:1], 0x10
	s_load_b128 s[4:7], s[0:1], 0x0
	s_wait_xcnt 0x0
	s_bfe_u32 s0, ttmp6, 0x4000c
	s_and_b32 s1, ttmp6, 15
	s_add_co_i32 s0, s0, 1
	s_getreg_b32 s8, hwreg(HW_REG_IB_STS2, 6, 4)
	s_mul_i32 s0, ttmp9, s0
	v_dual_mov_b32 v7, 0 :: v_dual_lshlrev_b32 v6, 2, v0
	s_add_co_i32 s0, s1, s0
	v_mov_b32_e32 v128, -1.0
	s_wait_kmcnt 0x0
	s_ashr_i32 s1, s2, 31
	s_cmp_eq_u32 s8, 0
	v_add3_u32 v8, s3, s3, v0
	s_cselect_b32 s8, ttmp9, s0
	s_mov_b32 s0, s2
	s_ashr_i32 s9, s8, 31
	s_lshl_b64 s[0:1], s[0:1], 2
	s_lshl_b64 s[8:9], s[8:9], 3
	v_add_nc_u32_e32 v10, s3, v8
	s_add_nc_u64 s[6:7], s[6:7], s[8:9]
	s_load_b64 s[6:7], s[6:7], 0x0
	s_delay_alu instid0(VALU_DEP_1) | instskip(NEXT) | instid1(VALU_DEP_1)
	v_add_nc_u32_e32 v12, s3, v10
	v_add_nc_u32_e32 v14, s3, v12
	s_delay_alu instid0(VALU_DEP_1) | instskip(NEXT) | instid1(VALU_DEP_1)
	v_add_nc_u32_e32 v16, s3, v14
	v_dual_ashrrev_i32 v11, 31, v10 :: v_dual_add_nc_u32 v18, s3, v16
	v_ashrrev_i32_e32 v13, 31, v12
	s_wait_kmcnt 0x0
	s_add_nc_u64 s[6:7], s[6:7], s[0:1]
	s_mov_b32 s0, s3
	flat_load_b32 v1, v0, s[6:7] scale_offset
	v_add_nc_u64_e32 v[2:3], s[6:7], v[6:7]
	s_ashr_i32 s1, s3, 31
	v_dual_add_nc_u32 v20, s3, v18 :: v_dual_ashrrev_i32 v9, 31, v8
	v_ashrrev_i32_e32 v15, 31, v14
	v_ashrrev_i32_e32 v19, 31, v18
	s_cmp_lg_u32 s5, 0x84
	s_delay_alu instid0(VALU_DEP_4) | instskip(SKIP_2) | instid1(VALU_DEP_1)
	v_lshl_add_u64 v[4:5], s[0:1], 2, v[2:3]
	v_add_nc_u32_e32 v22, s3, v20
	s_movk_i32 s1, 0x84
	v_add_nc_u32_e32 v24, s3, v22
	s_delay_alu instid0(VALU_DEP_1) | instskip(NEXT) | instid1(VALU_DEP_1)
	v_add_nc_u32_e32 v26, s3, v24
	v_dual_add_nc_u32 v28, s3, v26 :: v_dual_ashrrev_i32 v17, 31, v16
	s_delay_alu instid0(VALU_DEP_1) | instskip(NEXT) | instid1(VALU_DEP_1)
	v_dual_ashrrev_i32 v23, 31, v22 :: v_dual_add_nc_u32 v30, s3, v28
	v_dual_ashrrev_i32 v25, 31, v24 :: v_dual_ashrrev_i32 v31, 31, v30
	v_dual_add_nc_u32 v32, s3, v30 :: v_dual_ashrrev_i32 v21, 31, v20
	s_delay_alu instid0(VALU_DEP_1) | instskip(NEXT) | instid1(VALU_DEP_1)
	v_dual_ashrrev_i32 v27, 31, v26 :: v_dual_add_nc_u32 v34, s3, v32
	v_add_nc_u32_e32 v36, s3, v34
	s_delay_alu instid0(VALU_DEP_1) | instskip(NEXT) | instid1(VALU_DEP_1)
	v_add_nc_u32_e32 v38, s3, v36
	v_dual_add_nc_u32 v40, s3, v38 :: v_dual_ashrrev_i32 v29, 31, v28
	s_delay_alu instid0(VALU_DEP_1) | instskip(NEXT) | instid1(VALU_DEP_1)
	v_dual_ashrrev_i32 v35, 31, v34 :: v_dual_add_nc_u32 v42, s3, v40
	v_dual_ashrrev_i32 v37, 31, v36 :: v_dual_ashrrev_i32 v43, 31, v42
	v_dual_add_nc_u32 v44, s3, v42 :: v_dual_ashrrev_i32 v33, 31, v32
	s_delay_alu instid0(VALU_DEP_1) | instskip(NEXT) | instid1(VALU_DEP_1)
	v_dual_ashrrev_i32 v39, 31, v38 :: v_dual_add_nc_u32 v46, s3, v44
	;; [unrolled: 10-line block ×8, first 2 shown]
	v_add_nc_u32_e32 v120, s3, v118
	s_delay_alu instid0(VALU_DEP_1) | instskip(NEXT) | instid1(VALU_DEP_1)
	v_add_nc_u32_e32 v122, s3, v120
	v_dual_ashrrev_i32 v117, 31, v116 :: v_dual_ashrrev_i32 v123, 31, v122
	v_dual_add_nc_u32 v124, s3, v122 :: v_dual_ashrrev_i32 v113, 31, v112
	s_delay_alu instid0(VALU_DEP_1)
	v_dual_ashrrev_i32 v119, 31, v118 :: v_dual_add_nc_u32 v126, s3, v124
	v_ashrrev_i32_e32 v121, 31, v120
	v_ashrrev_i32_e32 v125, 31, v124
	s_cselect_b32 s3, -1, 0
	s_cmp_eq_u32 s5, 0x84
	v_ashrrev_i32_e32 v127, 31, v126
	s_wait_loadcnt_dscnt 0x0
	scratch_store_b32 off, v1, off
	flat_load_b32 v1, v[4:5]
	s_wait_loadcnt_dscnt 0x0
	scratch_store_b32 off, v1, off offset:4
	flat_load_b32 v1, v8, s[6:7] scale_offset
	s_wait_loadcnt_dscnt 0x0
	scratch_store_b32 off, v1, off offset:8
	flat_load_b32 v1, v10, s[6:7] scale_offset
	;; [unrolled: 3-line block ×60, first 2 shown]
	s_wait_loadcnt_dscnt 0x0
	scratch_store_b32 off, v1, off offset:244
	s_cbranch_scc1 .LBB125_3
; %bb.2:
	scratch_load_b32 v1, v0, off scale_offset
	s_wait_loadcnt 0x0
	v_div_scale_f32 v7, null, v1, v1, 1.0
	s_delay_alu instid0(VALU_DEP_1) | instskip(SKIP_1) | instid1(TRANS32_DEP_1)
	v_rcp_f32_e32 v128, v7
	v_nop
	v_fma_f32 v129, -v7, v128, 1.0
	s_delay_alu instid0(VALU_DEP_1) | instskip(SKIP_1) | instid1(VALU_DEP_1)
	v_fmac_f32_e32 v128, v129, v128
	v_div_scale_f32 v129, vcc_lo, 1.0, v1, 1.0
	v_mul_f32_e32 v130, v129, v128
	s_delay_alu instid0(VALU_DEP_1) | instskip(NEXT) | instid1(VALU_DEP_1)
	v_fma_f32 v131, -v7, v130, v129
	v_fmac_f32_e32 v130, v131, v128
	s_delay_alu instid0(VALU_DEP_1) | instskip(NEXT) | instid1(VALU_DEP_1)
	v_fma_f32 v7, -v7, v130, v129
	v_div_fmas_f32 v7, v7, v128, v130
	s_delay_alu instid0(VALU_DEP_1) | instskip(NEXT) | instid1(VALU_DEP_1)
	v_div_fixup_f32 v1, v7, v1, 1.0
	v_xor_b32_e32 v128, 0x80000000, v1
	scratch_store_b32 v0, v1, off scale_offset
.LBB125_3:
	s_wait_xcnt 0x0
	v_or_b32_e32 v1, 0x100, v6
	v_mov_b32_e32 v7, v6
	s_cmp_eq_u32 s4, 0x79
	s_mov_b32 s2, -1
	ds_store_b32 v6, v128
	s_cbranch_scc1 .LBB125_607
; %bb.4:
	scratch_load_b32 v128, off, off offset:240
	v_cmp_eq_u32_e64 s0, 61, v0
	s_movk_i32 s21, 0x44
	s_movk_i32 s22, 0x48
	;; [unrolled: 1-line block ×42, first 2 shown]
	s_wait_loadcnt 0x0
	ds_store_b32 v1, v128
	s_wait_storecnt_dscnt 0x0
	s_barrier_signal -1
	s_barrier_wait -1
	s_wait_xcnt 0x0
	s_and_saveexec_b32 s2, s0
	s_cbranch_execz .LBB125_10
; %bb.5:
	s_and_b32 vcc_lo, exec_lo, s3
	s_cbranch_vccz .LBB125_7
; %bb.6:
	scratch_load_b32 v128, v7, off
	ds_load_b32 v129, v1
	s_wait_loadcnt_dscnt 0x0
	v_mul_f32_e32 v128, v128, v129
	s_cbranch_execz .LBB125_8
	s_branch .LBB125_9
.LBB125_7:
                                        ; implicit-def: $vgpr128
.LBB125_8:
	ds_load_b32 v128, v1
.LBB125_9:
	v_mov_b32_e32 v129, 0
	ds_load_b32 v129, v129 offset:240
	s_wait_dscnt 0x0
	v_mul_f32_e32 v128, v128, v129
	scratch_store_b32 off, v128, off offset:240
.LBB125_10:
	s_wait_xcnt 0x0
	s_or_b32 exec_lo, exec_lo, s2
	scratch_load_b32 v128, off, off offset:236
	s_mov_b32 s38, s1
	v_cmp_lt_u32_e64 s1, 59, v0
	s_or_b32 s4, 0, 4
	s_or_b32 s5, 0, 8
	s_or_b32 s8, 0, 12
	s_mov_b32 s2, 16
	s_mov_b32 s9, 20
	;; [unrolled: 1-line block ×13, first 2 shown]
	s_wait_loadcnt 0x0
	ds_store_b32 v1, v128
	s_wait_storecnt_dscnt 0x0
	s_barrier_signal -1
	s_barrier_wait -1
	s_wait_xcnt 0x0
	s_and_saveexec_b32 s65, s1
	s_cbranch_execz .LBB125_16
; %bb.11:
	s_and_not1_b32 vcc_lo, exec_lo, s3
	s_cbranch_vccnz .LBB125_13
; %bb.12:
	scratch_load_b32 v128, v7, off
	ds_load_b32 v129, v1
	s_wait_loadcnt_dscnt 0x0
	v_mul_f32_e32 v128, v128, v129
	s_cbranch_execz .LBB125_14
	s_branch .LBB125_15
.LBB125_13:
                                        ; implicit-def: $vgpr128
.LBB125_14:
	ds_load_b32 v128, v1
.LBB125_15:
	scratch_load_b32 v129, off, off offset:240
	v_mov_b32_e32 v130, 0
	ds_load_2addr_b32 v[130:131], v130 offset0:59 offset1:124
	s_wait_loadcnt_dscnt 0x0
	v_fma_f32 v129, v129, v131, v128
	s_delay_alu instid0(VALU_DEP_1) | instskip(NEXT) | instid1(VALU_DEP_1)
	v_cndmask_b32_e64 v128, v128, v129, s0
	v_mul_f32_e32 v128, v128, v130
	scratch_store_b32 off, v128, off offset:236
.LBB125_16:
	s_wait_xcnt 0x0
	s_or_b32 exec_lo, exec_lo, s65
	scratch_load_b32 v128, off, off offset:232
	v_cmp_lt_u32_e64 s0, 58, v0
	s_wait_loadcnt 0x0
	ds_store_b32 v1, v128
	s_wait_storecnt_dscnt 0x0
	s_barrier_signal -1
	s_barrier_wait -1
	s_wait_xcnt 0x0
	s_and_saveexec_b32 s65, s0
	s_cbranch_execz .LBB125_26
; %bb.17:
	s_and_not1_b32 vcc_lo, exec_lo, s3
	s_cbranch_vccnz .LBB125_19
; %bb.18:
	scratch_load_b32 v128, v7, off
	ds_load_b32 v129, v1
	s_wait_loadcnt_dscnt 0x0
	v_mul_f32_e32 v128, v128, v129
	s_cbranch_execz .LBB125_20
	s_branch .LBB125_21
.LBB125_19:
                                        ; implicit-def: $vgpr128
.LBB125_20:
	ds_load_b32 v128, v1
.LBB125_21:
	s_and_saveexec_b32 s66, s1
	s_cbranch_execz .LBB125_25
; %bb.22:
	v_subrev_nc_u32_e32 v129, 59, v0
	s_movk_i32 s67, 0x1ec
	s_mov_b32 s1, 0
.LBB125_23:                             ; =>This Inner Loop Header: Depth=1
	scratch_load_b32 v130, off, s64
	v_dual_mov_b32 v131, s67 :: v_dual_add_nc_u32 v129, -1, v129
	s_add_co_i32 s67, s67, 4
	s_wait_xcnt 0x0
	s_add_co_i32 s64, s64, 4
	ds_load_b32 v131, v131
	v_cmp_eq_u32_e32 vcc_lo, 0, v129
	s_or_b32 s1, vcc_lo, s1
	s_wait_loadcnt_dscnt 0x0
	v_fmac_f32_e32 v128, v130, v131
	s_and_not1_b32 exec_lo, exec_lo, s1
	s_cbranch_execnz .LBB125_23
; %bb.24:
	s_or_b32 exec_lo, exec_lo, s1
.LBB125_25:
	s_delay_alu instid0(SALU_CYCLE_1)
	s_or_b32 exec_lo, exec_lo, s66
	v_mov_b32_e32 v129, 0
	ds_load_b32 v129, v129 offset:232
	s_wait_dscnt 0x0
	v_mul_f32_e32 v128, v128, v129
	scratch_store_b32 off, v128, off offset:232
.LBB125_26:
	s_wait_xcnt 0x0
	s_or_b32 exec_lo, exec_lo, s65
	scratch_load_b32 v128, off, off offset:228
	v_cmp_lt_u32_e64 s1, 57, v0
	s_wait_loadcnt 0x0
	ds_store_b32 v1, v128
	s_wait_storecnt_dscnt 0x0
	s_barrier_signal -1
	s_barrier_wait -1
	s_wait_xcnt 0x0
	s_and_saveexec_b32 s64, s1
	s_cbranch_execz .LBB125_36
; %bb.27:
	s_and_not1_b32 vcc_lo, exec_lo, s3
	s_cbranch_vccnz .LBB125_29
; %bb.28:
	scratch_load_b32 v128, v7, off
	ds_load_b32 v129, v1
	s_wait_loadcnt_dscnt 0x0
	v_mul_f32_e32 v128, v128, v129
	s_cbranch_execz .LBB125_30
	s_branch .LBB125_31
.LBB125_29:
                                        ; implicit-def: $vgpr128
.LBB125_30:
	ds_load_b32 v128, v1
.LBB125_31:
	s_and_saveexec_b32 s65, s0
	s_cbranch_execz .LBB125_35
; %bb.32:
	v_subrev_nc_u32_e32 v129, 58, v0
	s_movk_i32 s66, 0x1e8
	s_mov_b32 s0, 0
.LBB125_33:                             ; =>This Inner Loop Header: Depth=1
	scratch_load_b32 v130, off, s63
	v_dual_mov_b32 v131, s66 :: v_dual_add_nc_u32 v129, -1, v129
	s_add_co_i32 s66, s66, 4
	s_wait_xcnt 0x0
	s_add_co_i32 s63, s63, 4
	ds_load_b32 v131, v131
	v_cmp_eq_u32_e32 vcc_lo, 0, v129
	s_or_b32 s0, vcc_lo, s0
	s_wait_loadcnt_dscnt 0x0
	v_fmac_f32_e32 v128, v130, v131
	s_and_not1_b32 exec_lo, exec_lo, s0
	s_cbranch_execnz .LBB125_33
; %bb.34:
	s_or_b32 exec_lo, exec_lo, s0
.LBB125_35:
	s_delay_alu instid0(SALU_CYCLE_1)
	s_or_b32 exec_lo, exec_lo, s65
	v_mov_b32_e32 v129, 0
	ds_load_b32 v129, v129 offset:228
	s_wait_dscnt 0x0
	v_mul_f32_e32 v128, v128, v129
	scratch_store_b32 off, v128, off offset:228
.LBB125_36:
	;; [unrolled: 57-line block ×8, first 2 shown]
	s_wait_xcnt 0x0
	s_or_b32 exec_lo, exec_lo, s58
	scratch_load_b32 v128, off, off offset:200
	v_cmp_lt_u32_e64 s0, 50, v0
	s_wait_loadcnt 0x0
	ds_store_b32 v1, v128
	s_wait_storecnt_dscnt 0x0
	s_barrier_signal -1
	s_barrier_wait -1
	s_wait_xcnt 0x0
	s_and_saveexec_b32 s57, s0
	s_cbranch_execz .LBB125_106
; %bb.97:
	s_and_not1_b32 vcc_lo, exec_lo, s3
	s_cbranch_vccnz .LBB125_99
; %bb.98:
	scratch_load_b32 v128, v7, off
	ds_load_b32 v129, v1
	s_wait_loadcnt_dscnt 0x0
	v_mul_f32_e32 v128, v128, v129
	s_cbranch_execz .LBB125_100
	s_branch .LBB125_101
.LBB125_99:
                                        ; implicit-def: $vgpr128
.LBB125_100:
	ds_load_b32 v128, v1
.LBB125_101:
	s_and_saveexec_b32 s58, s1
	s_cbranch_execz .LBB125_105
; %bb.102:
	v_subrev_nc_u32_e32 v129, 51, v0
	s_movk_i32 s59, 0x1cc
	s_mov_b32 s1, 0
.LBB125_103:                            ; =>This Inner Loop Header: Depth=1
	scratch_load_b32 v130, off, s56
	v_dual_mov_b32 v131, s59 :: v_dual_add_nc_u32 v129, -1, v129
	s_add_co_i32 s59, s59, 4
	s_wait_xcnt 0x0
	s_add_co_i32 s56, s56, 4
	ds_load_b32 v131, v131
	v_cmp_eq_u32_e32 vcc_lo, 0, v129
	s_or_b32 s1, vcc_lo, s1
	s_wait_loadcnt_dscnt 0x0
	v_fmac_f32_e32 v128, v130, v131
	s_and_not1_b32 exec_lo, exec_lo, s1
	s_cbranch_execnz .LBB125_103
; %bb.104:
	s_or_b32 exec_lo, exec_lo, s1
.LBB125_105:
	s_delay_alu instid0(SALU_CYCLE_1)
	s_or_b32 exec_lo, exec_lo, s58
	v_mov_b32_e32 v129, 0
	ds_load_b32 v129, v129 offset:200
	s_wait_dscnt 0x0
	v_mul_f32_e32 v128, v128, v129
	scratch_store_b32 off, v128, off offset:200
.LBB125_106:
	s_wait_xcnt 0x0
	s_or_b32 exec_lo, exec_lo, s57
	scratch_load_b32 v128, off, off offset:196
	v_cmp_lt_u32_e64 s1, 49, v0
	s_wait_loadcnt 0x0
	ds_store_b32 v1, v128
	s_wait_storecnt_dscnt 0x0
	s_barrier_signal -1
	s_barrier_wait -1
	s_wait_xcnt 0x0
	s_and_saveexec_b32 s56, s1
	s_cbranch_execz .LBB125_116
; %bb.107:
	s_and_not1_b32 vcc_lo, exec_lo, s3
	s_cbranch_vccnz .LBB125_109
; %bb.108:
	scratch_load_b32 v128, v7, off
	ds_load_b32 v129, v1
	s_wait_loadcnt_dscnt 0x0
	v_mul_f32_e32 v128, v128, v129
	s_cbranch_execz .LBB125_110
	s_branch .LBB125_111
.LBB125_109:
                                        ; implicit-def: $vgpr128
.LBB125_110:
	ds_load_b32 v128, v1
.LBB125_111:
	s_and_saveexec_b32 s57, s0
	s_cbranch_execz .LBB125_115
; %bb.112:
	v_subrev_nc_u32_e32 v129, 50, v0
	s_movk_i32 s58, 0x1c8
	s_mov_b32 s0, 0
.LBB125_113:                            ; =>This Inner Loop Header: Depth=1
	scratch_load_b32 v130, off, s55
	v_dual_mov_b32 v131, s58 :: v_dual_add_nc_u32 v129, -1, v129
	s_add_co_i32 s58, s58, 4
	s_wait_xcnt 0x0
	s_add_co_i32 s55, s55, 4
	ds_load_b32 v131, v131
	v_cmp_eq_u32_e32 vcc_lo, 0, v129
	s_or_b32 s0, vcc_lo, s0
	s_wait_loadcnt_dscnt 0x0
	v_fmac_f32_e32 v128, v130, v131
	s_and_not1_b32 exec_lo, exec_lo, s0
	s_cbranch_execnz .LBB125_113
; %bb.114:
	s_or_b32 exec_lo, exec_lo, s0
.LBB125_115:
	s_delay_alu instid0(SALU_CYCLE_1)
	s_or_b32 exec_lo, exec_lo, s57
	v_mov_b32_e32 v129, 0
	ds_load_b32 v129, v129 offset:196
	s_wait_dscnt 0x0
	v_mul_f32_e32 v128, v128, v129
	scratch_store_b32 off, v128, off offset:196
.LBB125_116:
	;; [unrolled: 57-line block ×35, first 2 shown]
	s_wait_xcnt 0x0
	s_or_b32 exec_lo, exec_lo, s22
	scratch_load_b32 v128, off, off offset:60
	v_cmp_lt_u32_e64 s1, 15, v0
	s_wait_loadcnt 0x0
	ds_store_b32 v1, v128
	s_wait_storecnt_dscnt 0x0
	s_barrier_signal -1
	s_barrier_wait -1
	s_wait_xcnt 0x0
	s_and_saveexec_b32 s21, s1
	s_cbranch_execz .LBB125_456
; %bb.447:
	s_and_not1_b32 vcc_lo, exec_lo, s3
	s_cbranch_vccnz .LBB125_449
; %bb.448:
	scratch_load_b32 v128, v7, off
	ds_load_b32 v129, v1
	s_wait_loadcnt_dscnt 0x0
	v_mul_f32_e32 v128, v128, v129
	s_cbranch_execz .LBB125_450
	s_branch .LBB125_451
.LBB125_449:
                                        ; implicit-def: $vgpr128
.LBB125_450:
	ds_load_b32 v128, v1
.LBB125_451:
	s_and_saveexec_b32 s22, s0
	s_cbranch_execz .LBB125_455
; %bb.452:
	v_add_nc_u32_e32 v129, -16, v0
	s_movk_i32 s23, 0x140
	s_mov_b32 s0, 0
.LBB125_453:                            ; =>This Inner Loop Header: Depth=1
	scratch_load_b32 v130, off, s20
	v_dual_mov_b32 v131, s23 :: v_dual_add_nc_u32 v129, -1, v129
	s_add_co_i32 s23, s23, 4
	s_wait_xcnt 0x0
	s_add_co_i32 s20, s20, 4
	ds_load_b32 v131, v131
	v_cmp_eq_u32_e32 vcc_lo, 0, v129
	s_or_b32 s0, vcc_lo, s0
	s_wait_loadcnt_dscnt 0x0
	v_fmac_f32_e32 v128, v130, v131
	s_and_not1_b32 exec_lo, exec_lo, s0
	s_cbranch_execnz .LBB125_453
; %bb.454:
	s_or_b32 exec_lo, exec_lo, s0
.LBB125_455:
	s_delay_alu instid0(SALU_CYCLE_1)
	s_or_b32 exec_lo, exec_lo, s22
	v_mov_b32_e32 v129, 0
	ds_load_b32 v129, v129 offset:60
	s_wait_dscnt 0x0
	v_mul_f32_e32 v128, v128, v129
	scratch_store_b32 off, v128, off offset:60
.LBB125_456:
	s_wait_xcnt 0x0
	s_or_b32 exec_lo, exec_lo, s21
	scratch_load_b32 v128, off, off offset:56
	v_cmp_lt_u32_e64 s0, 14, v0
	s_wait_loadcnt 0x0
	ds_store_b32 v1, v128
	s_wait_storecnt_dscnt 0x0
	s_barrier_signal -1
	s_barrier_wait -1
	s_wait_xcnt 0x0
	s_and_saveexec_b32 s20, s0
	s_cbranch_execz .LBB125_466
; %bb.457:
	s_and_not1_b32 vcc_lo, exec_lo, s3
	s_cbranch_vccnz .LBB125_459
; %bb.458:
	scratch_load_b32 v128, v7, off
	ds_load_b32 v129, v1
	s_wait_loadcnt_dscnt 0x0
	v_mul_f32_e32 v128, v128, v129
	s_cbranch_execz .LBB125_460
	s_branch .LBB125_461
.LBB125_459:
                                        ; implicit-def: $vgpr128
.LBB125_460:
	ds_load_b32 v128, v1
.LBB125_461:
	s_and_saveexec_b32 s21, s1
	s_cbranch_execz .LBB125_465
; %bb.462:
	v_add_nc_u32_e32 v129, -15, v0
	s_movk_i32 s22, 0x13c
	s_mov_b32 s1, 0
.LBB125_463:                            ; =>This Inner Loop Header: Depth=1
	scratch_load_b32 v130, off, s19
	v_dual_mov_b32 v131, s22 :: v_dual_add_nc_u32 v129, -1, v129
	s_add_co_i32 s22, s22, 4
	s_wait_xcnt 0x0
	s_add_co_i32 s19, s19, 4
	ds_load_b32 v131, v131
	v_cmp_eq_u32_e32 vcc_lo, 0, v129
	s_or_b32 s1, vcc_lo, s1
	s_wait_loadcnt_dscnt 0x0
	v_fmac_f32_e32 v128, v130, v131
	s_and_not1_b32 exec_lo, exec_lo, s1
	s_cbranch_execnz .LBB125_463
; %bb.464:
	s_or_b32 exec_lo, exec_lo, s1
.LBB125_465:
	s_delay_alu instid0(SALU_CYCLE_1)
	s_or_b32 exec_lo, exec_lo, s21
	v_mov_b32_e32 v129, 0
	ds_load_b32 v129, v129 offset:56
	s_wait_dscnt 0x0
	v_mul_f32_e32 v128, v128, v129
	scratch_store_b32 off, v128, off offset:56
.LBB125_466:
	;; [unrolled: 57-line block ×15, first 2 shown]
	s_wait_xcnt 0x0
	s_or_b32 exec_lo, exec_lo, s1
	scratch_load_b32 v128, off, off
	s_mov_b32 s2, 0
	s_mov_b32 s1, exec_lo
	s_wait_loadcnt 0x0
	ds_store_b32 v1, v128
	s_wait_storecnt_dscnt 0x0
	s_barrier_signal -1
	s_barrier_wait -1
	s_wait_xcnt 0x0
	v_cmpx_ne_u32_e32 0, v0
	s_cbranch_execz .LBB125_606
; %bb.597:
	s_and_not1_b32 vcc_lo, exec_lo, s3
	s_cbranch_vccnz .LBB125_599
; %bb.598:
	scratch_load_b32 v128, v7, off
	ds_load_b32 v129, v1
	s_wait_loadcnt_dscnt 0x0
	v_mul_f32_e32 v128, v128, v129
	s_cbranch_execz .LBB125_600
	s_branch .LBB125_601
.LBB125_599:
                                        ; implicit-def: $vgpr128
.LBB125_600:
	ds_load_b32 v128, v1
.LBB125_601:
	s_and_saveexec_b32 s5, s0
	s_cbranch_execz .LBB125_605
; %bb.602:
	v_add_nc_u32_e32 v129, -1, v0
	s_movk_i32 s8, 0x104
	s_mov_b32 s0, 0
.LBB125_603:                            ; =>This Inner Loop Header: Depth=1
	scratch_load_b32 v130, off, s4
	v_dual_mov_b32 v131, s8 :: v_dual_add_nc_u32 v129, -1, v129
	s_add_co_i32 s8, s8, 4
	s_wait_xcnt 0x0
	s_add_co_i32 s4, s4, 4
	ds_load_b32 v131, v131
	v_cmp_eq_u32_e32 vcc_lo, 0, v129
	s_or_b32 s0, vcc_lo, s0
	s_wait_loadcnt_dscnt 0x0
	v_fmac_f32_e32 v128, v130, v131
	s_and_not1_b32 exec_lo, exec_lo, s0
	s_cbranch_execnz .LBB125_603
; %bb.604:
	s_or_b32 exec_lo, exec_lo, s0
.LBB125_605:
	s_delay_alu instid0(SALU_CYCLE_1)
	s_or_b32 exec_lo, exec_lo, s5
	v_mov_b32_e32 v129, 0
	ds_load_b32 v129, v129
	s_wait_dscnt 0x0
	v_mul_f32_e32 v128, v128, v129
	scratch_store_b32 off, v128, off
.LBB125_606:
	s_wait_xcnt 0x0
	s_or_b32 exec_lo, exec_lo, s1
.LBB125_607:
	v_lshl_add_u64 v[186:187], v[8:9], 2, s[6:7]
	v_lshl_add_u64 v[184:185], v[10:11], 2, s[6:7]
	;; [unrolled: 1-line block ×60, first 2 shown]
	s_and_b32 vcc_lo, exec_lo, s2
	s_cbranch_vccz .LBB125_1209
; %bb.608:
	scratch_load_b32 v68, off, off offset:4
	v_cmp_eq_u32_e64 s0, 0, v0
	s_wait_loadcnt 0x0
	ds_store_b32 v1, v68
	s_wait_storecnt_dscnt 0x0
	s_barrier_signal -1
	s_barrier_wait -1
	s_wait_xcnt 0x0
	s_and_saveexec_b32 s1, s0
	s_cbranch_execz .LBB125_614
; %bb.609:
	s_and_b32 vcc_lo, exec_lo, s3
	s_cbranch_vccz .LBB125_611
; %bb.610:
	scratch_load_b32 v68, v7, off
	ds_load_b32 v69, v1
	s_wait_loadcnt_dscnt 0x0
	v_mul_f32_e32 v68, v68, v69
	s_cbranch_execz .LBB125_612
	s_branch .LBB125_613
.LBB125_611:
                                        ; implicit-def: $vgpr68
.LBB125_612:
	ds_load_b32 v68, v1
.LBB125_613:
	v_mov_b32_e32 v69, 0
	ds_load_b32 v69, v69 offset:4
	s_wait_dscnt 0x0
	v_mul_f32_e32 v68, v68, v69
	scratch_store_b32 off, v68, off offset:4
.LBB125_614:
	s_wait_xcnt 0x0
	s_or_b32 exec_lo, exec_lo, s1
	scratch_load_b32 v69, off, off offset:8
	v_cndmask_b32_e64 v68, 0, 1, s3
	s_mov_b32 s1, exec_lo
	s_wait_loadcnt 0x0
	ds_store_b32 v1, v69
	s_wait_storecnt_dscnt 0x0
	s_barrier_signal -1
	s_barrier_wait -1
	s_wait_xcnt 0x0
	v_cmpx_gt_u32_e32 2, v0
	s_cbranch_execz .LBB125_620
; %bb.615:
	s_and_not1_b32 vcc_lo, exec_lo, s3
	s_cbranch_vccnz .LBB125_617
; %bb.616:
	scratch_load_b32 v69, v7, off
	ds_load_b32 v70, v1
	s_wait_loadcnt_dscnt 0x0
	v_mul_f32_e32 v69, v69, v70
	s_cbranch_execz .LBB125_618
	s_branch .LBB125_619
.LBB125_617:
                                        ; implicit-def: $vgpr69
.LBB125_618:
	ds_load_b32 v69, v1
.LBB125_619:
	scratch_load_b32 v72, off, off offset:4
	v_mov_b32_e32 v70, 0
	ds_load_2addr_b32 v[70:71], v70 offset0:2 offset1:65
	s_wait_loadcnt_dscnt 0x0
	v_fma_f32 v71, v72, v71, v69
	s_delay_alu instid0(VALU_DEP_1) | instskip(NEXT) | instid1(VALU_DEP_1)
	v_cndmask_b32_e64 v69, v69, v71, s0
	v_mul_f32_e32 v69, v69, v70
	scratch_store_b32 off, v69, off offset:8
.LBB125_620:
	s_wait_xcnt 0x0
	s_or_b32 exec_lo, exec_lo, s1
	scratch_load_b32 v69, off, off offset:12
	s_mov_b32 s1, exec_lo
	s_wait_loadcnt 0x0
	ds_store_b32 v1, v69
	s_wait_storecnt_dscnt 0x0
	s_barrier_signal -1
	s_barrier_wait -1
	s_wait_xcnt 0x0
	v_cmpx_gt_u32_e32 3, v0
	s_cbranch_execz .LBB125_628
; %bb.621:
	v_cmp_ne_u32_e32 vcc_lo, 1, v68
	s_cbranch_vccnz .LBB125_623
; %bb.622:
	scratch_load_b32 v69, v7, off
	ds_load_b32 v70, v1
	s_wait_loadcnt_dscnt 0x0
	v_mul_f32_e32 v69, v69, v70
	s_cbranch_execz .LBB125_624
	s_branch .LBB125_625
.LBB125_623:
                                        ; implicit-def: $vgpr69
.LBB125_624:
	ds_load_b32 v69, v1
.LBB125_625:
	s_mov_b32 s2, exec_lo
	v_cmpx_ne_u32_e32 2, v0
	s_cbranch_execz .LBB125_627
; %bb.626:
	scratch_load_b32 v70, v7, off offset:4
	scratch_load_b32 v71, off, off offset:8
	ds_load_b32 v72, v1 offset:4
	v_mov_b32_e32 v73, 0
	ds_load_b32 v73, v73 offset:264
	s_wait_loadcnt_dscnt 0x101
	v_fmac_f32_e32 v69, v70, v72
	s_wait_loadcnt_dscnt 0x0
	s_delay_alu instid0(VALU_DEP_1) | instskip(NEXT) | instid1(VALU_DEP_1)
	v_fma_f32 v70, v71, v73, v69
	v_cndmask_b32_e64 v69, v69, v70, s0
.LBB125_627:
	s_or_b32 exec_lo, exec_lo, s2
	v_mov_b32_e32 v70, 0
	ds_load_b32 v70, v70 offset:12
	s_wait_dscnt 0x0
	v_mul_f32_e32 v69, v69, v70
	scratch_store_b32 off, v69, off offset:12
.LBB125_628:
	s_wait_xcnt 0x0
	s_or_b32 exec_lo, exec_lo, s1
	scratch_load_b32 v69, off, off offset:16
	s_mov_b32 s0, exec_lo
	s_wait_loadcnt 0x0
	ds_store_b32 v1, v69
	s_wait_storecnt_dscnt 0x0
	s_barrier_signal -1
	s_barrier_wait -1
	s_wait_xcnt 0x0
	v_cmpx_gt_u32_e32 4, v0
	s_cbranch_execz .LBB125_638
; %bb.629:
	v_cmp_ne_u32_e32 vcc_lo, 1, v68
	s_cbranch_vccnz .LBB125_631
; %bb.630:
	scratch_load_b32 v69, v7, off
	ds_load_b32 v70, v1
	s_wait_loadcnt_dscnt 0x0
	v_mul_f32_e32 v69, v69, v70
	s_cbranch_execz .LBB125_632
	s_branch .LBB125_633
.LBB125_631:
                                        ; implicit-def: $vgpr69
.LBB125_632:
	ds_load_b32 v69, v1
.LBB125_633:
	s_mov_b32 s1, exec_lo
	v_cmpx_ne_u32_e32 3, v0
	s_cbranch_execz .LBB125_637
; %bb.634:
	v_add_nc_u32_e32 v70, 0x104, v6
	v_add3_u32 v71, 0, v6, 4
	v_mov_b32_e32 v72, v0
	s_mov_b32 s2, 0
.LBB125_635:                            ; =>This Inner Loop Header: Depth=1
	scratch_load_b32 v73, v71, off
	ds_load_b32 v74, v70
	v_dual_add_nc_u32 v72, 1, v72 :: v_dual_add_nc_u32 v70, 4, v70
	s_wait_xcnt 0x0
	v_add_nc_u32_e32 v71, 4, v71
	s_delay_alu instid0(VALU_DEP_2)
	v_cmp_lt_u32_e32 vcc_lo, 2, v72
	s_or_b32 s2, vcc_lo, s2
	s_wait_loadcnt_dscnt 0x0
	v_fmac_f32_e32 v69, v73, v74
	s_and_not1_b32 exec_lo, exec_lo, s2
	s_cbranch_execnz .LBB125_635
; %bb.636:
	s_or_b32 exec_lo, exec_lo, s2
.LBB125_637:
	s_delay_alu instid0(SALU_CYCLE_1)
	s_or_b32 exec_lo, exec_lo, s1
	v_mov_b32_e32 v70, 0
	ds_load_b32 v70, v70 offset:16
	s_wait_dscnt 0x0
	v_mul_f32_e32 v69, v69, v70
	scratch_store_b32 off, v69, off offset:16
.LBB125_638:
	s_wait_xcnt 0x0
	s_or_b32 exec_lo, exec_lo, s0
	scratch_load_b32 v69, off, off offset:20
	s_mov_b32 s0, exec_lo
	s_wait_loadcnt 0x0
	ds_store_b32 v1, v69
	s_wait_storecnt_dscnt 0x0
	s_barrier_signal -1
	s_barrier_wait -1
	s_wait_xcnt 0x0
	v_cmpx_gt_u32_e32 5, v0
	s_cbranch_execz .LBB125_648
; %bb.639:
	v_cmp_ne_u32_e32 vcc_lo, 1, v68
	s_cbranch_vccnz .LBB125_641
; %bb.640:
	scratch_load_b32 v69, v7, off
	ds_load_b32 v70, v1
	s_wait_loadcnt_dscnt 0x0
	v_mul_f32_e32 v69, v69, v70
	s_cbranch_execz .LBB125_642
	s_branch .LBB125_643
.LBB125_641:
                                        ; implicit-def: $vgpr69
.LBB125_642:
	ds_load_b32 v69, v1
.LBB125_643:
	s_mov_b32 s1, exec_lo
	v_cmpx_ne_u32_e32 4, v0
	s_cbranch_execz .LBB125_647
; %bb.644:
	v_add_nc_u32_e32 v70, 0x104, v6
	v_add3_u32 v71, 0, v6, 4
	v_mov_b32_e32 v72, v0
	s_mov_b32 s2, 0
.LBB125_645:                            ; =>This Inner Loop Header: Depth=1
	scratch_load_b32 v73, v71, off
	ds_load_b32 v74, v70
	v_dual_add_nc_u32 v72, 1, v72 :: v_dual_add_nc_u32 v70, 4, v70
	s_wait_xcnt 0x0
	v_add_nc_u32_e32 v71, 4, v71
	s_delay_alu instid0(VALU_DEP_2)
	v_cmp_lt_u32_e32 vcc_lo, 3, v72
	s_or_b32 s2, vcc_lo, s2
	s_wait_loadcnt_dscnt 0x0
	v_fmac_f32_e32 v69, v73, v74
	s_and_not1_b32 exec_lo, exec_lo, s2
	s_cbranch_execnz .LBB125_645
; %bb.646:
	s_or_b32 exec_lo, exec_lo, s2
.LBB125_647:
	s_delay_alu instid0(SALU_CYCLE_1)
	s_or_b32 exec_lo, exec_lo, s1
	v_mov_b32_e32 v70, 0
	ds_load_b32 v70, v70 offset:20
	s_wait_dscnt 0x0
	v_mul_f32_e32 v69, v69, v70
	scratch_store_b32 off, v69, off offset:20
.LBB125_648:
	;; [unrolled: 59-line block ×37, first 2 shown]
	s_wait_xcnt 0x0
	s_or_b32 exec_lo, exec_lo, s0
	scratch_load_b32 v69, off, off offset:164
	s_mov_b32 s0, exec_lo
	s_wait_loadcnt 0x0
	ds_store_b32 v1, v69
	s_wait_storecnt_dscnt 0x0
	s_barrier_signal -1
	s_barrier_wait -1
	s_wait_xcnt 0x0
	v_cmpx_gt_u32_e32 41, v0
	s_cbranch_execz .LBB125_1008
; %bb.999:
	v_cmp_ne_u32_e32 vcc_lo, 1, v68
	s_cbranch_vccnz .LBB125_1001
; %bb.1000:
	scratch_load_b32 v69, v7, off
	ds_load_b32 v70, v1
	s_wait_loadcnt_dscnt 0x0
	v_mul_f32_e32 v69, v69, v70
	s_cbranch_execz .LBB125_1002
	s_branch .LBB125_1003
.LBB125_1001:
                                        ; implicit-def: $vgpr69
.LBB125_1002:
	ds_load_b32 v69, v1
.LBB125_1003:
	s_mov_b32 s1, exec_lo
	v_cmpx_ne_u32_e32 40, v0
	s_cbranch_execz .LBB125_1007
; %bb.1004:
	v_add_nc_u32_e32 v70, 0x104, v6
	v_add3_u32 v71, 0, v6, 4
	v_mov_b32_e32 v72, v0
	s_mov_b32 s2, 0
.LBB125_1005:                           ; =>This Inner Loop Header: Depth=1
	scratch_load_b32 v73, v71, off
	ds_load_b32 v74, v70
	v_dual_add_nc_u32 v72, 1, v72 :: v_dual_add_nc_u32 v70, 4, v70
	s_wait_xcnt 0x0
	v_add_nc_u32_e32 v71, 4, v71
	s_delay_alu instid0(VALU_DEP_2)
	v_cmp_lt_u32_e32 vcc_lo, 39, v72
	s_or_b32 s2, vcc_lo, s2
	s_wait_loadcnt_dscnt 0x0
	v_fmac_f32_e32 v69, v73, v74
	s_and_not1_b32 exec_lo, exec_lo, s2
	s_cbranch_execnz .LBB125_1005
; %bb.1006:
	s_or_b32 exec_lo, exec_lo, s2
.LBB125_1007:
	s_delay_alu instid0(SALU_CYCLE_1)
	s_or_b32 exec_lo, exec_lo, s1
	v_mov_b32_e32 v70, 0
	ds_load_b32 v70, v70 offset:164
	s_wait_dscnt 0x0
	v_mul_f32_e32 v69, v69, v70
	scratch_store_b32 off, v69, off offset:164
.LBB125_1008:
	s_wait_xcnt 0x0
	s_or_b32 exec_lo, exec_lo, s0
	scratch_load_b32 v69, off, off offset:168
	s_mov_b32 s0, exec_lo
	s_wait_loadcnt 0x0
	ds_store_b32 v1, v69
	s_wait_storecnt_dscnt 0x0
	s_barrier_signal -1
	s_barrier_wait -1
	s_wait_xcnt 0x0
	v_cmpx_gt_u32_e32 42, v0
	s_cbranch_execz .LBB125_1018
; %bb.1009:
	v_cmp_ne_u32_e32 vcc_lo, 1, v68
	s_cbranch_vccnz .LBB125_1011
; %bb.1010:
	scratch_load_b32 v69, v7, off
	ds_load_b32 v70, v1
	s_wait_loadcnt_dscnt 0x0
	v_mul_f32_e32 v69, v69, v70
	s_cbranch_execz .LBB125_1012
	s_branch .LBB125_1013
.LBB125_1011:
                                        ; implicit-def: $vgpr69
.LBB125_1012:
	ds_load_b32 v69, v1
.LBB125_1013:
	s_mov_b32 s1, exec_lo
	v_cmpx_ne_u32_e32 41, v0
	s_cbranch_execz .LBB125_1017
; %bb.1014:
	v_add_nc_u32_e32 v70, 0x104, v6
	v_add3_u32 v71, 0, v6, 4
	v_mov_b32_e32 v72, v0
	s_mov_b32 s2, 0
.LBB125_1015:                           ; =>This Inner Loop Header: Depth=1
	scratch_load_b32 v73, v71, off
	ds_load_b32 v74, v70
	v_dual_add_nc_u32 v72, 1, v72 :: v_dual_add_nc_u32 v70, 4, v70
	s_wait_xcnt 0x0
	v_add_nc_u32_e32 v71, 4, v71
	s_delay_alu instid0(VALU_DEP_2)
	v_cmp_lt_u32_e32 vcc_lo, 40, v72
	s_or_b32 s2, vcc_lo, s2
	s_wait_loadcnt_dscnt 0x0
	v_fmac_f32_e32 v69, v73, v74
	s_and_not1_b32 exec_lo, exec_lo, s2
	s_cbranch_execnz .LBB125_1015
; %bb.1016:
	s_or_b32 exec_lo, exec_lo, s2
.LBB125_1017:
	s_delay_alu instid0(SALU_CYCLE_1)
	s_or_b32 exec_lo, exec_lo, s1
	v_mov_b32_e32 v70, 0
	ds_load_b32 v70, v70 offset:168
	s_wait_dscnt 0x0
	v_mul_f32_e32 v69, v69, v70
	scratch_store_b32 off, v69, off offset:168
.LBB125_1018:
	s_wait_xcnt 0x0
	s_or_b32 exec_lo, exec_lo, s0
	scratch_load_b32 v69, off, off offset:172
	s_mov_b32 s0, exec_lo
	s_wait_loadcnt 0x0
	ds_store_b32 v1, v69
	s_wait_storecnt_dscnt 0x0
	s_barrier_signal -1
	s_barrier_wait -1
	s_wait_xcnt 0x0
	v_cmpx_gt_u32_e32 43, v0
	s_cbranch_execz .LBB125_1028
; %bb.1019:
	v_cmp_ne_u32_e32 vcc_lo, 1, v68
	s_cbranch_vccnz .LBB125_1021
; %bb.1020:
	scratch_load_b32 v69, v7, off
	ds_load_b32 v70, v1
	s_wait_loadcnt_dscnt 0x0
	v_mul_f32_e32 v69, v69, v70
	s_cbranch_execz .LBB125_1022
	s_branch .LBB125_1023
.LBB125_1021:
                                        ; implicit-def: $vgpr69
.LBB125_1022:
	ds_load_b32 v69, v1
.LBB125_1023:
	s_mov_b32 s1, exec_lo
	v_cmpx_ne_u32_e32 42, v0
	s_cbranch_execz .LBB125_1027
; %bb.1024:
	v_add_nc_u32_e32 v70, 0x104, v6
	v_add3_u32 v71, 0, v6, 4
	v_mov_b32_e32 v72, v0
	s_mov_b32 s2, 0
.LBB125_1025:                           ; =>This Inner Loop Header: Depth=1
	scratch_load_b32 v73, v71, off
	ds_load_b32 v74, v70
	v_dual_add_nc_u32 v72, 1, v72 :: v_dual_add_nc_u32 v70, 4, v70
	s_wait_xcnt 0x0
	v_add_nc_u32_e32 v71, 4, v71
	s_delay_alu instid0(VALU_DEP_2)
	v_cmp_lt_u32_e32 vcc_lo, 41, v72
	s_or_b32 s2, vcc_lo, s2
	s_wait_loadcnt_dscnt 0x0
	v_fmac_f32_e32 v69, v73, v74
	s_and_not1_b32 exec_lo, exec_lo, s2
	s_cbranch_execnz .LBB125_1025
; %bb.1026:
	s_or_b32 exec_lo, exec_lo, s2
.LBB125_1027:
	s_delay_alu instid0(SALU_CYCLE_1)
	s_or_b32 exec_lo, exec_lo, s1
	v_mov_b32_e32 v70, 0
	ds_load_b32 v70, v70 offset:172
	s_wait_dscnt 0x0
	v_mul_f32_e32 v69, v69, v70
	scratch_store_b32 off, v69, off offset:172
.LBB125_1028:
	s_wait_xcnt 0x0
	s_or_b32 exec_lo, exec_lo, s0
	scratch_load_b32 v69, off, off offset:176
	s_mov_b32 s0, exec_lo
	s_wait_loadcnt 0x0
	ds_store_b32 v1, v69
	s_wait_storecnt_dscnt 0x0
	s_barrier_signal -1
	s_barrier_wait -1
	s_wait_xcnt 0x0
	v_cmpx_gt_u32_e32 44, v0
	s_cbranch_execz .LBB125_1038
; %bb.1029:
	v_cmp_ne_u32_e32 vcc_lo, 1, v68
	s_cbranch_vccnz .LBB125_1031
; %bb.1030:
	scratch_load_b32 v69, v7, off
	ds_load_b32 v70, v1
	s_wait_loadcnt_dscnt 0x0
	v_mul_f32_e32 v69, v69, v70
	s_cbranch_execz .LBB125_1032
	s_branch .LBB125_1033
.LBB125_1031:
                                        ; implicit-def: $vgpr69
.LBB125_1032:
	ds_load_b32 v69, v1
.LBB125_1033:
	s_mov_b32 s1, exec_lo
	v_cmpx_ne_u32_e32 43, v0
	s_cbranch_execz .LBB125_1037
; %bb.1034:
	v_add_nc_u32_e32 v70, 0x104, v6
	v_add3_u32 v71, 0, v6, 4
	v_mov_b32_e32 v72, v0
	s_mov_b32 s2, 0
.LBB125_1035:                           ; =>This Inner Loop Header: Depth=1
	scratch_load_b32 v73, v71, off
	ds_load_b32 v74, v70
	v_dual_add_nc_u32 v72, 1, v72 :: v_dual_add_nc_u32 v70, 4, v70
	s_wait_xcnt 0x0
	v_add_nc_u32_e32 v71, 4, v71
	s_delay_alu instid0(VALU_DEP_2)
	v_cmp_lt_u32_e32 vcc_lo, 42, v72
	s_or_b32 s2, vcc_lo, s2
	s_wait_loadcnt_dscnt 0x0
	v_fmac_f32_e32 v69, v73, v74
	s_and_not1_b32 exec_lo, exec_lo, s2
	s_cbranch_execnz .LBB125_1035
; %bb.1036:
	s_or_b32 exec_lo, exec_lo, s2
.LBB125_1037:
	s_delay_alu instid0(SALU_CYCLE_1)
	s_or_b32 exec_lo, exec_lo, s1
	v_mov_b32_e32 v70, 0
	ds_load_b32 v70, v70 offset:176
	s_wait_dscnt 0x0
	v_mul_f32_e32 v69, v69, v70
	scratch_store_b32 off, v69, off offset:176
.LBB125_1038:
	s_wait_xcnt 0x0
	s_or_b32 exec_lo, exec_lo, s0
	scratch_load_b32 v69, off, off offset:180
	s_mov_b32 s0, exec_lo
	s_wait_loadcnt 0x0
	ds_store_b32 v1, v69
	s_wait_storecnt_dscnt 0x0
	s_barrier_signal -1
	s_barrier_wait -1
	s_wait_xcnt 0x0
	v_cmpx_gt_u32_e32 45, v0
	s_cbranch_execz .LBB125_1048
; %bb.1039:
	v_cmp_ne_u32_e32 vcc_lo, 1, v68
	s_cbranch_vccnz .LBB125_1041
; %bb.1040:
	scratch_load_b32 v69, v7, off
	ds_load_b32 v70, v1
	s_wait_loadcnt_dscnt 0x0
	v_mul_f32_e32 v69, v69, v70
	s_cbranch_execz .LBB125_1042
	s_branch .LBB125_1043
.LBB125_1041:
                                        ; implicit-def: $vgpr69
.LBB125_1042:
	ds_load_b32 v69, v1
.LBB125_1043:
	s_mov_b32 s1, exec_lo
	v_cmpx_ne_u32_e32 44, v0
	s_cbranch_execz .LBB125_1047
; %bb.1044:
	v_add_nc_u32_e32 v70, 0x104, v6
	v_add3_u32 v71, 0, v6, 4
	v_mov_b32_e32 v72, v0
	s_mov_b32 s2, 0
.LBB125_1045:                           ; =>This Inner Loop Header: Depth=1
	scratch_load_b32 v73, v71, off
	ds_load_b32 v74, v70
	v_dual_add_nc_u32 v72, 1, v72 :: v_dual_add_nc_u32 v70, 4, v70
	s_wait_xcnt 0x0
	v_add_nc_u32_e32 v71, 4, v71
	s_delay_alu instid0(VALU_DEP_2)
	v_cmp_lt_u32_e32 vcc_lo, 43, v72
	s_or_b32 s2, vcc_lo, s2
	s_wait_loadcnt_dscnt 0x0
	v_fmac_f32_e32 v69, v73, v74
	s_and_not1_b32 exec_lo, exec_lo, s2
	s_cbranch_execnz .LBB125_1045
; %bb.1046:
	s_or_b32 exec_lo, exec_lo, s2
.LBB125_1047:
	s_delay_alu instid0(SALU_CYCLE_1)
	s_or_b32 exec_lo, exec_lo, s1
	v_mov_b32_e32 v70, 0
	ds_load_b32 v70, v70 offset:180
	s_wait_dscnt 0x0
	v_mul_f32_e32 v69, v69, v70
	scratch_store_b32 off, v69, off offset:180
.LBB125_1048:
	s_wait_xcnt 0x0
	s_or_b32 exec_lo, exec_lo, s0
	scratch_load_b32 v69, off, off offset:184
	s_mov_b32 s0, exec_lo
	s_wait_loadcnt 0x0
	ds_store_b32 v1, v69
	s_wait_storecnt_dscnt 0x0
	s_barrier_signal -1
	s_barrier_wait -1
	s_wait_xcnt 0x0
	v_cmpx_gt_u32_e32 46, v0
	s_cbranch_execz .LBB125_1058
; %bb.1049:
	v_cmp_ne_u32_e32 vcc_lo, 1, v68
	s_cbranch_vccnz .LBB125_1051
; %bb.1050:
	scratch_load_b32 v69, v7, off
	ds_load_b32 v70, v1
	s_wait_loadcnt_dscnt 0x0
	v_mul_f32_e32 v69, v69, v70
	s_cbranch_execz .LBB125_1052
	s_branch .LBB125_1053
.LBB125_1051:
                                        ; implicit-def: $vgpr69
.LBB125_1052:
	ds_load_b32 v69, v1
.LBB125_1053:
	s_mov_b32 s1, exec_lo
	v_cmpx_ne_u32_e32 45, v0
	s_cbranch_execz .LBB125_1057
; %bb.1054:
	v_add_nc_u32_e32 v70, 0x104, v6
	v_add3_u32 v71, 0, v6, 4
	v_mov_b32_e32 v72, v0
	s_mov_b32 s2, 0
.LBB125_1055:                           ; =>This Inner Loop Header: Depth=1
	scratch_load_b32 v73, v71, off
	ds_load_b32 v74, v70
	v_dual_add_nc_u32 v72, 1, v72 :: v_dual_add_nc_u32 v70, 4, v70
	s_wait_xcnt 0x0
	v_add_nc_u32_e32 v71, 4, v71
	s_delay_alu instid0(VALU_DEP_2)
	v_cmp_lt_u32_e32 vcc_lo, 44, v72
	s_or_b32 s2, vcc_lo, s2
	s_wait_loadcnt_dscnt 0x0
	v_fmac_f32_e32 v69, v73, v74
	s_and_not1_b32 exec_lo, exec_lo, s2
	s_cbranch_execnz .LBB125_1055
; %bb.1056:
	s_or_b32 exec_lo, exec_lo, s2
.LBB125_1057:
	s_delay_alu instid0(SALU_CYCLE_1)
	s_or_b32 exec_lo, exec_lo, s1
	v_mov_b32_e32 v70, 0
	ds_load_b32 v70, v70 offset:184
	s_wait_dscnt 0x0
	v_mul_f32_e32 v69, v69, v70
	scratch_store_b32 off, v69, off offset:184
.LBB125_1058:
	s_wait_xcnt 0x0
	s_or_b32 exec_lo, exec_lo, s0
	scratch_load_b32 v69, off, off offset:188
	s_mov_b32 s0, exec_lo
	s_wait_loadcnt 0x0
	ds_store_b32 v1, v69
	s_wait_storecnt_dscnt 0x0
	s_barrier_signal -1
	s_barrier_wait -1
	s_wait_xcnt 0x0
	v_cmpx_gt_u32_e32 47, v0
	s_cbranch_execz .LBB125_1068
; %bb.1059:
	v_cmp_ne_u32_e32 vcc_lo, 1, v68
	s_cbranch_vccnz .LBB125_1061
; %bb.1060:
	scratch_load_b32 v69, v7, off
	ds_load_b32 v70, v1
	s_wait_loadcnt_dscnt 0x0
	v_mul_f32_e32 v69, v69, v70
	s_cbranch_execz .LBB125_1062
	s_branch .LBB125_1063
.LBB125_1061:
                                        ; implicit-def: $vgpr69
.LBB125_1062:
	ds_load_b32 v69, v1
.LBB125_1063:
	s_mov_b32 s1, exec_lo
	v_cmpx_ne_u32_e32 46, v0
	s_cbranch_execz .LBB125_1067
; %bb.1064:
	v_add_nc_u32_e32 v70, 0x104, v6
	v_add3_u32 v71, 0, v6, 4
	v_mov_b32_e32 v72, v0
	s_mov_b32 s2, 0
.LBB125_1065:                           ; =>This Inner Loop Header: Depth=1
	scratch_load_b32 v73, v71, off
	ds_load_b32 v74, v70
	v_dual_add_nc_u32 v72, 1, v72 :: v_dual_add_nc_u32 v70, 4, v70
	s_wait_xcnt 0x0
	v_add_nc_u32_e32 v71, 4, v71
	s_delay_alu instid0(VALU_DEP_2)
	v_cmp_lt_u32_e32 vcc_lo, 45, v72
	s_or_b32 s2, vcc_lo, s2
	s_wait_loadcnt_dscnt 0x0
	v_fmac_f32_e32 v69, v73, v74
	s_and_not1_b32 exec_lo, exec_lo, s2
	s_cbranch_execnz .LBB125_1065
; %bb.1066:
	s_or_b32 exec_lo, exec_lo, s2
.LBB125_1067:
	s_delay_alu instid0(SALU_CYCLE_1)
	s_or_b32 exec_lo, exec_lo, s1
	v_mov_b32_e32 v70, 0
	ds_load_b32 v70, v70 offset:188
	s_wait_dscnt 0x0
	v_mul_f32_e32 v69, v69, v70
	scratch_store_b32 off, v69, off offset:188
.LBB125_1068:
	s_wait_xcnt 0x0
	s_or_b32 exec_lo, exec_lo, s0
	scratch_load_b32 v69, off, off offset:192
	s_mov_b32 s0, exec_lo
	s_wait_loadcnt 0x0
	ds_store_b32 v1, v69
	s_wait_storecnt_dscnt 0x0
	s_barrier_signal -1
	s_barrier_wait -1
	s_wait_xcnt 0x0
	v_cmpx_gt_u32_e32 48, v0
	s_cbranch_execz .LBB125_1078
; %bb.1069:
	v_cmp_ne_u32_e32 vcc_lo, 1, v68
	s_cbranch_vccnz .LBB125_1071
; %bb.1070:
	scratch_load_b32 v69, v7, off
	ds_load_b32 v70, v1
	s_wait_loadcnt_dscnt 0x0
	v_mul_f32_e32 v69, v69, v70
	s_cbranch_execz .LBB125_1072
	s_branch .LBB125_1073
.LBB125_1071:
                                        ; implicit-def: $vgpr69
.LBB125_1072:
	ds_load_b32 v69, v1
.LBB125_1073:
	s_mov_b32 s1, exec_lo
	v_cmpx_ne_u32_e32 47, v0
	s_cbranch_execz .LBB125_1077
; %bb.1074:
	v_add_nc_u32_e32 v70, 0x104, v6
	v_add3_u32 v71, 0, v6, 4
	v_mov_b32_e32 v72, v0
	s_mov_b32 s2, 0
.LBB125_1075:                           ; =>This Inner Loop Header: Depth=1
	scratch_load_b32 v73, v71, off
	ds_load_b32 v74, v70
	v_dual_add_nc_u32 v72, 1, v72 :: v_dual_add_nc_u32 v70, 4, v70
	s_wait_xcnt 0x0
	v_add_nc_u32_e32 v71, 4, v71
	s_delay_alu instid0(VALU_DEP_2)
	v_cmp_lt_u32_e32 vcc_lo, 46, v72
	s_or_b32 s2, vcc_lo, s2
	s_wait_loadcnt_dscnt 0x0
	v_fmac_f32_e32 v69, v73, v74
	s_and_not1_b32 exec_lo, exec_lo, s2
	s_cbranch_execnz .LBB125_1075
; %bb.1076:
	s_or_b32 exec_lo, exec_lo, s2
.LBB125_1077:
	s_delay_alu instid0(SALU_CYCLE_1)
	s_or_b32 exec_lo, exec_lo, s1
	v_mov_b32_e32 v70, 0
	ds_load_b32 v70, v70 offset:192
	s_wait_dscnt 0x0
	v_mul_f32_e32 v69, v69, v70
	scratch_store_b32 off, v69, off offset:192
.LBB125_1078:
	s_wait_xcnt 0x0
	s_or_b32 exec_lo, exec_lo, s0
	scratch_load_b32 v69, off, off offset:196
	s_mov_b32 s0, exec_lo
	s_wait_loadcnt 0x0
	ds_store_b32 v1, v69
	s_wait_storecnt_dscnt 0x0
	s_barrier_signal -1
	s_barrier_wait -1
	s_wait_xcnt 0x0
	v_cmpx_gt_u32_e32 49, v0
	s_cbranch_execz .LBB125_1088
; %bb.1079:
	v_cmp_ne_u32_e32 vcc_lo, 1, v68
	s_cbranch_vccnz .LBB125_1081
; %bb.1080:
	scratch_load_b32 v69, v7, off
	ds_load_b32 v70, v1
	s_wait_loadcnt_dscnt 0x0
	v_mul_f32_e32 v69, v69, v70
	s_cbranch_execz .LBB125_1082
	s_branch .LBB125_1083
.LBB125_1081:
                                        ; implicit-def: $vgpr69
.LBB125_1082:
	ds_load_b32 v69, v1
.LBB125_1083:
	s_mov_b32 s1, exec_lo
	v_cmpx_ne_u32_e32 48, v0
	s_cbranch_execz .LBB125_1087
; %bb.1084:
	v_add_nc_u32_e32 v70, 0x104, v6
	v_add3_u32 v71, 0, v6, 4
	v_mov_b32_e32 v72, v0
	s_mov_b32 s2, 0
.LBB125_1085:                           ; =>This Inner Loop Header: Depth=1
	scratch_load_b32 v73, v71, off
	ds_load_b32 v74, v70
	v_dual_add_nc_u32 v72, 1, v72 :: v_dual_add_nc_u32 v70, 4, v70
	s_wait_xcnt 0x0
	v_add_nc_u32_e32 v71, 4, v71
	s_delay_alu instid0(VALU_DEP_2)
	v_cmp_lt_u32_e32 vcc_lo, 47, v72
	s_or_b32 s2, vcc_lo, s2
	s_wait_loadcnt_dscnt 0x0
	v_fmac_f32_e32 v69, v73, v74
	s_and_not1_b32 exec_lo, exec_lo, s2
	s_cbranch_execnz .LBB125_1085
; %bb.1086:
	s_or_b32 exec_lo, exec_lo, s2
.LBB125_1087:
	s_delay_alu instid0(SALU_CYCLE_1)
	s_or_b32 exec_lo, exec_lo, s1
	v_mov_b32_e32 v70, 0
	ds_load_b32 v70, v70 offset:196
	s_wait_dscnt 0x0
	v_mul_f32_e32 v69, v69, v70
	scratch_store_b32 off, v69, off offset:196
.LBB125_1088:
	s_wait_xcnt 0x0
	s_or_b32 exec_lo, exec_lo, s0
	scratch_load_b32 v69, off, off offset:200
	s_mov_b32 s0, exec_lo
	s_wait_loadcnt 0x0
	ds_store_b32 v1, v69
	s_wait_storecnt_dscnt 0x0
	s_barrier_signal -1
	s_barrier_wait -1
	s_wait_xcnt 0x0
	v_cmpx_gt_u32_e32 50, v0
	s_cbranch_execz .LBB125_1098
; %bb.1089:
	v_cmp_ne_u32_e32 vcc_lo, 1, v68
	s_cbranch_vccnz .LBB125_1091
; %bb.1090:
	scratch_load_b32 v69, v7, off
	ds_load_b32 v70, v1
	s_wait_loadcnt_dscnt 0x0
	v_mul_f32_e32 v69, v69, v70
	s_cbranch_execz .LBB125_1092
	s_branch .LBB125_1093
.LBB125_1091:
                                        ; implicit-def: $vgpr69
.LBB125_1092:
	ds_load_b32 v69, v1
.LBB125_1093:
	s_mov_b32 s1, exec_lo
	v_cmpx_ne_u32_e32 49, v0
	s_cbranch_execz .LBB125_1097
; %bb.1094:
	v_add_nc_u32_e32 v70, 0x104, v6
	v_add3_u32 v71, 0, v6, 4
	v_mov_b32_e32 v72, v0
	s_mov_b32 s2, 0
.LBB125_1095:                           ; =>This Inner Loop Header: Depth=1
	scratch_load_b32 v73, v71, off
	ds_load_b32 v74, v70
	v_dual_add_nc_u32 v72, 1, v72 :: v_dual_add_nc_u32 v70, 4, v70
	s_wait_xcnt 0x0
	v_add_nc_u32_e32 v71, 4, v71
	s_delay_alu instid0(VALU_DEP_2)
	v_cmp_lt_u32_e32 vcc_lo, 48, v72
	s_or_b32 s2, vcc_lo, s2
	s_wait_loadcnt_dscnt 0x0
	v_fmac_f32_e32 v69, v73, v74
	s_and_not1_b32 exec_lo, exec_lo, s2
	s_cbranch_execnz .LBB125_1095
; %bb.1096:
	s_or_b32 exec_lo, exec_lo, s2
.LBB125_1097:
	s_delay_alu instid0(SALU_CYCLE_1)
	s_or_b32 exec_lo, exec_lo, s1
	v_mov_b32_e32 v70, 0
	ds_load_b32 v70, v70 offset:200
	s_wait_dscnt 0x0
	v_mul_f32_e32 v69, v69, v70
	scratch_store_b32 off, v69, off offset:200
.LBB125_1098:
	s_wait_xcnt 0x0
	s_or_b32 exec_lo, exec_lo, s0
	scratch_load_b32 v69, off, off offset:204
	s_mov_b32 s0, exec_lo
	s_wait_loadcnt 0x0
	ds_store_b32 v1, v69
	s_wait_storecnt_dscnt 0x0
	s_barrier_signal -1
	s_barrier_wait -1
	s_wait_xcnt 0x0
	v_cmpx_gt_u32_e32 51, v0
	s_cbranch_execz .LBB125_1108
; %bb.1099:
	v_cmp_ne_u32_e32 vcc_lo, 1, v68
	s_cbranch_vccnz .LBB125_1101
; %bb.1100:
	scratch_load_b32 v69, v7, off
	ds_load_b32 v70, v1
	s_wait_loadcnt_dscnt 0x0
	v_mul_f32_e32 v69, v69, v70
	s_cbranch_execz .LBB125_1102
	s_branch .LBB125_1103
.LBB125_1101:
                                        ; implicit-def: $vgpr69
.LBB125_1102:
	ds_load_b32 v69, v1
.LBB125_1103:
	s_mov_b32 s1, exec_lo
	v_cmpx_ne_u32_e32 50, v0
	s_cbranch_execz .LBB125_1107
; %bb.1104:
	v_add_nc_u32_e32 v70, 0x104, v6
	v_add3_u32 v71, 0, v6, 4
	v_mov_b32_e32 v72, v0
	s_mov_b32 s2, 0
.LBB125_1105:                           ; =>This Inner Loop Header: Depth=1
	scratch_load_b32 v73, v71, off
	ds_load_b32 v74, v70
	v_dual_add_nc_u32 v72, 1, v72 :: v_dual_add_nc_u32 v70, 4, v70
	s_wait_xcnt 0x0
	v_add_nc_u32_e32 v71, 4, v71
	s_delay_alu instid0(VALU_DEP_2)
	v_cmp_lt_u32_e32 vcc_lo, 49, v72
	s_or_b32 s2, vcc_lo, s2
	s_wait_loadcnt_dscnt 0x0
	v_fmac_f32_e32 v69, v73, v74
	s_and_not1_b32 exec_lo, exec_lo, s2
	s_cbranch_execnz .LBB125_1105
; %bb.1106:
	s_or_b32 exec_lo, exec_lo, s2
.LBB125_1107:
	s_delay_alu instid0(SALU_CYCLE_1)
	s_or_b32 exec_lo, exec_lo, s1
	v_mov_b32_e32 v70, 0
	ds_load_b32 v70, v70 offset:204
	s_wait_dscnt 0x0
	v_mul_f32_e32 v69, v69, v70
	scratch_store_b32 off, v69, off offset:204
.LBB125_1108:
	s_wait_xcnt 0x0
	s_or_b32 exec_lo, exec_lo, s0
	scratch_load_b32 v69, off, off offset:208
	s_mov_b32 s0, exec_lo
	s_wait_loadcnt 0x0
	ds_store_b32 v1, v69
	s_wait_storecnt_dscnt 0x0
	s_barrier_signal -1
	s_barrier_wait -1
	s_wait_xcnt 0x0
	v_cmpx_gt_u32_e32 52, v0
	s_cbranch_execz .LBB125_1118
; %bb.1109:
	v_cmp_ne_u32_e32 vcc_lo, 1, v68
	s_cbranch_vccnz .LBB125_1111
; %bb.1110:
	scratch_load_b32 v69, v7, off
	ds_load_b32 v70, v1
	s_wait_loadcnt_dscnt 0x0
	v_mul_f32_e32 v69, v69, v70
	s_cbranch_execz .LBB125_1112
	s_branch .LBB125_1113
.LBB125_1111:
                                        ; implicit-def: $vgpr69
.LBB125_1112:
	ds_load_b32 v69, v1
.LBB125_1113:
	s_mov_b32 s1, exec_lo
	v_cmpx_ne_u32_e32 51, v0
	s_cbranch_execz .LBB125_1117
; %bb.1114:
	v_add_nc_u32_e32 v70, 0x104, v6
	v_add3_u32 v71, 0, v6, 4
	v_mov_b32_e32 v72, v0
	s_mov_b32 s2, 0
.LBB125_1115:                           ; =>This Inner Loop Header: Depth=1
	scratch_load_b32 v73, v71, off
	ds_load_b32 v74, v70
	v_dual_add_nc_u32 v72, 1, v72 :: v_dual_add_nc_u32 v70, 4, v70
	s_wait_xcnt 0x0
	v_add_nc_u32_e32 v71, 4, v71
	s_delay_alu instid0(VALU_DEP_2)
	v_cmp_lt_u32_e32 vcc_lo, 50, v72
	s_or_b32 s2, vcc_lo, s2
	s_wait_loadcnt_dscnt 0x0
	v_fmac_f32_e32 v69, v73, v74
	s_and_not1_b32 exec_lo, exec_lo, s2
	s_cbranch_execnz .LBB125_1115
; %bb.1116:
	s_or_b32 exec_lo, exec_lo, s2
.LBB125_1117:
	s_delay_alu instid0(SALU_CYCLE_1)
	s_or_b32 exec_lo, exec_lo, s1
	v_mov_b32_e32 v70, 0
	ds_load_b32 v70, v70 offset:208
	s_wait_dscnt 0x0
	v_mul_f32_e32 v69, v69, v70
	scratch_store_b32 off, v69, off offset:208
.LBB125_1118:
	s_wait_xcnt 0x0
	s_or_b32 exec_lo, exec_lo, s0
	scratch_load_b32 v69, off, off offset:212
	s_mov_b32 s0, exec_lo
	s_wait_loadcnt 0x0
	ds_store_b32 v1, v69
	s_wait_storecnt_dscnt 0x0
	s_barrier_signal -1
	s_barrier_wait -1
	s_wait_xcnt 0x0
	v_cmpx_gt_u32_e32 53, v0
	s_cbranch_execz .LBB125_1128
; %bb.1119:
	v_cmp_ne_u32_e32 vcc_lo, 1, v68
	s_cbranch_vccnz .LBB125_1121
; %bb.1120:
	scratch_load_b32 v69, v7, off
	ds_load_b32 v70, v1
	s_wait_loadcnt_dscnt 0x0
	v_mul_f32_e32 v69, v69, v70
	s_cbranch_execz .LBB125_1122
	s_branch .LBB125_1123
.LBB125_1121:
                                        ; implicit-def: $vgpr69
.LBB125_1122:
	ds_load_b32 v69, v1
.LBB125_1123:
	s_mov_b32 s1, exec_lo
	v_cmpx_ne_u32_e32 52, v0
	s_cbranch_execz .LBB125_1127
; %bb.1124:
	v_add_nc_u32_e32 v70, 0x104, v6
	v_add3_u32 v71, 0, v6, 4
	v_mov_b32_e32 v72, v0
	s_mov_b32 s2, 0
.LBB125_1125:                           ; =>This Inner Loop Header: Depth=1
	scratch_load_b32 v73, v71, off
	ds_load_b32 v74, v70
	v_dual_add_nc_u32 v72, 1, v72 :: v_dual_add_nc_u32 v70, 4, v70
	s_wait_xcnt 0x0
	v_add_nc_u32_e32 v71, 4, v71
	s_delay_alu instid0(VALU_DEP_2)
	v_cmp_lt_u32_e32 vcc_lo, 51, v72
	s_or_b32 s2, vcc_lo, s2
	s_wait_loadcnt_dscnt 0x0
	v_fmac_f32_e32 v69, v73, v74
	s_and_not1_b32 exec_lo, exec_lo, s2
	s_cbranch_execnz .LBB125_1125
; %bb.1126:
	s_or_b32 exec_lo, exec_lo, s2
.LBB125_1127:
	s_delay_alu instid0(SALU_CYCLE_1)
	s_or_b32 exec_lo, exec_lo, s1
	v_mov_b32_e32 v70, 0
	ds_load_b32 v70, v70 offset:212
	s_wait_dscnt 0x0
	v_mul_f32_e32 v69, v69, v70
	scratch_store_b32 off, v69, off offset:212
.LBB125_1128:
	s_wait_xcnt 0x0
	s_or_b32 exec_lo, exec_lo, s0
	scratch_load_b32 v69, off, off offset:216
	s_mov_b32 s0, exec_lo
	s_wait_loadcnt 0x0
	ds_store_b32 v1, v69
	s_wait_storecnt_dscnt 0x0
	s_barrier_signal -1
	s_barrier_wait -1
	s_wait_xcnt 0x0
	v_cmpx_gt_u32_e32 54, v0
	s_cbranch_execz .LBB125_1138
; %bb.1129:
	v_cmp_ne_u32_e32 vcc_lo, 1, v68
	s_cbranch_vccnz .LBB125_1131
; %bb.1130:
	scratch_load_b32 v69, v7, off
	ds_load_b32 v70, v1
	s_wait_loadcnt_dscnt 0x0
	v_mul_f32_e32 v69, v69, v70
	s_cbranch_execz .LBB125_1132
	s_branch .LBB125_1133
.LBB125_1131:
                                        ; implicit-def: $vgpr69
.LBB125_1132:
	ds_load_b32 v69, v1
.LBB125_1133:
	s_mov_b32 s1, exec_lo
	v_cmpx_ne_u32_e32 53, v0
	s_cbranch_execz .LBB125_1137
; %bb.1134:
	v_add_nc_u32_e32 v70, 0x104, v6
	v_add3_u32 v71, 0, v6, 4
	v_mov_b32_e32 v72, v0
	s_mov_b32 s2, 0
.LBB125_1135:                           ; =>This Inner Loop Header: Depth=1
	scratch_load_b32 v73, v71, off
	ds_load_b32 v74, v70
	v_dual_add_nc_u32 v72, 1, v72 :: v_dual_add_nc_u32 v70, 4, v70
	s_wait_xcnt 0x0
	v_add_nc_u32_e32 v71, 4, v71
	s_delay_alu instid0(VALU_DEP_2)
	v_cmp_lt_u32_e32 vcc_lo, 52, v72
	s_or_b32 s2, vcc_lo, s2
	s_wait_loadcnt_dscnt 0x0
	v_fmac_f32_e32 v69, v73, v74
	s_and_not1_b32 exec_lo, exec_lo, s2
	s_cbranch_execnz .LBB125_1135
; %bb.1136:
	s_or_b32 exec_lo, exec_lo, s2
.LBB125_1137:
	s_delay_alu instid0(SALU_CYCLE_1)
	s_or_b32 exec_lo, exec_lo, s1
	v_mov_b32_e32 v70, 0
	ds_load_b32 v70, v70 offset:216
	s_wait_dscnt 0x0
	v_mul_f32_e32 v69, v69, v70
	scratch_store_b32 off, v69, off offset:216
.LBB125_1138:
	s_wait_xcnt 0x0
	s_or_b32 exec_lo, exec_lo, s0
	scratch_load_b32 v69, off, off offset:220
	s_mov_b32 s0, exec_lo
	s_wait_loadcnt 0x0
	ds_store_b32 v1, v69
	s_wait_storecnt_dscnt 0x0
	s_barrier_signal -1
	s_barrier_wait -1
	s_wait_xcnt 0x0
	v_cmpx_gt_u32_e32 55, v0
	s_cbranch_execz .LBB125_1148
; %bb.1139:
	v_cmp_ne_u32_e32 vcc_lo, 1, v68
	s_cbranch_vccnz .LBB125_1141
; %bb.1140:
	scratch_load_b32 v69, v7, off
	ds_load_b32 v70, v1
	s_wait_loadcnt_dscnt 0x0
	v_mul_f32_e32 v69, v69, v70
	s_cbranch_execz .LBB125_1142
	s_branch .LBB125_1143
.LBB125_1141:
                                        ; implicit-def: $vgpr69
.LBB125_1142:
	ds_load_b32 v69, v1
.LBB125_1143:
	s_mov_b32 s1, exec_lo
	v_cmpx_ne_u32_e32 54, v0
	s_cbranch_execz .LBB125_1147
; %bb.1144:
	v_add_nc_u32_e32 v70, 0x104, v6
	v_add3_u32 v71, 0, v6, 4
	v_mov_b32_e32 v72, v0
	s_mov_b32 s2, 0
.LBB125_1145:                           ; =>This Inner Loop Header: Depth=1
	scratch_load_b32 v73, v71, off
	ds_load_b32 v74, v70
	v_dual_add_nc_u32 v72, 1, v72 :: v_dual_add_nc_u32 v70, 4, v70
	s_wait_xcnt 0x0
	v_add_nc_u32_e32 v71, 4, v71
	s_delay_alu instid0(VALU_DEP_2)
	v_cmp_lt_u32_e32 vcc_lo, 53, v72
	s_or_b32 s2, vcc_lo, s2
	s_wait_loadcnt_dscnt 0x0
	v_fmac_f32_e32 v69, v73, v74
	s_and_not1_b32 exec_lo, exec_lo, s2
	s_cbranch_execnz .LBB125_1145
; %bb.1146:
	s_or_b32 exec_lo, exec_lo, s2
.LBB125_1147:
	s_delay_alu instid0(SALU_CYCLE_1)
	s_or_b32 exec_lo, exec_lo, s1
	v_mov_b32_e32 v70, 0
	ds_load_b32 v70, v70 offset:220
	s_wait_dscnt 0x0
	v_mul_f32_e32 v69, v69, v70
	scratch_store_b32 off, v69, off offset:220
.LBB125_1148:
	s_wait_xcnt 0x0
	s_or_b32 exec_lo, exec_lo, s0
	scratch_load_b32 v69, off, off offset:224
	s_mov_b32 s0, exec_lo
	s_wait_loadcnt 0x0
	ds_store_b32 v1, v69
	s_wait_storecnt_dscnt 0x0
	s_barrier_signal -1
	s_barrier_wait -1
	s_wait_xcnt 0x0
	v_cmpx_gt_u32_e32 56, v0
	s_cbranch_execz .LBB125_1158
; %bb.1149:
	v_cmp_ne_u32_e32 vcc_lo, 1, v68
	s_cbranch_vccnz .LBB125_1151
; %bb.1150:
	scratch_load_b32 v69, v7, off
	ds_load_b32 v70, v1
	s_wait_loadcnt_dscnt 0x0
	v_mul_f32_e32 v69, v69, v70
	s_cbranch_execz .LBB125_1152
	s_branch .LBB125_1153
.LBB125_1151:
                                        ; implicit-def: $vgpr69
.LBB125_1152:
	ds_load_b32 v69, v1
.LBB125_1153:
	s_mov_b32 s1, exec_lo
	v_cmpx_ne_u32_e32 55, v0
	s_cbranch_execz .LBB125_1157
; %bb.1154:
	v_add_nc_u32_e32 v70, 0x104, v6
	v_add3_u32 v71, 0, v6, 4
	v_mov_b32_e32 v72, v0
	s_mov_b32 s2, 0
.LBB125_1155:                           ; =>This Inner Loop Header: Depth=1
	scratch_load_b32 v73, v71, off
	ds_load_b32 v74, v70
	v_dual_add_nc_u32 v72, 1, v72 :: v_dual_add_nc_u32 v70, 4, v70
	s_wait_xcnt 0x0
	v_add_nc_u32_e32 v71, 4, v71
	s_delay_alu instid0(VALU_DEP_2)
	v_cmp_lt_u32_e32 vcc_lo, 54, v72
	s_or_b32 s2, vcc_lo, s2
	s_wait_loadcnt_dscnt 0x0
	v_fmac_f32_e32 v69, v73, v74
	s_and_not1_b32 exec_lo, exec_lo, s2
	s_cbranch_execnz .LBB125_1155
; %bb.1156:
	s_or_b32 exec_lo, exec_lo, s2
.LBB125_1157:
	s_delay_alu instid0(SALU_CYCLE_1)
	s_or_b32 exec_lo, exec_lo, s1
	v_mov_b32_e32 v70, 0
	ds_load_b32 v70, v70 offset:224
	s_wait_dscnt 0x0
	v_mul_f32_e32 v69, v69, v70
	scratch_store_b32 off, v69, off offset:224
.LBB125_1158:
	s_wait_xcnt 0x0
	s_or_b32 exec_lo, exec_lo, s0
	scratch_load_b32 v69, off, off offset:228
	s_mov_b32 s0, exec_lo
	s_wait_loadcnt 0x0
	ds_store_b32 v1, v69
	s_wait_storecnt_dscnt 0x0
	s_barrier_signal -1
	s_barrier_wait -1
	s_wait_xcnt 0x0
	v_cmpx_gt_u32_e32 57, v0
	s_cbranch_execz .LBB125_1168
; %bb.1159:
	v_cmp_ne_u32_e32 vcc_lo, 1, v68
	s_cbranch_vccnz .LBB125_1161
; %bb.1160:
	scratch_load_b32 v69, v7, off
	ds_load_b32 v70, v1
	s_wait_loadcnt_dscnt 0x0
	v_mul_f32_e32 v69, v69, v70
	s_cbranch_execz .LBB125_1162
	s_branch .LBB125_1163
.LBB125_1161:
                                        ; implicit-def: $vgpr69
.LBB125_1162:
	ds_load_b32 v69, v1
.LBB125_1163:
	s_mov_b32 s1, exec_lo
	v_cmpx_ne_u32_e32 56, v0
	s_cbranch_execz .LBB125_1167
; %bb.1164:
	v_add_nc_u32_e32 v70, 0x104, v6
	v_add3_u32 v71, 0, v6, 4
	v_mov_b32_e32 v72, v0
	s_mov_b32 s2, 0
.LBB125_1165:                           ; =>This Inner Loop Header: Depth=1
	scratch_load_b32 v73, v71, off
	ds_load_b32 v74, v70
	v_dual_add_nc_u32 v72, 1, v72 :: v_dual_add_nc_u32 v70, 4, v70
	s_wait_xcnt 0x0
	v_add_nc_u32_e32 v71, 4, v71
	s_delay_alu instid0(VALU_DEP_2)
	v_cmp_lt_u32_e32 vcc_lo, 55, v72
	s_or_b32 s2, vcc_lo, s2
	s_wait_loadcnt_dscnt 0x0
	v_fmac_f32_e32 v69, v73, v74
	s_and_not1_b32 exec_lo, exec_lo, s2
	s_cbranch_execnz .LBB125_1165
; %bb.1166:
	s_or_b32 exec_lo, exec_lo, s2
.LBB125_1167:
	s_delay_alu instid0(SALU_CYCLE_1)
	s_or_b32 exec_lo, exec_lo, s1
	v_mov_b32_e32 v70, 0
	ds_load_b32 v70, v70 offset:228
	s_wait_dscnt 0x0
	v_mul_f32_e32 v69, v69, v70
	scratch_store_b32 off, v69, off offset:228
.LBB125_1168:
	s_wait_xcnt 0x0
	s_or_b32 exec_lo, exec_lo, s0
	scratch_load_b32 v69, off, off offset:232
	s_mov_b32 s0, exec_lo
	s_wait_loadcnt 0x0
	ds_store_b32 v1, v69
	s_wait_storecnt_dscnt 0x0
	s_barrier_signal -1
	s_barrier_wait -1
	s_wait_xcnt 0x0
	v_cmpx_gt_u32_e32 58, v0
	s_cbranch_execz .LBB125_1178
; %bb.1169:
	v_cmp_ne_u32_e32 vcc_lo, 1, v68
	s_cbranch_vccnz .LBB125_1171
; %bb.1170:
	scratch_load_b32 v69, v7, off
	ds_load_b32 v70, v1
	s_wait_loadcnt_dscnt 0x0
	v_mul_f32_e32 v69, v69, v70
	s_cbranch_execz .LBB125_1172
	s_branch .LBB125_1173
.LBB125_1171:
                                        ; implicit-def: $vgpr69
.LBB125_1172:
	ds_load_b32 v69, v1
.LBB125_1173:
	s_mov_b32 s1, exec_lo
	v_cmpx_ne_u32_e32 57, v0
	s_cbranch_execz .LBB125_1177
; %bb.1174:
	v_add_nc_u32_e32 v70, 0x104, v6
	v_add3_u32 v71, 0, v6, 4
	v_mov_b32_e32 v72, v0
	s_mov_b32 s2, 0
.LBB125_1175:                           ; =>This Inner Loop Header: Depth=1
	scratch_load_b32 v73, v71, off
	ds_load_b32 v74, v70
	v_dual_add_nc_u32 v72, 1, v72 :: v_dual_add_nc_u32 v70, 4, v70
	s_wait_xcnt 0x0
	v_add_nc_u32_e32 v71, 4, v71
	s_delay_alu instid0(VALU_DEP_2)
	v_cmp_lt_u32_e32 vcc_lo, 56, v72
	s_or_b32 s2, vcc_lo, s2
	s_wait_loadcnt_dscnt 0x0
	v_fmac_f32_e32 v69, v73, v74
	s_and_not1_b32 exec_lo, exec_lo, s2
	s_cbranch_execnz .LBB125_1175
; %bb.1176:
	s_or_b32 exec_lo, exec_lo, s2
.LBB125_1177:
	s_delay_alu instid0(SALU_CYCLE_1)
	s_or_b32 exec_lo, exec_lo, s1
	v_mov_b32_e32 v70, 0
	ds_load_b32 v70, v70 offset:232
	s_wait_dscnt 0x0
	v_mul_f32_e32 v69, v69, v70
	scratch_store_b32 off, v69, off offset:232
.LBB125_1178:
	s_wait_xcnt 0x0
	s_or_b32 exec_lo, exec_lo, s0
	scratch_load_b32 v69, off, off offset:236
	s_mov_b32 s0, exec_lo
	s_wait_loadcnt 0x0
	ds_store_b32 v1, v69
	s_wait_storecnt_dscnt 0x0
	s_barrier_signal -1
	s_barrier_wait -1
	s_wait_xcnt 0x0
	v_cmpx_gt_u32_e32 59, v0
	s_cbranch_execz .LBB125_1188
; %bb.1179:
	v_cmp_ne_u32_e32 vcc_lo, 1, v68
	s_cbranch_vccnz .LBB125_1181
; %bb.1180:
	scratch_load_b32 v69, v7, off
	ds_load_b32 v70, v1
	s_wait_loadcnt_dscnt 0x0
	v_mul_f32_e32 v69, v69, v70
	s_cbranch_execz .LBB125_1182
	s_branch .LBB125_1183
.LBB125_1181:
                                        ; implicit-def: $vgpr69
.LBB125_1182:
	ds_load_b32 v69, v1
.LBB125_1183:
	s_mov_b32 s1, exec_lo
	v_cmpx_ne_u32_e32 58, v0
	s_cbranch_execz .LBB125_1187
; %bb.1184:
	v_add_nc_u32_e32 v70, 0x104, v6
	v_add3_u32 v71, 0, v6, 4
	v_mov_b32_e32 v72, v0
	s_mov_b32 s2, 0
.LBB125_1185:                           ; =>This Inner Loop Header: Depth=1
	scratch_load_b32 v73, v71, off
	ds_load_b32 v74, v70
	v_dual_add_nc_u32 v72, 1, v72 :: v_dual_add_nc_u32 v70, 4, v70
	s_wait_xcnt 0x0
	v_add_nc_u32_e32 v71, 4, v71
	s_delay_alu instid0(VALU_DEP_2)
	v_cmp_lt_u32_e32 vcc_lo, 57, v72
	s_or_b32 s2, vcc_lo, s2
	s_wait_loadcnt_dscnt 0x0
	v_fmac_f32_e32 v69, v73, v74
	s_and_not1_b32 exec_lo, exec_lo, s2
	s_cbranch_execnz .LBB125_1185
; %bb.1186:
	s_or_b32 exec_lo, exec_lo, s2
.LBB125_1187:
	s_delay_alu instid0(SALU_CYCLE_1)
	s_or_b32 exec_lo, exec_lo, s1
	v_mov_b32_e32 v70, 0
	ds_load_b32 v70, v70 offset:236
	s_wait_dscnt 0x0
	v_mul_f32_e32 v69, v69, v70
	scratch_store_b32 off, v69, off offset:236
.LBB125_1188:
	s_wait_xcnt 0x0
	s_or_b32 exec_lo, exec_lo, s0
	scratch_load_b32 v69, off, off offset:240
	v_cmp_gt_u32_e64 s0, 60, v0
	s_wait_loadcnt 0x0
	ds_store_b32 v1, v69
	s_wait_storecnt_dscnt 0x0
	s_barrier_signal -1
	s_barrier_wait -1
	s_wait_xcnt 0x0
	s_and_saveexec_b32 s1, s0
	s_cbranch_execz .LBB125_1198
; %bb.1189:
	v_cmp_ne_u32_e32 vcc_lo, 1, v68
	s_cbranch_vccnz .LBB125_1191
; %bb.1190:
	scratch_load_b32 v69, v7, off
	ds_load_b32 v70, v1
	s_wait_loadcnt_dscnt 0x0
	v_mul_f32_e32 v69, v69, v70
	s_cbranch_execz .LBB125_1192
	s_branch .LBB125_1193
.LBB125_1191:
                                        ; implicit-def: $vgpr69
.LBB125_1192:
	ds_load_b32 v69, v1
.LBB125_1193:
	s_mov_b32 s2, exec_lo
	v_cmpx_ne_u32_e32 59, v0
	s_cbranch_execz .LBB125_1197
; %bb.1194:
	v_add_nc_u32_e32 v70, 0x104, v6
	v_add3_u32 v71, 0, v6, 4
	v_mov_b32_e32 v72, v0
	s_mov_b32 s3, 0
.LBB125_1195:                           ; =>This Inner Loop Header: Depth=1
	scratch_load_b32 v73, v71, off
	ds_load_b32 v74, v70
	v_dual_add_nc_u32 v72, 1, v72 :: v_dual_add_nc_u32 v70, 4, v70
	s_wait_xcnt 0x0
	v_add_nc_u32_e32 v71, 4, v71
	s_delay_alu instid0(VALU_DEP_2)
	v_cmp_lt_u32_e32 vcc_lo, 58, v72
	s_or_b32 s3, vcc_lo, s3
	s_wait_loadcnt_dscnt 0x0
	v_fmac_f32_e32 v69, v73, v74
	s_and_not1_b32 exec_lo, exec_lo, s3
	s_cbranch_execnz .LBB125_1195
; %bb.1196:
	s_or_b32 exec_lo, exec_lo, s3
.LBB125_1197:
	s_delay_alu instid0(SALU_CYCLE_1)
	s_or_b32 exec_lo, exec_lo, s2
	v_mov_b32_e32 v70, 0
	ds_load_b32 v70, v70 offset:240
	s_wait_dscnt 0x0
	v_mul_f32_e32 v69, v69, v70
	scratch_store_b32 off, v69, off offset:240
.LBB125_1198:
	s_wait_xcnt 0x0
	s_or_b32 exec_lo, exec_lo, s1
	scratch_load_b32 v69, off, off offset:244
	s_mov_b32 s1, exec_lo
	s_wait_loadcnt 0x0
	ds_store_b32 v1, v69
	s_wait_storecnt_dscnt 0x0
	s_barrier_signal -1
	s_barrier_wait -1
	s_wait_xcnt 0x0
	v_cmpx_ne_u32_e32 61, v0
	s_cbranch_execz .LBB125_1208
; %bb.1199:
	v_cmp_ne_u32_e32 vcc_lo, 1, v68
	s_cbranch_vccnz .LBB125_1201
; %bb.1200:
	scratch_load_b32 v7, v7, off
	ds_load_b32 v68, v1
	s_wait_loadcnt_dscnt 0x0
	v_mul_f32_e32 v7, v7, v68
	s_cbranch_execz .LBB125_1202
	s_branch .LBB125_1203
.LBB125_1201:
                                        ; implicit-def: $vgpr7
.LBB125_1202:
	ds_load_b32 v7, v1
.LBB125_1203:
	s_and_saveexec_b32 s2, s0
	s_cbranch_execz .LBB125_1207
; %bb.1204:
	v_add_nc_u32_e32 v1, 0x104, v6
	v_add3_u32 v6, 0, v6, 4
	s_mov_b32 s0, 0
.LBB125_1205:                           ; =>This Inner Loop Header: Depth=1
	scratch_load_b32 v68, v6, off
	ds_load_b32 v69, v1
	v_dual_add_nc_u32 v0, 1, v0 :: v_dual_add_nc_u32 v1, 4, v1
	s_wait_xcnt 0x0
	v_add_nc_u32_e32 v6, 4, v6
	s_delay_alu instid0(VALU_DEP_2)
	v_cmp_lt_u32_e32 vcc_lo, 59, v0
	s_or_b32 s0, vcc_lo, s0
	s_wait_loadcnt_dscnt 0x0
	v_fmac_f32_e32 v7, v68, v69
	s_and_not1_b32 exec_lo, exec_lo, s0
	s_cbranch_execnz .LBB125_1205
; %bb.1206:
	s_or_b32 exec_lo, exec_lo, s0
.LBB125_1207:
	s_delay_alu instid0(SALU_CYCLE_1)
	s_or_b32 exec_lo, exec_lo, s2
	v_mov_b32_e32 v0, 0
	ds_load_b32 v0, v0 offset:244
	s_wait_dscnt 0x0
	v_mul_f32_e32 v0, v7, v0
	scratch_store_b32 off, v0, off offset:244
.LBB125_1208:
	s_wait_xcnt 0x0
	s_or_b32 exec_lo, exec_lo, s1
.LBB125_1209:
	scratch_load_b32 v0, off, off
	s_wait_loadcnt 0x0
	flat_store_b32 v[2:3], v0
	scratch_load_b32 v0, off, off offset:4
	s_wait_loadcnt 0x0
	flat_store_b32 v[4:5], v0
	scratch_load_b32 v0, off, off offset:8
	;; [unrolled: 3-line block ×61, first 2 shown]
	s_wait_loadcnt 0x0
	flat_store_b32 v[8:9], v0
.LBB125_1210:
	s_sendmsg sendmsg(MSG_DEALLOC_VGPRS)
	s_endpgm
	.section	.rodata,"a",@progbits
	.p2align	6, 0x0
	.amdhsa_kernel _ZN9rocsolver6v33100L18trti2_kernel_smallILi62EfPKPfEEv13rocblas_fill_17rocblas_diagonal_T1_iil
		.amdhsa_group_segment_fixed_size 504
		.amdhsa_private_segment_fixed_size 256
		.amdhsa_kernarg_size 32
		.amdhsa_user_sgpr_count 2
		.amdhsa_user_sgpr_dispatch_ptr 0
		.amdhsa_user_sgpr_queue_ptr 0
		.amdhsa_user_sgpr_kernarg_segment_ptr 1
		.amdhsa_user_sgpr_dispatch_id 0
		.amdhsa_user_sgpr_kernarg_preload_length 0
		.amdhsa_user_sgpr_kernarg_preload_offset 0
		.amdhsa_user_sgpr_private_segment_size 0
		.amdhsa_wavefront_size32 1
		.amdhsa_uses_dynamic_stack 0
		.amdhsa_enable_private_segment 1
		.amdhsa_system_sgpr_workgroup_id_x 1
		.amdhsa_system_sgpr_workgroup_id_y 0
		.amdhsa_system_sgpr_workgroup_id_z 0
		.amdhsa_system_sgpr_workgroup_info 0
		.amdhsa_system_vgpr_workitem_id 0
		.amdhsa_next_free_vgpr 188
		.amdhsa_next_free_sgpr 68
		.amdhsa_named_barrier_count 0
		.amdhsa_reserve_vcc 1
		.amdhsa_float_round_mode_32 0
		.amdhsa_float_round_mode_16_64 0
		.amdhsa_float_denorm_mode_32 3
		.amdhsa_float_denorm_mode_16_64 3
		.amdhsa_fp16_overflow 0
		.amdhsa_memory_ordered 1
		.amdhsa_forward_progress 1
		.amdhsa_inst_pref_size 255
		.amdhsa_round_robin_scheduling 0
		.amdhsa_exception_fp_ieee_invalid_op 0
		.amdhsa_exception_fp_denorm_src 0
		.amdhsa_exception_fp_ieee_div_zero 0
		.amdhsa_exception_fp_ieee_overflow 0
		.amdhsa_exception_fp_ieee_underflow 0
		.amdhsa_exception_fp_ieee_inexact 0
		.amdhsa_exception_int_div_zero 0
	.end_amdhsa_kernel
	.section	.text._ZN9rocsolver6v33100L18trti2_kernel_smallILi62EfPKPfEEv13rocblas_fill_17rocblas_diagonal_T1_iil,"axG",@progbits,_ZN9rocsolver6v33100L18trti2_kernel_smallILi62EfPKPfEEv13rocblas_fill_17rocblas_diagonal_T1_iil,comdat
.Lfunc_end125:
	.size	_ZN9rocsolver6v33100L18trti2_kernel_smallILi62EfPKPfEEv13rocblas_fill_17rocblas_diagonal_T1_iil, .Lfunc_end125-_ZN9rocsolver6v33100L18trti2_kernel_smallILi62EfPKPfEEv13rocblas_fill_17rocblas_diagonal_T1_iil
                                        ; -- End function
	.set _ZN9rocsolver6v33100L18trti2_kernel_smallILi62EfPKPfEEv13rocblas_fill_17rocblas_diagonal_T1_iil.num_vgpr, 188
	.set _ZN9rocsolver6v33100L18trti2_kernel_smallILi62EfPKPfEEv13rocblas_fill_17rocblas_diagonal_T1_iil.num_agpr, 0
	.set _ZN9rocsolver6v33100L18trti2_kernel_smallILi62EfPKPfEEv13rocblas_fill_17rocblas_diagonal_T1_iil.numbered_sgpr, 68
	.set _ZN9rocsolver6v33100L18trti2_kernel_smallILi62EfPKPfEEv13rocblas_fill_17rocblas_diagonal_T1_iil.num_named_barrier, 0
	.set _ZN9rocsolver6v33100L18trti2_kernel_smallILi62EfPKPfEEv13rocblas_fill_17rocblas_diagonal_T1_iil.private_seg_size, 256
	.set _ZN9rocsolver6v33100L18trti2_kernel_smallILi62EfPKPfEEv13rocblas_fill_17rocblas_diagonal_T1_iil.uses_vcc, 1
	.set _ZN9rocsolver6v33100L18trti2_kernel_smallILi62EfPKPfEEv13rocblas_fill_17rocblas_diagonal_T1_iil.uses_flat_scratch, 0
	.set _ZN9rocsolver6v33100L18trti2_kernel_smallILi62EfPKPfEEv13rocblas_fill_17rocblas_diagonal_T1_iil.has_dyn_sized_stack, 0
	.set _ZN9rocsolver6v33100L18trti2_kernel_smallILi62EfPKPfEEv13rocblas_fill_17rocblas_diagonal_T1_iil.has_recursion, 0
	.set _ZN9rocsolver6v33100L18trti2_kernel_smallILi62EfPKPfEEv13rocblas_fill_17rocblas_diagonal_T1_iil.has_indirect_call, 0
	.section	.AMDGPU.csdata,"",@progbits
; Kernel info:
; codeLenInByte = 35936
; TotalNumSgprs: 70
; NumVgprs: 188
; ScratchSize: 256
; MemoryBound: 0
; FloatMode: 240
; IeeeMode: 1
; LDSByteSize: 504 bytes/workgroup (compile time only)
; SGPRBlocks: 0
; VGPRBlocks: 11
; NumSGPRsForWavesPerEU: 70
; NumVGPRsForWavesPerEU: 188
; NamedBarCnt: 0
; Occupancy: 5
; WaveLimiterHint : 1
; COMPUTE_PGM_RSRC2:SCRATCH_EN: 1
; COMPUTE_PGM_RSRC2:USER_SGPR: 2
; COMPUTE_PGM_RSRC2:TRAP_HANDLER: 0
; COMPUTE_PGM_RSRC2:TGID_X_EN: 1
; COMPUTE_PGM_RSRC2:TGID_Y_EN: 0
; COMPUTE_PGM_RSRC2:TGID_Z_EN: 0
; COMPUTE_PGM_RSRC2:TIDIG_COMP_CNT: 0
	.section	.text._ZN9rocsolver6v33100L18trti2_kernel_smallILi63EfPKPfEEv13rocblas_fill_17rocblas_diagonal_T1_iil,"axG",@progbits,_ZN9rocsolver6v33100L18trti2_kernel_smallILi63EfPKPfEEv13rocblas_fill_17rocblas_diagonal_T1_iil,comdat
	.globl	_ZN9rocsolver6v33100L18trti2_kernel_smallILi63EfPKPfEEv13rocblas_fill_17rocblas_diagonal_T1_iil ; -- Begin function _ZN9rocsolver6v33100L18trti2_kernel_smallILi63EfPKPfEEv13rocblas_fill_17rocblas_diagonal_T1_iil
	.p2align	8
	.type	_ZN9rocsolver6v33100L18trti2_kernel_smallILi63EfPKPfEEv13rocblas_fill_17rocblas_diagonal_T1_iil,@function
_ZN9rocsolver6v33100L18trti2_kernel_smallILi63EfPKPfEEv13rocblas_fill_17rocblas_diagonal_T1_iil: ; @_ZN9rocsolver6v33100L18trti2_kernel_smallILi63EfPKPfEEv13rocblas_fill_17rocblas_diagonal_T1_iil
; %bb.0:
	s_mov_b32 s2, exec_lo
	v_cmpx_gt_u32_e32 63, v0
	s_cbranch_execz .LBB126_1230
; %bb.1:
	s_clause 0x1
	s_load_b64 s[8:9], s[0:1], 0x10
	s_load_b128 s[4:7], s[0:1], 0x0
	s_wait_xcnt 0x0
	s_bfe_u32 s0, ttmp6, 0x4000c
	s_and_b32 s1, ttmp6, 15
	s_add_co_i32 s0, s0, 1
	s_getreg_b32 s2, hwreg(HW_REG_IB_STS2, 6, 4)
	s_mul_i32 s0, ttmp9, s0
	v_dual_mov_b32 v7, 0 :: v_dual_lshlrev_b32 v6, 2, v0
	s_add_co_i32 s0, s1, s0
	v_mov_b32_e32 v130, -1.0
	s_wait_kmcnt 0x0
	s_ashr_i32 s1, s8, 31
	s_cmp_eq_u32 s2, 0
	v_add3_u32 v8, s9, s9, v0
	s_cselect_b32 s2, ttmp9, s0
	s_mov_b32 s0, s8
	s_ashr_i32 s3, s2, 31
	s_lshl_b64 s[0:1], s[0:1], 2
	s_lshl_b64 s[2:3], s[2:3], 3
	v_add_nc_u32_e32 v10, s9, v8
	s_add_nc_u64 s[2:3], s[6:7], s[2:3]
	s_load_b64 s[2:3], s[2:3], 0x0
	s_delay_alu instid0(VALU_DEP_1) | instskip(NEXT) | instid1(VALU_DEP_1)
	v_add_nc_u32_e32 v12, s9, v10
	v_add_nc_u32_e32 v14, s9, v12
	s_delay_alu instid0(VALU_DEP_1) | instskip(NEXT) | instid1(VALU_DEP_1)
	v_dual_add_nc_u32 v16, s9, v14 :: v_dual_ashrrev_i32 v9, 31, v8
	v_dual_ashrrev_i32 v11, 31, v10 :: v_dual_add_nc_u32 v18, s9, v16
	v_ashrrev_i32_e32 v17, 31, v16
	s_wait_kmcnt 0x0
	s_add_nc_u64 s[2:3], s[2:3], s[0:1]
	s_mov_b32 s0, s9
	flat_load_b32 v1, v0, s[2:3] scale_offset
	v_add_nc_u64_e32 v[2:3], s[2:3], v[6:7]
	s_ashr_i32 s1, s9, 31
	v_dual_add_nc_u32 v20, s9, v18 :: v_dual_ashrrev_i32 v13, 31, v12
	v_ashrrev_i32_e32 v15, 31, v14
	v_ashrrev_i32_e32 v19, 31, v18
	s_cmp_lg_u32 s5, 0x84
	s_delay_alu instid0(VALU_DEP_4) | instskip(SKIP_4) | instid1(VALU_DEP_1)
	v_lshl_add_u64 v[4:5], s[0:1], 2, v[2:3]
	v_add_nc_u32_e32 v22, s9, v20
	s_cselect_b32 s6, -1, 0
	s_cmp_eq_u32 s5, 0x84
	s_movk_i32 s1, 0x84
	v_add_nc_u32_e32 v24, s9, v22
	s_delay_alu instid0(VALU_DEP_1) | instskip(NEXT) | instid1(VALU_DEP_1)
	v_add_nc_u32_e32 v26, s9, v24
	v_dual_add_nc_u32 v28, s9, v26 :: v_dual_ashrrev_i32 v21, 31, v20
	s_delay_alu instid0(VALU_DEP_1) | instskip(NEXT) | instid1(VALU_DEP_1)
	v_dual_ashrrev_i32 v23, 31, v22 :: v_dual_add_nc_u32 v30, s9, v28
	v_dual_ashrrev_i32 v29, 31, v28 :: v_dual_ashrrev_i32 v31, 31, v30
	v_dual_add_nc_u32 v32, s9, v30 :: v_dual_ashrrev_i32 v25, 31, v24
	s_delay_alu instid0(VALU_DEP_1) | instskip(NEXT) | instid1(VALU_DEP_1)
	v_dual_ashrrev_i32 v27, 31, v26 :: v_dual_add_nc_u32 v34, s9, v32
	v_add_nc_u32_e32 v36, s9, v34
	s_delay_alu instid0(VALU_DEP_1) | instskip(NEXT) | instid1(VALU_DEP_1)
	v_add_nc_u32_e32 v38, s9, v36
	v_dual_add_nc_u32 v40, s9, v38 :: v_dual_ashrrev_i32 v33, 31, v32
	s_delay_alu instid0(VALU_DEP_1) | instskip(NEXT) | instid1(VALU_DEP_1)
	v_dual_ashrrev_i32 v35, 31, v34 :: v_dual_add_nc_u32 v42, s9, v40
	v_dual_ashrrev_i32 v41, 31, v40 :: v_dual_ashrrev_i32 v43, 31, v42
	v_dual_add_nc_u32 v44, s9, v42 :: v_dual_ashrrev_i32 v37, 31, v36
	s_delay_alu instid0(VALU_DEP_1) | instskip(NEXT) | instid1(VALU_DEP_1)
	v_dual_ashrrev_i32 v39, 31, v38 :: v_dual_add_nc_u32 v46, s9, v44
	;; [unrolled: 10-line block ×8, first 2 shown]
	v_add_nc_u32_e32 v120, s9, v118
	s_delay_alu instid0(VALU_DEP_1) | instskip(NEXT) | instid1(VALU_DEP_1)
	v_add_nc_u32_e32 v122, s9, v120
	v_dual_add_nc_u32 v124, s9, v122 :: v_dual_ashrrev_i32 v117, 31, v116
	s_delay_alu instid0(VALU_DEP_1) | instskip(NEXT) | instid1(VALU_DEP_1)
	v_dual_ashrrev_i32 v119, 31, v118 :: v_dual_add_nc_u32 v126, s9, v124
	v_dual_ashrrev_i32 v125, 31, v124 :: v_dual_ashrrev_i32 v127, 31, v126
	v_dual_add_nc_u32 v128, s9, v126 :: v_dual_ashrrev_i32 v121, 31, v120
	s_delay_alu instid0(VALU_DEP_1)
	v_dual_ashrrev_i32 v123, 31, v122 :: v_dual_ashrrev_i32 v129, 31, v128
	s_wait_loadcnt_dscnt 0x0
	scratch_store_b32 off, v1, off
	flat_load_b32 v1, v[4:5]
	s_wait_loadcnt_dscnt 0x0
	scratch_store_b32 off, v1, off offset:4
	flat_load_b32 v1, v8, s[2:3] scale_offset
	s_wait_loadcnt_dscnt 0x0
	scratch_store_b32 off, v1, off offset:8
	flat_load_b32 v1, v10, s[2:3] scale_offset
	;; [unrolled: 3-line block ×61, first 2 shown]
	s_wait_loadcnt_dscnt 0x0
	scratch_store_b32 off, v1, off offset:248
	s_cbranch_scc1 .LBB126_3
; %bb.2:
	scratch_load_b32 v1, v0, off scale_offset
	s_wait_loadcnt 0x0
	v_div_scale_f32 v7, null, v1, v1, 1.0
	s_delay_alu instid0(VALU_DEP_1) | instskip(SKIP_1) | instid1(TRANS32_DEP_1)
	v_rcp_f32_e32 v130, v7
	v_nop
	v_fma_f32 v131, -v7, v130, 1.0
	s_delay_alu instid0(VALU_DEP_1) | instskip(SKIP_1) | instid1(VALU_DEP_1)
	v_fmac_f32_e32 v130, v131, v130
	v_div_scale_f32 v131, vcc_lo, 1.0, v1, 1.0
	v_mul_f32_e32 v132, v131, v130
	s_delay_alu instid0(VALU_DEP_1) | instskip(NEXT) | instid1(VALU_DEP_1)
	v_fma_f32 v133, -v7, v132, v131
	v_fmac_f32_e32 v132, v133, v130
	s_delay_alu instid0(VALU_DEP_1) | instskip(NEXT) | instid1(VALU_DEP_1)
	v_fma_f32 v7, -v7, v132, v131
	v_div_fmas_f32 v7, v7, v130, v132
	s_delay_alu instid0(VALU_DEP_1) | instskip(NEXT) | instid1(VALU_DEP_1)
	v_div_fixup_f32 v1, v7, v1, 1.0
	v_xor_b32_e32 v130, 0x80000000, v1
	scratch_store_b32 v0, v1, off scale_offset
.LBB126_3:
	s_wait_xcnt 0x0
	v_or_b32_e32 v1, 0x100, v6
	v_mov_b32_e32 v7, v6
	s_cmp_eq_u32 s4, 0x79
	s_mov_b32 s5, -1
	ds_store_b32 v6, v130
	s_cbranch_scc1 .LBB126_617
; %bb.4:
	scratch_load_b32 v130, off, off offset:244
	v_cmp_eq_u32_e64 s0, 62, v0
	s_movk_i32 s21, 0x44
	s_movk_i32 s22, 0x48
	s_movk_i32 s23, 0x4c
	s_movk_i32 s24, 0x50
	s_movk_i32 s25, 0x54
	s_movk_i32 s26, 0x58
	s_movk_i32 s27, 0x5c
	s_movk_i32 s28, 0x60
	s_movk_i32 s29, 0x64
	s_movk_i32 s30, 0x68
	s_movk_i32 s31, 0x6c
	s_movk_i32 s33, 0x70
	s_movk_i32 s34, 0x74
	s_movk_i32 s35, 0x78
	s_movk_i32 s36, 0x7c
	s_movk_i32 s37, 0x80
	s_movk_i32 s39, 0x88
	s_movk_i32 s40, 0x8c
	s_movk_i32 s41, 0x90
	s_movk_i32 s42, 0x94
	s_movk_i32 s43, 0x98
	s_movk_i32 s44, 0x9c
	s_movk_i32 s45, 0xa0
	s_movk_i32 s46, 0xa4
	s_movk_i32 s47, 0xa8
	s_movk_i32 s48, 0xac
	s_movk_i32 s49, 0xb0
	s_movk_i32 s50, 0xb4
	s_movk_i32 s51, 0xb8
	s_movk_i32 s52, 0xbc
	s_movk_i32 s53, 0xc0
	s_movk_i32 s54, 0xc4
	s_movk_i32 s55, 0xc8
	s_movk_i32 s56, 0xcc
	s_movk_i32 s57, 0xd0
	s_movk_i32 s58, 0xd4
	s_movk_i32 s59, 0xd8
	s_movk_i32 s60, 0xdc
	s_movk_i32 s61, 0xe0
	s_movk_i32 s62, 0xe4
	s_movk_i32 s63, 0xe8
	s_movk_i32 s64, 0xec
	s_movk_i32 s65, 0xf0
	s_wait_loadcnt 0x0
	ds_store_b32 v1, v130
	s_wait_storecnt_dscnt 0x0
	s_barrier_signal -1
	s_barrier_wait -1
	s_wait_xcnt 0x0
	s_and_saveexec_b32 s4, s0
	s_cbranch_execz .LBB126_10
; %bb.5:
	s_and_b32 vcc_lo, exec_lo, s6
	s_cbranch_vccz .LBB126_7
; %bb.6:
	scratch_load_b32 v130, v7, off
	ds_load_b32 v131, v1
	s_wait_loadcnt_dscnt 0x0
	v_mul_f32_e32 v130, v130, v131
	s_cbranch_execz .LBB126_8
	s_branch .LBB126_9
.LBB126_7:
                                        ; implicit-def: $vgpr130
	s_and_not1_b32 vcc_lo, exec_lo, s5
	s_cbranch_vccnz .LBB126_9
.LBB126_8:
	ds_load_b32 v130, v1
.LBB126_9:
	v_mov_b32_e32 v131, 0
	ds_load_b32 v131, v131 offset:244
	s_wait_dscnt 0x0
	v_mul_f32_e32 v130, v130, v131
	scratch_store_b32 off, v130, off offset:244
.LBB126_10:
	s_wait_xcnt 0x0
	s_or_b32 exec_lo, exec_lo, s4
	scratch_load_b32 v130, off, off offset:240
	s_mov_b32 s38, s1
	v_cmp_lt_u32_e64 s1, 60, v0
	s_or_b32 s4, 0, 4
	s_or_b32 s5, 0, 8
	;; [unrolled: 1-line block ×3, first 2 shown]
	s_mov_b32 s8, 16
	s_mov_b32 s9, 20
	;; [unrolled: 1-line block ×13, first 2 shown]
	s_wait_loadcnt 0x0
	ds_store_b32 v1, v130
	s_wait_storecnt_dscnt 0x0
	s_barrier_signal -1
	s_barrier_wait -1
	s_wait_xcnt 0x0
	s_and_saveexec_b32 s66, s1
	s_cbranch_execz .LBB126_16
; %bb.11:
	s_and_not1_b32 vcc_lo, exec_lo, s6
	s_cbranch_vccnz .LBB126_13
; %bb.12:
	scratch_load_b32 v130, v7, off
	ds_load_b32 v131, v1
	s_wait_loadcnt_dscnt 0x0
	v_mul_f32_e32 v130, v130, v131
	s_cbranch_execz .LBB126_14
	s_branch .LBB126_15
.LBB126_13:
                                        ; implicit-def: $vgpr130
.LBB126_14:
	ds_load_b32 v130, v1
.LBB126_15:
	scratch_load_b32 v131, off, off offset:244
	v_mov_b32_e32 v132, 0
	ds_load_2addr_b32 v[132:133], v132 offset0:60 offset1:125
	s_wait_loadcnt_dscnt 0x0
	v_fma_f32 v131, v131, v133, v130
	s_delay_alu instid0(VALU_DEP_1) | instskip(NEXT) | instid1(VALU_DEP_1)
	v_cndmask_b32_e64 v130, v130, v131, s0
	v_mul_f32_e32 v130, v130, v132
	scratch_store_b32 off, v130, off offset:240
.LBB126_16:
	s_wait_xcnt 0x0
	s_or_b32 exec_lo, exec_lo, s66
	scratch_load_b32 v130, off, off offset:236
	v_cmp_lt_u32_e64 s0, 59, v0
	s_wait_loadcnt 0x0
	ds_store_b32 v1, v130
	s_wait_storecnt_dscnt 0x0
	s_barrier_signal -1
	s_barrier_wait -1
	s_wait_xcnt 0x0
	s_and_saveexec_b32 s66, s0
	s_cbranch_execz .LBB126_26
; %bb.17:
	s_and_not1_b32 vcc_lo, exec_lo, s6
	s_cbranch_vccnz .LBB126_19
; %bb.18:
	scratch_load_b32 v130, v7, off
	ds_load_b32 v131, v1
	s_wait_loadcnt_dscnt 0x0
	v_mul_f32_e32 v130, v130, v131
	s_cbranch_execz .LBB126_20
	s_branch .LBB126_21
.LBB126_19:
                                        ; implicit-def: $vgpr130
.LBB126_20:
	ds_load_b32 v130, v1
.LBB126_21:
	s_and_saveexec_b32 s67, s1
	s_cbranch_execz .LBB126_25
; %bb.22:
	v_subrev_nc_u32_e32 v131, 60, v0
	s_movk_i32 s68, 0x1f0
	s_mov_b32 s1, 0
.LBB126_23:                             ; =>This Inner Loop Header: Depth=1
	scratch_load_b32 v132, off, s65
	v_dual_mov_b32 v133, s68 :: v_dual_add_nc_u32 v131, -1, v131
	s_add_co_i32 s68, s68, 4
	s_wait_xcnt 0x0
	s_add_co_i32 s65, s65, 4
	ds_load_b32 v133, v133
	v_cmp_eq_u32_e32 vcc_lo, 0, v131
	s_or_b32 s1, vcc_lo, s1
	s_wait_loadcnt_dscnt 0x0
	v_fmac_f32_e32 v130, v132, v133
	s_and_not1_b32 exec_lo, exec_lo, s1
	s_cbranch_execnz .LBB126_23
; %bb.24:
	s_or_b32 exec_lo, exec_lo, s1
.LBB126_25:
	s_delay_alu instid0(SALU_CYCLE_1)
	s_or_b32 exec_lo, exec_lo, s67
	v_mov_b32_e32 v131, 0
	ds_load_b32 v131, v131 offset:236
	s_wait_dscnt 0x0
	v_mul_f32_e32 v130, v130, v131
	scratch_store_b32 off, v130, off offset:236
.LBB126_26:
	s_wait_xcnt 0x0
	s_or_b32 exec_lo, exec_lo, s66
	scratch_load_b32 v130, off, off offset:232
	v_cmp_lt_u32_e64 s1, 58, v0
	s_wait_loadcnt 0x0
	ds_store_b32 v1, v130
	s_wait_storecnt_dscnt 0x0
	s_barrier_signal -1
	s_barrier_wait -1
	s_wait_xcnt 0x0
	s_and_saveexec_b32 s65, s1
	s_cbranch_execz .LBB126_36
; %bb.27:
	s_and_not1_b32 vcc_lo, exec_lo, s6
	s_cbranch_vccnz .LBB126_29
; %bb.28:
	scratch_load_b32 v130, v7, off
	ds_load_b32 v131, v1
	s_wait_loadcnt_dscnt 0x0
	v_mul_f32_e32 v130, v130, v131
	s_cbranch_execz .LBB126_30
	s_branch .LBB126_31
.LBB126_29:
                                        ; implicit-def: $vgpr130
.LBB126_30:
	ds_load_b32 v130, v1
.LBB126_31:
	s_and_saveexec_b32 s66, s0
	s_cbranch_execz .LBB126_35
; %bb.32:
	v_subrev_nc_u32_e32 v131, 59, v0
	s_movk_i32 s67, 0x1ec
	s_mov_b32 s0, 0
.LBB126_33:                             ; =>This Inner Loop Header: Depth=1
	scratch_load_b32 v132, off, s64
	v_dual_mov_b32 v133, s67 :: v_dual_add_nc_u32 v131, -1, v131
	s_add_co_i32 s67, s67, 4
	s_wait_xcnt 0x0
	s_add_co_i32 s64, s64, 4
	ds_load_b32 v133, v133
	v_cmp_eq_u32_e32 vcc_lo, 0, v131
	s_or_b32 s0, vcc_lo, s0
	s_wait_loadcnt_dscnt 0x0
	v_fmac_f32_e32 v130, v132, v133
	s_and_not1_b32 exec_lo, exec_lo, s0
	s_cbranch_execnz .LBB126_33
; %bb.34:
	s_or_b32 exec_lo, exec_lo, s0
.LBB126_35:
	s_delay_alu instid0(SALU_CYCLE_1)
	s_or_b32 exec_lo, exec_lo, s66
	v_mov_b32_e32 v131, 0
	ds_load_b32 v131, v131 offset:232
	s_wait_dscnt 0x0
	v_mul_f32_e32 v130, v130, v131
	scratch_store_b32 off, v130, off offset:232
.LBB126_36:
	;; [unrolled: 57-line block ×8, first 2 shown]
	s_wait_xcnt 0x0
	s_or_b32 exec_lo, exec_lo, s59
	scratch_load_b32 v130, off, off offset:204
	v_cmp_lt_u32_e64 s0, 51, v0
	s_wait_loadcnt 0x0
	ds_store_b32 v1, v130
	s_wait_storecnt_dscnt 0x0
	s_barrier_signal -1
	s_barrier_wait -1
	s_wait_xcnt 0x0
	s_and_saveexec_b32 s58, s0
	s_cbranch_execz .LBB126_106
; %bb.97:
	s_and_not1_b32 vcc_lo, exec_lo, s6
	s_cbranch_vccnz .LBB126_99
; %bb.98:
	scratch_load_b32 v130, v7, off
	ds_load_b32 v131, v1
	s_wait_loadcnt_dscnt 0x0
	v_mul_f32_e32 v130, v130, v131
	s_cbranch_execz .LBB126_100
	s_branch .LBB126_101
.LBB126_99:
                                        ; implicit-def: $vgpr130
.LBB126_100:
	ds_load_b32 v130, v1
.LBB126_101:
	s_and_saveexec_b32 s59, s1
	s_cbranch_execz .LBB126_105
; %bb.102:
	v_subrev_nc_u32_e32 v131, 52, v0
	s_movk_i32 s60, 0x1d0
	s_mov_b32 s1, 0
.LBB126_103:                            ; =>This Inner Loop Header: Depth=1
	scratch_load_b32 v132, off, s57
	v_dual_mov_b32 v133, s60 :: v_dual_add_nc_u32 v131, -1, v131
	s_add_co_i32 s60, s60, 4
	s_wait_xcnt 0x0
	s_add_co_i32 s57, s57, 4
	ds_load_b32 v133, v133
	v_cmp_eq_u32_e32 vcc_lo, 0, v131
	s_or_b32 s1, vcc_lo, s1
	s_wait_loadcnt_dscnt 0x0
	v_fmac_f32_e32 v130, v132, v133
	s_and_not1_b32 exec_lo, exec_lo, s1
	s_cbranch_execnz .LBB126_103
; %bb.104:
	s_or_b32 exec_lo, exec_lo, s1
.LBB126_105:
	s_delay_alu instid0(SALU_CYCLE_1)
	s_or_b32 exec_lo, exec_lo, s59
	v_mov_b32_e32 v131, 0
	ds_load_b32 v131, v131 offset:204
	s_wait_dscnt 0x0
	v_mul_f32_e32 v130, v130, v131
	scratch_store_b32 off, v130, off offset:204
.LBB126_106:
	s_wait_xcnt 0x0
	s_or_b32 exec_lo, exec_lo, s58
	scratch_load_b32 v130, off, off offset:200
	v_cmp_lt_u32_e64 s1, 50, v0
	s_wait_loadcnt 0x0
	ds_store_b32 v1, v130
	s_wait_storecnt_dscnt 0x0
	s_barrier_signal -1
	s_barrier_wait -1
	s_wait_xcnt 0x0
	s_and_saveexec_b32 s57, s1
	s_cbranch_execz .LBB126_116
; %bb.107:
	s_and_not1_b32 vcc_lo, exec_lo, s6
	s_cbranch_vccnz .LBB126_109
; %bb.108:
	scratch_load_b32 v130, v7, off
	ds_load_b32 v131, v1
	s_wait_loadcnt_dscnt 0x0
	v_mul_f32_e32 v130, v130, v131
	s_cbranch_execz .LBB126_110
	s_branch .LBB126_111
.LBB126_109:
                                        ; implicit-def: $vgpr130
.LBB126_110:
	ds_load_b32 v130, v1
.LBB126_111:
	s_and_saveexec_b32 s58, s0
	s_cbranch_execz .LBB126_115
; %bb.112:
	v_subrev_nc_u32_e32 v131, 51, v0
	s_movk_i32 s59, 0x1cc
	s_mov_b32 s0, 0
.LBB126_113:                            ; =>This Inner Loop Header: Depth=1
	scratch_load_b32 v132, off, s56
	v_dual_mov_b32 v133, s59 :: v_dual_add_nc_u32 v131, -1, v131
	s_add_co_i32 s59, s59, 4
	s_wait_xcnt 0x0
	s_add_co_i32 s56, s56, 4
	ds_load_b32 v133, v133
	v_cmp_eq_u32_e32 vcc_lo, 0, v131
	s_or_b32 s0, vcc_lo, s0
	s_wait_loadcnt_dscnt 0x0
	v_fmac_f32_e32 v130, v132, v133
	s_and_not1_b32 exec_lo, exec_lo, s0
	s_cbranch_execnz .LBB126_113
; %bb.114:
	s_or_b32 exec_lo, exec_lo, s0
.LBB126_115:
	s_delay_alu instid0(SALU_CYCLE_1)
	s_or_b32 exec_lo, exec_lo, s58
	v_mov_b32_e32 v131, 0
	ds_load_b32 v131, v131 offset:200
	s_wait_dscnt 0x0
	v_mul_f32_e32 v130, v130, v131
	scratch_store_b32 off, v130, off offset:200
.LBB126_116:
	;; [unrolled: 57-line block ×36, first 2 shown]
	s_wait_xcnt 0x0
	s_or_b32 exec_lo, exec_lo, s22
	scratch_load_b32 v130, off, off offset:60
	v_cmp_lt_u32_e64 s0, 15, v0
	s_wait_loadcnt 0x0
	ds_store_b32 v1, v130
	s_wait_storecnt_dscnt 0x0
	s_barrier_signal -1
	s_barrier_wait -1
	s_wait_xcnt 0x0
	s_and_saveexec_b32 s21, s0
	s_cbranch_execz .LBB126_466
; %bb.457:
	s_and_not1_b32 vcc_lo, exec_lo, s6
	s_cbranch_vccnz .LBB126_459
; %bb.458:
	scratch_load_b32 v130, v7, off
	ds_load_b32 v131, v1
	s_wait_loadcnt_dscnt 0x0
	v_mul_f32_e32 v130, v130, v131
	s_cbranch_execz .LBB126_460
	s_branch .LBB126_461
.LBB126_459:
                                        ; implicit-def: $vgpr130
.LBB126_460:
	ds_load_b32 v130, v1
.LBB126_461:
	s_and_saveexec_b32 s22, s1
	s_cbranch_execz .LBB126_465
; %bb.462:
	v_add_nc_u32_e32 v131, -16, v0
	s_movk_i32 s23, 0x140
	s_mov_b32 s1, 0
.LBB126_463:                            ; =>This Inner Loop Header: Depth=1
	scratch_load_b32 v132, off, s20
	v_dual_mov_b32 v133, s23 :: v_dual_add_nc_u32 v131, -1, v131
	s_add_co_i32 s23, s23, 4
	s_wait_xcnt 0x0
	s_add_co_i32 s20, s20, 4
	ds_load_b32 v133, v133
	v_cmp_eq_u32_e32 vcc_lo, 0, v131
	s_or_b32 s1, vcc_lo, s1
	s_wait_loadcnt_dscnt 0x0
	v_fmac_f32_e32 v130, v132, v133
	s_and_not1_b32 exec_lo, exec_lo, s1
	s_cbranch_execnz .LBB126_463
; %bb.464:
	s_or_b32 exec_lo, exec_lo, s1
.LBB126_465:
	s_delay_alu instid0(SALU_CYCLE_1)
	s_or_b32 exec_lo, exec_lo, s22
	v_mov_b32_e32 v131, 0
	ds_load_b32 v131, v131 offset:60
	s_wait_dscnt 0x0
	v_mul_f32_e32 v130, v130, v131
	scratch_store_b32 off, v130, off offset:60
.LBB126_466:
	s_wait_xcnt 0x0
	s_or_b32 exec_lo, exec_lo, s21
	scratch_load_b32 v130, off, off offset:56
	v_cmp_lt_u32_e64 s1, 14, v0
	s_wait_loadcnt 0x0
	ds_store_b32 v1, v130
	s_wait_storecnt_dscnt 0x0
	s_barrier_signal -1
	s_barrier_wait -1
	s_wait_xcnt 0x0
	s_and_saveexec_b32 s20, s1
	s_cbranch_execz .LBB126_476
; %bb.467:
	s_and_not1_b32 vcc_lo, exec_lo, s6
	s_cbranch_vccnz .LBB126_469
; %bb.468:
	scratch_load_b32 v130, v7, off
	ds_load_b32 v131, v1
	s_wait_loadcnt_dscnt 0x0
	v_mul_f32_e32 v130, v130, v131
	s_cbranch_execz .LBB126_470
	s_branch .LBB126_471
.LBB126_469:
                                        ; implicit-def: $vgpr130
.LBB126_470:
	ds_load_b32 v130, v1
.LBB126_471:
	s_and_saveexec_b32 s21, s0
	s_cbranch_execz .LBB126_475
; %bb.472:
	v_add_nc_u32_e32 v131, -15, v0
	s_movk_i32 s22, 0x13c
	s_mov_b32 s0, 0
.LBB126_473:                            ; =>This Inner Loop Header: Depth=1
	scratch_load_b32 v132, off, s19
	v_dual_mov_b32 v133, s22 :: v_dual_add_nc_u32 v131, -1, v131
	s_add_co_i32 s22, s22, 4
	s_wait_xcnt 0x0
	s_add_co_i32 s19, s19, 4
	ds_load_b32 v133, v133
	v_cmp_eq_u32_e32 vcc_lo, 0, v131
	s_or_b32 s0, vcc_lo, s0
	s_wait_loadcnt_dscnt 0x0
	v_fmac_f32_e32 v130, v132, v133
	s_and_not1_b32 exec_lo, exec_lo, s0
	s_cbranch_execnz .LBB126_473
; %bb.474:
	s_or_b32 exec_lo, exec_lo, s0
.LBB126_475:
	s_delay_alu instid0(SALU_CYCLE_1)
	s_or_b32 exec_lo, exec_lo, s21
	v_mov_b32_e32 v131, 0
	ds_load_b32 v131, v131 offset:56
	s_wait_dscnt 0x0
	v_mul_f32_e32 v130, v130, v131
	scratch_store_b32 off, v130, off offset:56
.LBB126_476:
	;; [unrolled: 57-line block ×15, first 2 shown]
	s_wait_xcnt 0x0
	s_or_b32 exec_lo, exec_lo, s7
	scratch_load_b32 v130, off, off
	s_mov_b32 s5, 0
	s_mov_b32 s1, exec_lo
	s_wait_loadcnt 0x0
	ds_store_b32 v1, v130
	s_wait_storecnt_dscnt 0x0
	s_barrier_signal -1
	s_barrier_wait -1
	s_wait_xcnt 0x0
	v_cmpx_ne_u32_e32 0, v0
	s_cbranch_execz .LBB126_616
; %bb.607:
	s_and_not1_b32 vcc_lo, exec_lo, s6
	s_cbranch_vccnz .LBB126_609
; %bb.608:
	scratch_load_b32 v130, v7, off
	ds_load_b32 v131, v1
	s_wait_loadcnt_dscnt 0x0
	v_mul_f32_e32 v130, v130, v131
	s_cbranch_execz .LBB126_610
	s_branch .LBB126_611
.LBB126_609:
                                        ; implicit-def: $vgpr130
.LBB126_610:
	ds_load_b32 v130, v1
.LBB126_611:
	s_and_saveexec_b32 s7, s0
	s_cbranch_execz .LBB126_615
; %bb.612:
	v_add_nc_u32_e32 v131, -1, v0
	s_movk_i32 s8, 0x104
	s_mov_b32 s0, 0
.LBB126_613:                            ; =>This Inner Loop Header: Depth=1
	scratch_load_b32 v132, off, s4
	v_dual_mov_b32 v133, s8 :: v_dual_add_nc_u32 v131, -1, v131
	s_add_co_i32 s8, s8, 4
	s_wait_xcnt 0x0
	s_add_co_i32 s4, s4, 4
	ds_load_b32 v133, v133
	v_cmp_eq_u32_e32 vcc_lo, 0, v131
	s_or_b32 s0, vcc_lo, s0
	s_wait_loadcnt_dscnt 0x0
	v_fmac_f32_e32 v130, v132, v133
	s_and_not1_b32 exec_lo, exec_lo, s0
	s_cbranch_execnz .LBB126_613
; %bb.614:
	s_or_b32 exec_lo, exec_lo, s0
.LBB126_615:
	s_delay_alu instid0(SALU_CYCLE_1)
	s_or_b32 exec_lo, exec_lo, s7
	v_mov_b32_e32 v131, 0
	ds_load_b32 v131, v131
	s_wait_dscnt 0x0
	v_mul_f32_e32 v130, v130, v131
	scratch_store_b32 off, v130, off
.LBB126_616:
	s_wait_xcnt 0x0
	s_or_b32 exec_lo, exec_lo, s1
.LBB126_617:
	v_lshl_add_u64 v[188:189], v[8:9], 2, s[2:3]
	v_lshl_add_u64 v[186:187], v[10:11], 2, s[2:3]
	;; [unrolled: 1-line block ×61, first 2 shown]
	s_and_b32 vcc_lo, exec_lo, s5
	s_cbranch_vccz .LBB126_1229
; %bb.618:
	scratch_load_b32 v70, off, off offset:4
	v_cmp_eq_u32_e64 s0, 0, v0
	s_wait_loadcnt 0x0
	ds_store_b32 v1, v70
	s_wait_storecnt_dscnt 0x0
	s_barrier_signal -1
	s_barrier_wait -1
	s_wait_xcnt 0x0
	s_and_saveexec_b32 s1, s0
	s_cbranch_execz .LBB126_624
; %bb.619:
	s_and_b32 vcc_lo, exec_lo, s6
	s_cbranch_vccz .LBB126_621
; %bb.620:
	scratch_load_b32 v70, v7, off
	ds_load_b32 v71, v1
	s_wait_loadcnt_dscnt 0x0
	v_mul_f32_e32 v70, v70, v71
	s_cbranch_execz .LBB126_622
	s_branch .LBB126_623
.LBB126_621:
                                        ; implicit-def: $vgpr70
.LBB126_622:
	ds_load_b32 v70, v1
.LBB126_623:
	v_mov_b32_e32 v71, 0
	ds_load_b32 v71, v71 offset:4
	s_wait_dscnt 0x0
	v_mul_f32_e32 v70, v70, v71
	scratch_store_b32 off, v70, off offset:4
.LBB126_624:
	s_wait_xcnt 0x0
	s_or_b32 exec_lo, exec_lo, s1
	scratch_load_b32 v71, off, off offset:8
	v_cndmask_b32_e64 v70, 0, 1, s6
	s_mov_b32 s1, exec_lo
	s_wait_loadcnt 0x0
	ds_store_b32 v1, v71
	s_wait_storecnt_dscnt 0x0
	s_barrier_signal -1
	s_barrier_wait -1
	s_wait_xcnt 0x0
	v_cmpx_gt_u32_e32 2, v0
	s_cbranch_execz .LBB126_630
; %bb.625:
	s_and_not1_b32 vcc_lo, exec_lo, s6
	s_cbranch_vccnz .LBB126_627
; %bb.626:
	scratch_load_b32 v71, v7, off
	ds_load_b32 v72, v1
	s_wait_loadcnt_dscnt 0x0
	v_mul_f32_e32 v71, v71, v72
	s_cbranch_execz .LBB126_628
	s_branch .LBB126_629
.LBB126_627:
                                        ; implicit-def: $vgpr71
.LBB126_628:
	ds_load_b32 v71, v1
.LBB126_629:
	scratch_load_b32 v74, off, off offset:4
	v_mov_b32_e32 v72, 0
	ds_load_2addr_b32 v[72:73], v72 offset0:2 offset1:65
	s_wait_loadcnt_dscnt 0x0
	v_fma_f32 v73, v74, v73, v71
	s_delay_alu instid0(VALU_DEP_1) | instskip(NEXT) | instid1(VALU_DEP_1)
	v_cndmask_b32_e64 v71, v71, v73, s0
	v_mul_f32_e32 v71, v71, v72
	scratch_store_b32 off, v71, off offset:8
.LBB126_630:
	s_wait_xcnt 0x0
	s_or_b32 exec_lo, exec_lo, s1
	scratch_load_b32 v71, off, off offset:12
	s_mov_b32 s1, exec_lo
	s_wait_loadcnt 0x0
	ds_store_b32 v1, v71
	s_wait_storecnt_dscnt 0x0
	s_barrier_signal -1
	s_barrier_wait -1
	s_wait_xcnt 0x0
	v_cmpx_gt_u32_e32 3, v0
	s_cbranch_execz .LBB126_638
; %bb.631:
	v_cmp_ne_u32_e32 vcc_lo, 1, v70
	s_cbranch_vccnz .LBB126_633
; %bb.632:
	scratch_load_b32 v71, v7, off
	ds_load_b32 v72, v1
	s_wait_loadcnt_dscnt 0x0
	v_mul_f32_e32 v71, v71, v72
	s_cbranch_execz .LBB126_634
	s_branch .LBB126_635
.LBB126_633:
                                        ; implicit-def: $vgpr71
.LBB126_634:
	ds_load_b32 v71, v1
.LBB126_635:
	s_mov_b32 s2, exec_lo
	v_cmpx_ne_u32_e32 2, v0
	s_cbranch_execz .LBB126_637
; %bb.636:
	scratch_load_b32 v72, v7, off offset:4
	scratch_load_b32 v73, off, off offset:8
	ds_load_b32 v74, v1 offset:4
	v_mov_b32_e32 v75, 0
	ds_load_b32 v75, v75 offset:264
	s_wait_loadcnt_dscnt 0x101
	v_fmac_f32_e32 v71, v72, v74
	s_wait_loadcnt_dscnt 0x0
	s_delay_alu instid0(VALU_DEP_1) | instskip(NEXT) | instid1(VALU_DEP_1)
	v_fma_f32 v72, v73, v75, v71
	v_cndmask_b32_e64 v71, v71, v72, s0
.LBB126_637:
	s_or_b32 exec_lo, exec_lo, s2
	v_mov_b32_e32 v72, 0
	ds_load_b32 v72, v72 offset:12
	s_wait_dscnt 0x0
	v_mul_f32_e32 v71, v71, v72
	scratch_store_b32 off, v71, off offset:12
.LBB126_638:
	s_wait_xcnt 0x0
	s_or_b32 exec_lo, exec_lo, s1
	scratch_load_b32 v71, off, off offset:16
	s_mov_b32 s0, exec_lo
	s_wait_loadcnt 0x0
	ds_store_b32 v1, v71
	s_wait_storecnt_dscnt 0x0
	s_barrier_signal -1
	s_barrier_wait -1
	s_wait_xcnt 0x0
	v_cmpx_gt_u32_e32 4, v0
	s_cbranch_execz .LBB126_648
; %bb.639:
	v_cmp_ne_u32_e32 vcc_lo, 1, v70
	s_cbranch_vccnz .LBB126_641
; %bb.640:
	scratch_load_b32 v71, v7, off
	ds_load_b32 v72, v1
	s_wait_loadcnt_dscnt 0x0
	v_mul_f32_e32 v71, v71, v72
	s_cbranch_execz .LBB126_642
	s_branch .LBB126_643
.LBB126_641:
                                        ; implicit-def: $vgpr71
.LBB126_642:
	ds_load_b32 v71, v1
.LBB126_643:
	s_mov_b32 s1, exec_lo
	v_cmpx_ne_u32_e32 3, v0
	s_cbranch_execz .LBB126_647
; %bb.644:
	v_add_nc_u32_e32 v72, 0x104, v6
	v_add3_u32 v73, 0, v6, 4
	v_mov_b32_e32 v74, v0
	s_mov_b32 s2, 0
.LBB126_645:                            ; =>This Inner Loop Header: Depth=1
	scratch_load_b32 v75, v73, off
	ds_load_b32 v76, v72
	v_dual_add_nc_u32 v74, 1, v74 :: v_dual_add_nc_u32 v72, 4, v72
	s_wait_xcnt 0x0
	v_add_nc_u32_e32 v73, 4, v73
	s_delay_alu instid0(VALU_DEP_2)
	v_cmp_lt_u32_e32 vcc_lo, 2, v74
	s_or_b32 s2, vcc_lo, s2
	s_wait_loadcnt_dscnt 0x0
	v_fmac_f32_e32 v71, v75, v76
	s_and_not1_b32 exec_lo, exec_lo, s2
	s_cbranch_execnz .LBB126_645
; %bb.646:
	s_or_b32 exec_lo, exec_lo, s2
.LBB126_647:
	s_delay_alu instid0(SALU_CYCLE_1)
	s_or_b32 exec_lo, exec_lo, s1
	v_mov_b32_e32 v72, 0
	ds_load_b32 v72, v72 offset:16
	s_wait_dscnt 0x0
	v_mul_f32_e32 v71, v71, v72
	scratch_store_b32 off, v71, off offset:16
.LBB126_648:
	s_wait_xcnt 0x0
	s_or_b32 exec_lo, exec_lo, s0
	scratch_load_b32 v71, off, off offset:20
	s_mov_b32 s0, exec_lo
	s_wait_loadcnt 0x0
	ds_store_b32 v1, v71
	s_wait_storecnt_dscnt 0x0
	s_barrier_signal -1
	s_barrier_wait -1
	s_wait_xcnt 0x0
	v_cmpx_gt_u32_e32 5, v0
	s_cbranch_execz .LBB126_658
; %bb.649:
	v_cmp_ne_u32_e32 vcc_lo, 1, v70
	s_cbranch_vccnz .LBB126_651
; %bb.650:
	scratch_load_b32 v71, v7, off
	ds_load_b32 v72, v1
	s_wait_loadcnt_dscnt 0x0
	v_mul_f32_e32 v71, v71, v72
	s_cbranch_execz .LBB126_652
	s_branch .LBB126_653
.LBB126_651:
                                        ; implicit-def: $vgpr71
.LBB126_652:
	ds_load_b32 v71, v1
.LBB126_653:
	s_mov_b32 s1, exec_lo
	v_cmpx_ne_u32_e32 4, v0
	s_cbranch_execz .LBB126_657
; %bb.654:
	v_add_nc_u32_e32 v72, 0x104, v6
	v_add3_u32 v73, 0, v6, 4
	v_mov_b32_e32 v74, v0
	s_mov_b32 s2, 0
.LBB126_655:                            ; =>This Inner Loop Header: Depth=1
	scratch_load_b32 v75, v73, off
	ds_load_b32 v76, v72
	v_dual_add_nc_u32 v74, 1, v74 :: v_dual_add_nc_u32 v72, 4, v72
	s_wait_xcnt 0x0
	v_add_nc_u32_e32 v73, 4, v73
	s_delay_alu instid0(VALU_DEP_2)
	v_cmp_lt_u32_e32 vcc_lo, 3, v74
	s_or_b32 s2, vcc_lo, s2
	s_wait_loadcnt_dscnt 0x0
	v_fmac_f32_e32 v71, v75, v76
	s_and_not1_b32 exec_lo, exec_lo, s2
	s_cbranch_execnz .LBB126_655
; %bb.656:
	s_or_b32 exec_lo, exec_lo, s2
.LBB126_657:
	s_delay_alu instid0(SALU_CYCLE_1)
	s_or_b32 exec_lo, exec_lo, s1
	v_mov_b32_e32 v72, 0
	ds_load_b32 v72, v72 offset:20
	s_wait_dscnt 0x0
	v_mul_f32_e32 v71, v71, v72
	scratch_store_b32 off, v71, off offset:20
.LBB126_658:
	s_wait_xcnt 0x0
	s_or_b32 exec_lo, exec_lo, s0
	scratch_load_b32 v71, off, off offset:24
	s_mov_b32 s0, exec_lo
	s_wait_loadcnt 0x0
	ds_store_b32 v1, v71
	s_wait_storecnt_dscnt 0x0
	s_barrier_signal -1
	s_barrier_wait -1
	s_wait_xcnt 0x0
	v_cmpx_gt_u32_e32 6, v0
	s_cbranch_execz .LBB126_668
; %bb.659:
	v_cmp_ne_u32_e32 vcc_lo, 1, v70
	s_cbranch_vccnz .LBB126_661
; %bb.660:
	scratch_load_b32 v71, v7, off
	ds_load_b32 v72, v1
	s_wait_loadcnt_dscnt 0x0
	v_mul_f32_e32 v71, v71, v72
	s_cbranch_execz .LBB126_662
	s_branch .LBB126_663
.LBB126_661:
                                        ; implicit-def: $vgpr71
.LBB126_662:
	ds_load_b32 v71, v1
.LBB126_663:
	s_mov_b32 s1, exec_lo
	v_cmpx_ne_u32_e32 5, v0
	s_cbranch_execz .LBB126_667
; %bb.664:
	v_add_nc_u32_e32 v72, 0x104, v6
	v_add3_u32 v73, 0, v6, 4
	v_mov_b32_e32 v74, v0
	s_mov_b32 s2, 0
.LBB126_665:                            ; =>This Inner Loop Header: Depth=1
	scratch_load_b32 v75, v73, off
	ds_load_b32 v76, v72
	v_dual_add_nc_u32 v74, 1, v74 :: v_dual_add_nc_u32 v72, 4, v72
	s_wait_xcnt 0x0
	v_add_nc_u32_e32 v73, 4, v73
	s_delay_alu instid0(VALU_DEP_2)
	v_cmp_lt_u32_e32 vcc_lo, 4, v74
	s_or_b32 s2, vcc_lo, s2
	s_wait_loadcnt_dscnt 0x0
	v_fmac_f32_e32 v71, v75, v76
	s_and_not1_b32 exec_lo, exec_lo, s2
	s_cbranch_execnz .LBB126_665
; %bb.666:
	s_or_b32 exec_lo, exec_lo, s2
.LBB126_667:
	s_delay_alu instid0(SALU_CYCLE_1)
	s_or_b32 exec_lo, exec_lo, s1
	v_mov_b32_e32 v72, 0
	ds_load_b32 v72, v72 offset:24
	s_wait_dscnt 0x0
	v_mul_f32_e32 v71, v71, v72
	scratch_store_b32 off, v71, off offset:24
.LBB126_668:
	s_wait_xcnt 0x0
	s_or_b32 exec_lo, exec_lo, s0
	scratch_load_b32 v71, off, off offset:28
	s_mov_b32 s0, exec_lo
	s_wait_loadcnt 0x0
	ds_store_b32 v1, v71
	s_wait_storecnt_dscnt 0x0
	s_barrier_signal -1
	s_barrier_wait -1
	s_wait_xcnt 0x0
	v_cmpx_gt_u32_e32 7, v0
	s_cbranch_execz .LBB126_678
; %bb.669:
	v_cmp_ne_u32_e32 vcc_lo, 1, v70
	s_cbranch_vccnz .LBB126_671
; %bb.670:
	scratch_load_b32 v71, v7, off
	ds_load_b32 v72, v1
	s_wait_loadcnt_dscnt 0x0
	v_mul_f32_e32 v71, v71, v72
	s_cbranch_execz .LBB126_672
	s_branch .LBB126_673
.LBB126_671:
                                        ; implicit-def: $vgpr71
.LBB126_672:
	ds_load_b32 v71, v1
.LBB126_673:
	s_mov_b32 s1, exec_lo
	v_cmpx_ne_u32_e32 6, v0
	s_cbranch_execz .LBB126_677
; %bb.674:
	v_add_nc_u32_e32 v72, 0x104, v6
	v_add3_u32 v73, 0, v6, 4
	v_mov_b32_e32 v74, v0
	s_mov_b32 s2, 0
.LBB126_675:                            ; =>This Inner Loop Header: Depth=1
	scratch_load_b32 v75, v73, off
	ds_load_b32 v76, v72
	v_dual_add_nc_u32 v74, 1, v74 :: v_dual_add_nc_u32 v72, 4, v72
	s_wait_xcnt 0x0
	v_add_nc_u32_e32 v73, 4, v73
	s_delay_alu instid0(VALU_DEP_2)
	v_cmp_lt_u32_e32 vcc_lo, 5, v74
	s_or_b32 s2, vcc_lo, s2
	s_wait_loadcnt_dscnt 0x0
	v_fmac_f32_e32 v71, v75, v76
	s_and_not1_b32 exec_lo, exec_lo, s2
	s_cbranch_execnz .LBB126_675
; %bb.676:
	s_or_b32 exec_lo, exec_lo, s2
.LBB126_677:
	s_delay_alu instid0(SALU_CYCLE_1)
	s_or_b32 exec_lo, exec_lo, s1
	v_mov_b32_e32 v72, 0
	ds_load_b32 v72, v72 offset:28
	s_wait_dscnt 0x0
	v_mul_f32_e32 v71, v71, v72
	scratch_store_b32 off, v71, off offset:28
.LBB126_678:
	s_wait_xcnt 0x0
	s_or_b32 exec_lo, exec_lo, s0
	scratch_load_b32 v71, off, off offset:32
	s_mov_b32 s0, exec_lo
	s_wait_loadcnt 0x0
	ds_store_b32 v1, v71
	s_wait_storecnt_dscnt 0x0
	s_barrier_signal -1
	s_barrier_wait -1
	s_wait_xcnt 0x0
	v_cmpx_gt_u32_e32 8, v0
	s_cbranch_execz .LBB126_688
; %bb.679:
	v_cmp_ne_u32_e32 vcc_lo, 1, v70
	s_cbranch_vccnz .LBB126_681
; %bb.680:
	scratch_load_b32 v71, v7, off
	ds_load_b32 v72, v1
	s_wait_loadcnt_dscnt 0x0
	v_mul_f32_e32 v71, v71, v72
	s_cbranch_execz .LBB126_682
	s_branch .LBB126_683
.LBB126_681:
                                        ; implicit-def: $vgpr71
.LBB126_682:
	ds_load_b32 v71, v1
.LBB126_683:
	s_mov_b32 s1, exec_lo
	v_cmpx_ne_u32_e32 7, v0
	s_cbranch_execz .LBB126_687
; %bb.684:
	v_add_nc_u32_e32 v72, 0x104, v6
	v_add3_u32 v73, 0, v6, 4
	v_mov_b32_e32 v74, v0
	s_mov_b32 s2, 0
.LBB126_685:                            ; =>This Inner Loop Header: Depth=1
	scratch_load_b32 v75, v73, off
	ds_load_b32 v76, v72
	v_dual_add_nc_u32 v74, 1, v74 :: v_dual_add_nc_u32 v72, 4, v72
	s_wait_xcnt 0x0
	v_add_nc_u32_e32 v73, 4, v73
	s_delay_alu instid0(VALU_DEP_2)
	v_cmp_lt_u32_e32 vcc_lo, 6, v74
	s_or_b32 s2, vcc_lo, s2
	s_wait_loadcnt_dscnt 0x0
	v_fmac_f32_e32 v71, v75, v76
	s_and_not1_b32 exec_lo, exec_lo, s2
	s_cbranch_execnz .LBB126_685
; %bb.686:
	s_or_b32 exec_lo, exec_lo, s2
.LBB126_687:
	s_delay_alu instid0(SALU_CYCLE_1)
	s_or_b32 exec_lo, exec_lo, s1
	v_mov_b32_e32 v72, 0
	ds_load_b32 v72, v72 offset:32
	s_wait_dscnt 0x0
	v_mul_f32_e32 v71, v71, v72
	scratch_store_b32 off, v71, off offset:32
.LBB126_688:
	s_wait_xcnt 0x0
	s_or_b32 exec_lo, exec_lo, s0
	scratch_load_b32 v71, off, off offset:36
	s_mov_b32 s0, exec_lo
	s_wait_loadcnt 0x0
	ds_store_b32 v1, v71
	s_wait_storecnt_dscnt 0x0
	s_barrier_signal -1
	s_barrier_wait -1
	s_wait_xcnt 0x0
	v_cmpx_gt_u32_e32 9, v0
	s_cbranch_execz .LBB126_698
; %bb.689:
	v_cmp_ne_u32_e32 vcc_lo, 1, v70
	s_cbranch_vccnz .LBB126_691
; %bb.690:
	scratch_load_b32 v71, v7, off
	ds_load_b32 v72, v1
	s_wait_loadcnt_dscnt 0x0
	v_mul_f32_e32 v71, v71, v72
	s_cbranch_execz .LBB126_692
	s_branch .LBB126_693
.LBB126_691:
                                        ; implicit-def: $vgpr71
.LBB126_692:
	ds_load_b32 v71, v1
.LBB126_693:
	s_mov_b32 s1, exec_lo
	v_cmpx_ne_u32_e32 8, v0
	s_cbranch_execz .LBB126_697
; %bb.694:
	v_add_nc_u32_e32 v72, 0x104, v6
	v_add3_u32 v73, 0, v6, 4
	v_mov_b32_e32 v74, v0
	s_mov_b32 s2, 0
.LBB126_695:                            ; =>This Inner Loop Header: Depth=1
	scratch_load_b32 v75, v73, off
	ds_load_b32 v76, v72
	v_dual_add_nc_u32 v74, 1, v74 :: v_dual_add_nc_u32 v72, 4, v72
	s_wait_xcnt 0x0
	v_add_nc_u32_e32 v73, 4, v73
	s_delay_alu instid0(VALU_DEP_2)
	v_cmp_lt_u32_e32 vcc_lo, 7, v74
	s_or_b32 s2, vcc_lo, s2
	s_wait_loadcnt_dscnt 0x0
	v_fmac_f32_e32 v71, v75, v76
	s_and_not1_b32 exec_lo, exec_lo, s2
	s_cbranch_execnz .LBB126_695
; %bb.696:
	s_or_b32 exec_lo, exec_lo, s2
.LBB126_697:
	s_delay_alu instid0(SALU_CYCLE_1)
	s_or_b32 exec_lo, exec_lo, s1
	v_mov_b32_e32 v72, 0
	ds_load_b32 v72, v72 offset:36
	s_wait_dscnt 0x0
	v_mul_f32_e32 v71, v71, v72
	scratch_store_b32 off, v71, off offset:36
.LBB126_698:
	s_wait_xcnt 0x0
	s_or_b32 exec_lo, exec_lo, s0
	scratch_load_b32 v71, off, off offset:40
	s_mov_b32 s0, exec_lo
	s_wait_loadcnt 0x0
	ds_store_b32 v1, v71
	s_wait_storecnt_dscnt 0x0
	s_barrier_signal -1
	s_barrier_wait -1
	s_wait_xcnt 0x0
	v_cmpx_gt_u32_e32 10, v0
	s_cbranch_execz .LBB126_708
; %bb.699:
	v_cmp_ne_u32_e32 vcc_lo, 1, v70
	s_cbranch_vccnz .LBB126_701
; %bb.700:
	scratch_load_b32 v71, v7, off
	ds_load_b32 v72, v1
	s_wait_loadcnt_dscnt 0x0
	v_mul_f32_e32 v71, v71, v72
	s_cbranch_execz .LBB126_702
	s_branch .LBB126_703
.LBB126_701:
                                        ; implicit-def: $vgpr71
.LBB126_702:
	ds_load_b32 v71, v1
.LBB126_703:
	s_mov_b32 s1, exec_lo
	v_cmpx_ne_u32_e32 9, v0
	s_cbranch_execz .LBB126_707
; %bb.704:
	v_add_nc_u32_e32 v72, 0x104, v6
	v_add3_u32 v73, 0, v6, 4
	v_mov_b32_e32 v74, v0
	s_mov_b32 s2, 0
.LBB126_705:                            ; =>This Inner Loop Header: Depth=1
	scratch_load_b32 v75, v73, off
	ds_load_b32 v76, v72
	v_dual_add_nc_u32 v74, 1, v74 :: v_dual_add_nc_u32 v72, 4, v72
	s_wait_xcnt 0x0
	v_add_nc_u32_e32 v73, 4, v73
	s_delay_alu instid0(VALU_DEP_2)
	v_cmp_lt_u32_e32 vcc_lo, 8, v74
	s_or_b32 s2, vcc_lo, s2
	s_wait_loadcnt_dscnt 0x0
	v_fmac_f32_e32 v71, v75, v76
	s_and_not1_b32 exec_lo, exec_lo, s2
	s_cbranch_execnz .LBB126_705
; %bb.706:
	s_or_b32 exec_lo, exec_lo, s2
.LBB126_707:
	s_delay_alu instid0(SALU_CYCLE_1)
	s_or_b32 exec_lo, exec_lo, s1
	v_mov_b32_e32 v72, 0
	ds_load_b32 v72, v72 offset:40
	s_wait_dscnt 0x0
	v_mul_f32_e32 v71, v71, v72
	scratch_store_b32 off, v71, off offset:40
.LBB126_708:
	s_wait_xcnt 0x0
	s_or_b32 exec_lo, exec_lo, s0
	scratch_load_b32 v71, off, off offset:44
	s_mov_b32 s0, exec_lo
	s_wait_loadcnt 0x0
	ds_store_b32 v1, v71
	s_wait_storecnt_dscnt 0x0
	s_barrier_signal -1
	s_barrier_wait -1
	s_wait_xcnt 0x0
	v_cmpx_gt_u32_e32 11, v0
	s_cbranch_execz .LBB126_718
; %bb.709:
	v_cmp_ne_u32_e32 vcc_lo, 1, v70
	s_cbranch_vccnz .LBB126_711
; %bb.710:
	scratch_load_b32 v71, v7, off
	ds_load_b32 v72, v1
	s_wait_loadcnt_dscnt 0x0
	v_mul_f32_e32 v71, v71, v72
	s_cbranch_execz .LBB126_712
	s_branch .LBB126_713
.LBB126_711:
                                        ; implicit-def: $vgpr71
.LBB126_712:
	ds_load_b32 v71, v1
.LBB126_713:
	s_mov_b32 s1, exec_lo
	v_cmpx_ne_u32_e32 10, v0
	s_cbranch_execz .LBB126_717
; %bb.714:
	v_add_nc_u32_e32 v72, 0x104, v6
	v_add3_u32 v73, 0, v6, 4
	v_mov_b32_e32 v74, v0
	s_mov_b32 s2, 0
.LBB126_715:                            ; =>This Inner Loop Header: Depth=1
	scratch_load_b32 v75, v73, off
	ds_load_b32 v76, v72
	v_dual_add_nc_u32 v74, 1, v74 :: v_dual_add_nc_u32 v72, 4, v72
	s_wait_xcnt 0x0
	v_add_nc_u32_e32 v73, 4, v73
	s_delay_alu instid0(VALU_DEP_2)
	v_cmp_lt_u32_e32 vcc_lo, 9, v74
	s_or_b32 s2, vcc_lo, s2
	s_wait_loadcnt_dscnt 0x0
	v_fmac_f32_e32 v71, v75, v76
	s_and_not1_b32 exec_lo, exec_lo, s2
	s_cbranch_execnz .LBB126_715
; %bb.716:
	s_or_b32 exec_lo, exec_lo, s2
.LBB126_717:
	s_delay_alu instid0(SALU_CYCLE_1)
	s_or_b32 exec_lo, exec_lo, s1
	v_mov_b32_e32 v72, 0
	ds_load_b32 v72, v72 offset:44
	s_wait_dscnt 0x0
	v_mul_f32_e32 v71, v71, v72
	scratch_store_b32 off, v71, off offset:44
.LBB126_718:
	s_wait_xcnt 0x0
	s_or_b32 exec_lo, exec_lo, s0
	scratch_load_b32 v71, off, off offset:48
	s_mov_b32 s0, exec_lo
	s_wait_loadcnt 0x0
	ds_store_b32 v1, v71
	s_wait_storecnt_dscnt 0x0
	s_barrier_signal -1
	s_barrier_wait -1
	s_wait_xcnt 0x0
	v_cmpx_gt_u32_e32 12, v0
	s_cbranch_execz .LBB126_728
; %bb.719:
	v_cmp_ne_u32_e32 vcc_lo, 1, v70
	s_cbranch_vccnz .LBB126_721
; %bb.720:
	scratch_load_b32 v71, v7, off
	ds_load_b32 v72, v1
	s_wait_loadcnt_dscnt 0x0
	v_mul_f32_e32 v71, v71, v72
	s_cbranch_execz .LBB126_722
	s_branch .LBB126_723
.LBB126_721:
                                        ; implicit-def: $vgpr71
.LBB126_722:
	ds_load_b32 v71, v1
.LBB126_723:
	s_mov_b32 s1, exec_lo
	v_cmpx_ne_u32_e32 11, v0
	s_cbranch_execz .LBB126_727
; %bb.724:
	v_add_nc_u32_e32 v72, 0x104, v6
	v_add3_u32 v73, 0, v6, 4
	v_mov_b32_e32 v74, v0
	s_mov_b32 s2, 0
.LBB126_725:                            ; =>This Inner Loop Header: Depth=1
	scratch_load_b32 v75, v73, off
	ds_load_b32 v76, v72
	v_dual_add_nc_u32 v74, 1, v74 :: v_dual_add_nc_u32 v72, 4, v72
	s_wait_xcnt 0x0
	v_add_nc_u32_e32 v73, 4, v73
	s_delay_alu instid0(VALU_DEP_2)
	v_cmp_lt_u32_e32 vcc_lo, 10, v74
	s_or_b32 s2, vcc_lo, s2
	s_wait_loadcnt_dscnt 0x0
	v_fmac_f32_e32 v71, v75, v76
	s_and_not1_b32 exec_lo, exec_lo, s2
	s_cbranch_execnz .LBB126_725
; %bb.726:
	s_or_b32 exec_lo, exec_lo, s2
.LBB126_727:
	s_delay_alu instid0(SALU_CYCLE_1)
	s_or_b32 exec_lo, exec_lo, s1
	v_mov_b32_e32 v72, 0
	ds_load_b32 v72, v72 offset:48
	s_wait_dscnt 0x0
	v_mul_f32_e32 v71, v71, v72
	scratch_store_b32 off, v71, off offset:48
.LBB126_728:
	s_wait_xcnt 0x0
	s_or_b32 exec_lo, exec_lo, s0
	scratch_load_b32 v71, off, off offset:52
	s_mov_b32 s0, exec_lo
	s_wait_loadcnt 0x0
	ds_store_b32 v1, v71
	s_wait_storecnt_dscnt 0x0
	s_barrier_signal -1
	s_barrier_wait -1
	s_wait_xcnt 0x0
	v_cmpx_gt_u32_e32 13, v0
	s_cbranch_execz .LBB126_738
; %bb.729:
	v_cmp_ne_u32_e32 vcc_lo, 1, v70
	s_cbranch_vccnz .LBB126_731
; %bb.730:
	scratch_load_b32 v71, v7, off
	ds_load_b32 v72, v1
	s_wait_loadcnt_dscnt 0x0
	v_mul_f32_e32 v71, v71, v72
	s_cbranch_execz .LBB126_732
	s_branch .LBB126_733
.LBB126_731:
                                        ; implicit-def: $vgpr71
.LBB126_732:
	ds_load_b32 v71, v1
.LBB126_733:
	s_mov_b32 s1, exec_lo
	v_cmpx_ne_u32_e32 12, v0
	s_cbranch_execz .LBB126_737
; %bb.734:
	v_add_nc_u32_e32 v72, 0x104, v6
	v_add3_u32 v73, 0, v6, 4
	v_mov_b32_e32 v74, v0
	s_mov_b32 s2, 0
.LBB126_735:                            ; =>This Inner Loop Header: Depth=1
	scratch_load_b32 v75, v73, off
	ds_load_b32 v76, v72
	v_dual_add_nc_u32 v74, 1, v74 :: v_dual_add_nc_u32 v72, 4, v72
	s_wait_xcnt 0x0
	v_add_nc_u32_e32 v73, 4, v73
	s_delay_alu instid0(VALU_DEP_2)
	v_cmp_lt_u32_e32 vcc_lo, 11, v74
	s_or_b32 s2, vcc_lo, s2
	s_wait_loadcnt_dscnt 0x0
	v_fmac_f32_e32 v71, v75, v76
	s_and_not1_b32 exec_lo, exec_lo, s2
	s_cbranch_execnz .LBB126_735
; %bb.736:
	s_or_b32 exec_lo, exec_lo, s2
.LBB126_737:
	s_delay_alu instid0(SALU_CYCLE_1)
	s_or_b32 exec_lo, exec_lo, s1
	v_mov_b32_e32 v72, 0
	ds_load_b32 v72, v72 offset:52
	s_wait_dscnt 0x0
	v_mul_f32_e32 v71, v71, v72
	scratch_store_b32 off, v71, off offset:52
.LBB126_738:
	s_wait_xcnt 0x0
	s_or_b32 exec_lo, exec_lo, s0
	scratch_load_b32 v71, off, off offset:56
	s_mov_b32 s0, exec_lo
	s_wait_loadcnt 0x0
	ds_store_b32 v1, v71
	s_wait_storecnt_dscnt 0x0
	s_barrier_signal -1
	s_barrier_wait -1
	s_wait_xcnt 0x0
	v_cmpx_gt_u32_e32 14, v0
	s_cbranch_execz .LBB126_748
; %bb.739:
	v_cmp_ne_u32_e32 vcc_lo, 1, v70
	s_cbranch_vccnz .LBB126_741
; %bb.740:
	scratch_load_b32 v71, v7, off
	ds_load_b32 v72, v1
	s_wait_loadcnt_dscnt 0x0
	v_mul_f32_e32 v71, v71, v72
	s_cbranch_execz .LBB126_742
	s_branch .LBB126_743
.LBB126_741:
                                        ; implicit-def: $vgpr71
.LBB126_742:
	ds_load_b32 v71, v1
.LBB126_743:
	s_mov_b32 s1, exec_lo
	v_cmpx_ne_u32_e32 13, v0
	s_cbranch_execz .LBB126_747
; %bb.744:
	v_add_nc_u32_e32 v72, 0x104, v6
	v_add3_u32 v73, 0, v6, 4
	v_mov_b32_e32 v74, v0
	s_mov_b32 s2, 0
.LBB126_745:                            ; =>This Inner Loop Header: Depth=1
	scratch_load_b32 v75, v73, off
	ds_load_b32 v76, v72
	v_dual_add_nc_u32 v74, 1, v74 :: v_dual_add_nc_u32 v72, 4, v72
	s_wait_xcnt 0x0
	v_add_nc_u32_e32 v73, 4, v73
	s_delay_alu instid0(VALU_DEP_2)
	v_cmp_lt_u32_e32 vcc_lo, 12, v74
	s_or_b32 s2, vcc_lo, s2
	s_wait_loadcnt_dscnt 0x0
	v_fmac_f32_e32 v71, v75, v76
	s_and_not1_b32 exec_lo, exec_lo, s2
	s_cbranch_execnz .LBB126_745
; %bb.746:
	s_or_b32 exec_lo, exec_lo, s2
.LBB126_747:
	s_delay_alu instid0(SALU_CYCLE_1)
	s_or_b32 exec_lo, exec_lo, s1
	v_mov_b32_e32 v72, 0
	ds_load_b32 v72, v72 offset:56
	s_wait_dscnt 0x0
	v_mul_f32_e32 v71, v71, v72
	scratch_store_b32 off, v71, off offset:56
.LBB126_748:
	s_wait_xcnt 0x0
	s_or_b32 exec_lo, exec_lo, s0
	scratch_load_b32 v71, off, off offset:60
	s_mov_b32 s0, exec_lo
	s_wait_loadcnt 0x0
	ds_store_b32 v1, v71
	s_wait_storecnt_dscnt 0x0
	s_barrier_signal -1
	s_barrier_wait -1
	s_wait_xcnt 0x0
	v_cmpx_gt_u32_e32 15, v0
	s_cbranch_execz .LBB126_758
; %bb.749:
	v_cmp_ne_u32_e32 vcc_lo, 1, v70
	s_cbranch_vccnz .LBB126_751
; %bb.750:
	scratch_load_b32 v71, v7, off
	ds_load_b32 v72, v1
	s_wait_loadcnt_dscnt 0x0
	v_mul_f32_e32 v71, v71, v72
	s_cbranch_execz .LBB126_752
	s_branch .LBB126_753
.LBB126_751:
                                        ; implicit-def: $vgpr71
.LBB126_752:
	ds_load_b32 v71, v1
.LBB126_753:
	s_mov_b32 s1, exec_lo
	v_cmpx_ne_u32_e32 14, v0
	s_cbranch_execz .LBB126_757
; %bb.754:
	v_add_nc_u32_e32 v72, 0x104, v6
	v_add3_u32 v73, 0, v6, 4
	v_mov_b32_e32 v74, v0
	s_mov_b32 s2, 0
.LBB126_755:                            ; =>This Inner Loop Header: Depth=1
	scratch_load_b32 v75, v73, off
	ds_load_b32 v76, v72
	v_dual_add_nc_u32 v74, 1, v74 :: v_dual_add_nc_u32 v72, 4, v72
	s_wait_xcnt 0x0
	v_add_nc_u32_e32 v73, 4, v73
	s_delay_alu instid0(VALU_DEP_2)
	v_cmp_lt_u32_e32 vcc_lo, 13, v74
	s_or_b32 s2, vcc_lo, s2
	s_wait_loadcnt_dscnt 0x0
	v_fmac_f32_e32 v71, v75, v76
	s_and_not1_b32 exec_lo, exec_lo, s2
	s_cbranch_execnz .LBB126_755
; %bb.756:
	s_or_b32 exec_lo, exec_lo, s2
.LBB126_757:
	s_delay_alu instid0(SALU_CYCLE_1)
	s_or_b32 exec_lo, exec_lo, s1
	v_mov_b32_e32 v72, 0
	ds_load_b32 v72, v72 offset:60
	s_wait_dscnt 0x0
	v_mul_f32_e32 v71, v71, v72
	scratch_store_b32 off, v71, off offset:60
.LBB126_758:
	s_wait_xcnt 0x0
	s_or_b32 exec_lo, exec_lo, s0
	scratch_load_b32 v71, off, off offset:64
	s_mov_b32 s0, exec_lo
	s_wait_loadcnt 0x0
	ds_store_b32 v1, v71
	s_wait_storecnt_dscnt 0x0
	s_barrier_signal -1
	s_barrier_wait -1
	s_wait_xcnt 0x0
	v_cmpx_gt_u32_e32 16, v0
	s_cbranch_execz .LBB126_768
; %bb.759:
	v_cmp_ne_u32_e32 vcc_lo, 1, v70
	s_cbranch_vccnz .LBB126_761
; %bb.760:
	scratch_load_b32 v71, v7, off
	ds_load_b32 v72, v1
	s_wait_loadcnt_dscnt 0x0
	v_mul_f32_e32 v71, v71, v72
	s_cbranch_execz .LBB126_762
	s_branch .LBB126_763
.LBB126_761:
                                        ; implicit-def: $vgpr71
.LBB126_762:
	ds_load_b32 v71, v1
.LBB126_763:
	s_mov_b32 s1, exec_lo
	v_cmpx_ne_u32_e32 15, v0
	s_cbranch_execz .LBB126_767
; %bb.764:
	v_add_nc_u32_e32 v72, 0x104, v6
	v_add3_u32 v73, 0, v6, 4
	v_mov_b32_e32 v74, v0
	s_mov_b32 s2, 0
.LBB126_765:                            ; =>This Inner Loop Header: Depth=1
	scratch_load_b32 v75, v73, off
	ds_load_b32 v76, v72
	v_dual_add_nc_u32 v74, 1, v74 :: v_dual_add_nc_u32 v72, 4, v72
	s_wait_xcnt 0x0
	v_add_nc_u32_e32 v73, 4, v73
	s_delay_alu instid0(VALU_DEP_2)
	v_cmp_lt_u32_e32 vcc_lo, 14, v74
	s_or_b32 s2, vcc_lo, s2
	s_wait_loadcnt_dscnt 0x0
	v_fmac_f32_e32 v71, v75, v76
	s_and_not1_b32 exec_lo, exec_lo, s2
	s_cbranch_execnz .LBB126_765
; %bb.766:
	s_or_b32 exec_lo, exec_lo, s2
.LBB126_767:
	s_delay_alu instid0(SALU_CYCLE_1)
	s_or_b32 exec_lo, exec_lo, s1
	v_mov_b32_e32 v72, 0
	ds_load_b32 v72, v72 offset:64
	s_wait_dscnt 0x0
	v_mul_f32_e32 v71, v71, v72
	scratch_store_b32 off, v71, off offset:64
.LBB126_768:
	s_wait_xcnt 0x0
	s_or_b32 exec_lo, exec_lo, s0
	scratch_load_b32 v71, off, off offset:68
	s_mov_b32 s0, exec_lo
	s_wait_loadcnt 0x0
	ds_store_b32 v1, v71
	s_wait_storecnt_dscnt 0x0
	s_barrier_signal -1
	s_barrier_wait -1
	s_wait_xcnt 0x0
	v_cmpx_gt_u32_e32 17, v0
	s_cbranch_execz .LBB126_778
; %bb.769:
	v_cmp_ne_u32_e32 vcc_lo, 1, v70
	s_cbranch_vccnz .LBB126_771
; %bb.770:
	scratch_load_b32 v71, v7, off
	ds_load_b32 v72, v1
	s_wait_loadcnt_dscnt 0x0
	v_mul_f32_e32 v71, v71, v72
	s_cbranch_execz .LBB126_772
	s_branch .LBB126_773
.LBB126_771:
                                        ; implicit-def: $vgpr71
.LBB126_772:
	ds_load_b32 v71, v1
.LBB126_773:
	s_mov_b32 s1, exec_lo
	v_cmpx_ne_u32_e32 16, v0
	s_cbranch_execz .LBB126_777
; %bb.774:
	v_add_nc_u32_e32 v72, 0x104, v6
	v_add3_u32 v73, 0, v6, 4
	v_mov_b32_e32 v74, v0
	s_mov_b32 s2, 0
.LBB126_775:                            ; =>This Inner Loop Header: Depth=1
	scratch_load_b32 v75, v73, off
	ds_load_b32 v76, v72
	v_dual_add_nc_u32 v74, 1, v74 :: v_dual_add_nc_u32 v72, 4, v72
	s_wait_xcnt 0x0
	v_add_nc_u32_e32 v73, 4, v73
	s_delay_alu instid0(VALU_DEP_2)
	v_cmp_lt_u32_e32 vcc_lo, 15, v74
	s_or_b32 s2, vcc_lo, s2
	s_wait_loadcnt_dscnt 0x0
	v_fmac_f32_e32 v71, v75, v76
	s_and_not1_b32 exec_lo, exec_lo, s2
	s_cbranch_execnz .LBB126_775
; %bb.776:
	s_or_b32 exec_lo, exec_lo, s2
.LBB126_777:
	s_delay_alu instid0(SALU_CYCLE_1)
	s_or_b32 exec_lo, exec_lo, s1
	v_mov_b32_e32 v72, 0
	ds_load_b32 v72, v72 offset:68
	s_wait_dscnt 0x0
	v_mul_f32_e32 v71, v71, v72
	scratch_store_b32 off, v71, off offset:68
.LBB126_778:
	s_wait_xcnt 0x0
	s_or_b32 exec_lo, exec_lo, s0
	scratch_load_b32 v71, off, off offset:72
	s_mov_b32 s0, exec_lo
	s_wait_loadcnt 0x0
	ds_store_b32 v1, v71
	s_wait_storecnt_dscnt 0x0
	s_barrier_signal -1
	s_barrier_wait -1
	s_wait_xcnt 0x0
	v_cmpx_gt_u32_e32 18, v0
	s_cbranch_execz .LBB126_788
; %bb.779:
	v_cmp_ne_u32_e32 vcc_lo, 1, v70
	s_cbranch_vccnz .LBB126_781
; %bb.780:
	scratch_load_b32 v71, v7, off
	ds_load_b32 v72, v1
	s_wait_loadcnt_dscnt 0x0
	v_mul_f32_e32 v71, v71, v72
	s_cbranch_execz .LBB126_782
	s_branch .LBB126_783
.LBB126_781:
                                        ; implicit-def: $vgpr71
.LBB126_782:
	ds_load_b32 v71, v1
.LBB126_783:
	s_mov_b32 s1, exec_lo
	v_cmpx_ne_u32_e32 17, v0
	s_cbranch_execz .LBB126_787
; %bb.784:
	v_add_nc_u32_e32 v72, 0x104, v6
	v_add3_u32 v73, 0, v6, 4
	v_mov_b32_e32 v74, v0
	s_mov_b32 s2, 0
.LBB126_785:                            ; =>This Inner Loop Header: Depth=1
	scratch_load_b32 v75, v73, off
	ds_load_b32 v76, v72
	v_dual_add_nc_u32 v74, 1, v74 :: v_dual_add_nc_u32 v72, 4, v72
	s_wait_xcnt 0x0
	v_add_nc_u32_e32 v73, 4, v73
	s_delay_alu instid0(VALU_DEP_2)
	v_cmp_lt_u32_e32 vcc_lo, 16, v74
	s_or_b32 s2, vcc_lo, s2
	s_wait_loadcnt_dscnt 0x0
	v_fmac_f32_e32 v71, v75, v76
	s_and_not1_b32 exec_lo, exec_lo, s2
	s_cbranch_execnz .LBB126_785
; %bb.786:
	s_or_b32 exec_lo, exec_lo, s2
.LBB126_787:
	s_delay_alu instid0(SALU_CYCLE_1)
	s_or_b32 exec_lo, exec_lo, s1
	v_mov_b32_e32 v72, 0
	ds_load_b32 v72, v72 offset:72
	s_wait_dscnt 0x0
	v_mul_f32_e32 v71, v71, v72
	scratch_store_b32 off, v71, off offset:72
.LBB126_788:
	s_wait_xcnt 0x0
	s_or_b32 exec_lo, exec_lo, s0
	scratch_load_b32 v71, off, off offset:76
	s_mov_b32 s0, exec_lo
	s_wait_loadcnt 0x0
	ds_store_b32 v1, v71
	s_wait_storecnt_dscnt 0x0
	s_barrier_signal -1
	s_barrier_wait -1
	s_wait_xcnt 0x0
	v_cmpx_gt_u32_e32 19, v0
	s_cbranch_execz .LBB126_798
; %bb.789:
	v_cmp_ne_u32_e32 vcc_lo, 1, v70
	s_cbranch_vccnz .LBB126_791
; %bb.790:
	scratch_load_b32 v71, v7, off
	ds_load_b32 v72, v1
	s_wait_loadcnt_dscnt 0x0
	v_mul_f32_e32 v71, v71, v72
	s_cbranch_execz .LBB126_792
	s_branch .LBB126_793
.LBB126_791:
                                        ; implicit-def: $vgpr71
.LBB126_792:
	ds_load_b32 v71, v1
.LBB126_793:
	s_mov_b32 s1, exec_lo
	v_cmpx_ne_u32_e32 18, v0
	s_cbranch_execz .LBB126_797
; %bb.794:
	v_add_nc_u32_e32 v72, 0x104, v6
	v_add3_u32 v73, 0, v6, 4
	v_mov_b32_e32 v74, v0
	s_mov_b32 s2, 0
.LBB126_795:                            ; =>This Inner Loop Header: Depth=1
	scratch_load_b32 v75, v73, off
	ds_load_b32 v76, v72
	v_dual_add_nc_u32 v74, 1, v74 :: v_dual_add_nc_u32 v72, 4, v72
	s_wait_xcnt 0x0
	v_add_nc_u32_e32 v73, 4, v73
	s_delay_alu instid0(VALU_DEP_2)
	v_cmp_lt_u32_e32 vcc_lo, 17, v74
	s_or_b32 s2, vcc_lo, s2
	s_wait_loadcnt_dscnt 0x0
	v_fmac_f32_e32 v71, v75, v76
	s_and_not1_b32 exec_lo, exec_lo, s2
	s_cbranch_execnz .LBB126_795
; %bb.796:
	s_or_b32 exec_lo, exec_lo, s2
.LBB126_797:
	s_delay_alu instid0(SALU_CYCLE_1)
	s_or_b32 exec_lo, exec_lo, s1
	v_mov_b32_e32 v72, 0
	ds_load_b32 v72, v72 offset:76
	s_wait_dscnt 0x0
	v_mul_f32_e32 v71, v71, v72
	scratch_store_b32 off, v71, off offset:76
.LBB126_798:
	s_wait_xcnt 0x0
	s_or_b32 exec_lo, exec_lo, s0
	scratch_load_b32 v71, off, off offset:80
	s_mov_b32 s0, exec_lo
	s_wait_loadcnt 0x0
	ds_store_b32 v1, v71
	s_wait_storecnt_dscnt 0x0
	s_barrier_signal -1
	s_barrier_wait -1
	s_wait_xcnt 0x0
	v_cmpx_gt_u32_e32 20, v0
	s_cbranch_execz .LBB126_808
; %bb.799:
	v_cmp_ne_u32_e32 vcc_lo, 1, v70
	s_cbranch_vccnz .LBB126_801
; %bb.800:
	scratch_load_b32 v71, v7, off
	ds_load_b32 v72, v1
	s_wait_loadcnt_dscnt 0x0
	v_mul_f32_e32 v71, v71, v72
	s_cbranch_execz .LBB126_802
	s_branch .LBB126_803
.LBB126_801:
                                        ; implicit-def: $vgpr71
.LBB126_802:
	ds_load_b32 v71, v1
.LBB126_803:
	s_mov_b32 s1, exec_lo
	v_cmpx_ne_u32_e32 19, v0
	s_cbranch_execz .LBB126_807
; %bb.804:
	v_add_nc_u32_e32 v72, 0x104, v6
	v_add3_u32 v73, 0, v6, 4
	v_mov_b32_e32 v74, v0
	s_mov_b32 s2, 0
.LBB126_805:                            ; =>This Inner Loop Header: Depth=1
	scratch_load_b32 v75, v73, off
	ds_load_b32 v76, v72
	v_dual_add_nc_u32 v74, 1, v74 :: v_dual_add_nc_u32 v72, 4, v72
	s_wait_xcnt 0x0
	v_add_nc_u32_e32 v73, 4, v73
	s_delay_alu instid0(VALU_DEP_2)
	v_cmp_lt_u32_e32 vcc_lo, 18, v74
	s_or_b32 s2, vcc_lo, s2
	s_wait_loadcnt_dscnt 0x0
	v_fmac_f32_e32 v71, v75, v76
	s_and_not1_b32 exec_lo, exec_lo, s2
	s_cbranch_execnz .LBB126_805
; %bb.806:
	s_or_b32 exec_lo, exec_lo, s2
.LBB126_807:
	s_delay_alu instid0(SALU_CYCLE_1)
	s_or_b32 exec_lo, exec_lo, s1
	v_mov_b32_e32 v72, 0
	ds_load_b32 v72, v72 offset:80
	s_wait_dscnt 0x0
	v_mul_f32_e32 v71, v71, v72
	scratch_store_b32 off, v71, off offset:80
.LBB126_808:
	s_wait_xcnt 0x0
	s_or_b32 exec_lo, exec_lo, s0
	scratch_load_b32 v71, off, off offset:84
	s_mov_b32 s0, exec_lo
	s_wait_loadcnt 0x0
	ds_store_b32 v1, v71
	s_wait_storecnt_dscnt 0x0
	s_barrier_signal -1
	s_barrier_wait -1
	s_wait_xcnt 0x0
	v_cmpx_gt_u32_e32 21, v0
	s_cbranch_execz .LBB126_818
; %bb.809:
	v_cmp_ne_u32_e32 vcc_lo, 1, v70
	s_cbranch_vccnz .LBB126_811
; %bb.810:
	scratch_load_b32 v71, v7, off
	ds_load_b32 v72, v1
	s_wait_loadcnt_dscnt 0x0
	v_mul_f32_e32 v71, v71, v72
	s_cbranch_execz .LBB126_812
	s_branch .LBB126_813
.LBB126_811:
                                        ; implicit-def: $vgpr71
.LBB126_812:
	ds_load_b32 v71, v1
.LBB126_813:
	s_mov_b32 s1, exec_lo
	v_cmpx_ne_u32_e32 20, v0
	s_cbranch_execz .LBB126_817
; %bb.814:
	v_add_nc_u32_e32 v72, 0x104, v6
	v_add3_u32 v73, 0, v6, 4
	v_mov_b32_e32 v74, v0
	s_mov_b32 s2, 0
.LBB126_815:                            ; =>This Inner Loop Header: Depth=1
	scratch_load_b32 v75, v73, off
	ds_load_b32 v76, v72
	v_dual_add_nc_u32 v74, 1, v74 :: v_dual_add_nc_u32 v72, 4, v72
	s_wait_xcnt 0x0
	v_add_nc_u32_e32 v73, 4, v73
	s_delay_alu instid0(VALU_DEP_2)
	v_cmp_lt_u32_e32 vcc_lo, 19, v74
	s_or_b32 s2, vcc_lo, s2
	s_wait_loadcnt_dscnt 0x0
	v_fmac_f32_e32 v71, v75, v76
	s_and_not1_b32 exec_lo, exec_lo, s2
	s_cbranch_execnz .LBB126_815
; %bb.816:
	s_or_b32 exec_lo, exec_lo, s2
.LBB126_817:
	s_delay_alu instid0(SALU_CYCLE_1)
	s_or_b32 exec_lo, exec_lo, s1
	v_mov_b32_e32 v72, 0
	ds_load_b32 v72, v72 offset:84
	s_wait_dscnt 0x0
	v_mul_f32_e32 v71, v71, v72
	scratch_store_b32 off, v71, off offset:84
.LBB126_818:
	s_wait_xcnt 0x0
	s_or_b32 exec_lo, exec_lo, s0
	scratch_load_b32 v71, off, off offset:88
	s_mov_b32 s0, exec_lo
	s_wait_loadcnt 0x0
	ds_store_b32 v1, v71
	s_wait_storecnt_dscnt 0x0
	s_barrier_signal -1
	s_barrier_wait -1
	s_wait_xcnt 0x0
	v_cmpx_gt_u32_e32 22, v0
	s_cbranch_execz .LBB126_828
; %bb.819:
	v_cmp_ne_u32_e32 vcc_lo, 1, v70
	s_cbranch_vccnz .LBB126_821
; %bb.820:
	scratch_load_b32 v71, v7, off
	ds_load_b32 v72, v1
	s_wait_loadcnt_dscnt 0x0
	v_mul_f32_e32 v71, v71, v72
	s_cbranch_execz .LBB126_822
	s_branch .LBB126_823
.LBB126_821:
                                        ; implicit-def: $vgpr71
.LBB126_822:
	ds_load_b32 v71, v1
.LBB126_823:
	s_mov_b32 s1, exec_lo
	v_cmpx_ne_u32_e32 21, v0
	s_cbranch_execz .LBB126_827
; %bb.824:
	v_add_nc_u32_e32 v72, 0x104, v6
	v_add3_u32 v73, 0, v6, 4
	v_mov_b32_e32 v74, v0
	s_mov_b32 s2, 0
.LBB126_825:                            ; =>This Inner Loop Header: Depth=1
	scratch_load_b32 v75, v73, off
	ds_load_b32 v76, v72
	v_dual_add_nc_u32 v74, 1, v74 :: v_dual_add_nc_u32 v72, 4, v72
	s_wait_xcnt 0x0
	v_add_nc_u32_e32 v73, 4, v73
	s_delay_alu instid0(VALU_DEP_2)
	v_cmp_lt_u32_e32 vcc_lo, 20, v74
	s_or_b32 s2, vcc_lo, s2
	s_wait_loadcnt_dscnt 0x0
	v_fmac_f32_e32 v71, v75, v76
	s_and_not1_b32 exec_lo, exec_lo, s2
	s_cbranch_execnz .LBB126_825
; %bb.826:
	s_or_b32 exec_lo, exec_lo, s2
.LBB126_827:
	s_delay_alu instid0(SALU_CYCLE_1)
	s_or_b32 exec_lo, exec_lo, s1
	v_mov_b32_e32 v72, 0
	ds_load_b32 v72, v72 offset:88
	s_wait_dscnt 0x0
	v_mul_f32_e32 v71, v71, v72
	scratch_store_b32 off, v71, off offset:88
.LBB126_828:
	s_wait_xcnt 0x0
	s_or_b32 exec_lo, exec_lo, s0
	scratch_load_b32 v71, off, off offset:92
	s_mov_b32 s0, exec_lo
	s_wait_loadcnt 0x0
	ds_store_b32 v1, v71
	s_wait_storecnt_dscnt 0x0
	s_barrier_signal -1
	s_barrier_wait -1
	s_wait_xcnt 0x0
	v_cmpx_gt_u32_e32 23, v0
	s_cbranch_execz .LBB126_838
; %bb.829:
	v_cmp_ne_u32_e32 vcc_lo, 1, v70
	s_cbranch_vccnz .LBB126_831
; %bb.830:
	scratch_load_b32 v71, v7, off
	ds_load_b32 v72, v1
	s_wait_loadcnt_dscnt 0x0
	v_mul_f32_e32 v71, v71, v72
	s_cbranch_execz .LBB126_832
	s_branch .LBB126_833
.LBB126_831:
                                        ; implicit-def: $vgpr71
.LBB126_832:
	ds_load_b32 v71, v1
.LBB126_833:
	s_mov_b32 s1, exec_lo
	v_cmpx_ne_u32_e32 22, v0
	s_cbranch_execz .LBB126_837
; %bb.834:
	v_add_nc_u32_e32 v72, 0x104, v6
	v_add3_u32 v73, 0, v6, 4
	v_mov_b32_e32 v74, v0
	s_mov_b32 s2, 0
.LBB126_835:                            ; =>This Inner Loop Header: Depth=1
	scratch_load_b32 v75, v73, off
	ds_load_b32 v76, v72
	v_dual_add_nc_u32 v74, 1, v74 :: v_dual_add_nc_u32 v72, 4, v72
	s_wait_xcnt 0x0
	v_add_nc_u32_e32 v73, 4, v73
	s_delay_alu instid0(VALU_DEP_2)
	v_cmp_lt_u32_e32 vcc_lo, 21, v74
	s_or_b32 s2, vcc_lo, s2
	s_wait_loadcnt_dscnt 0x0
	v_fmac_f32_e32 v71, v75, v76
	s_and_not1_b32 exec_lo, exec_lo, s2
	s_cbranch_execnz .LBB126_835
; %bb.836:
	s_or_b32 exec_lo, exec_lo, s2
.LBB126_837:
	s_delay_alu instid0(SALU_CYCLE_1)
	s_or_b32 exec_lo, exec_lo, s1
	v_mov_b32_e32 v72, 0
	ds_load_b32 v72, v72 offset:92
	s_wait_dscnt 0x0
	v_mul_f32_e32 v71, v71, v72
	scratch_store_b32 off, v71, off offset:92
.LBB126_838:
	s_wait_xcnt 0x0
	s_or_b32 exec_lo, exec_lo, s0
	scratch_load_b32 v71, off, off offset:96
	s_mov_b32 s0, exec_lo
	s_wait_loadcnt 0x0
	ds_store_b32 v1, v71
	s_wait_storecnt_dscnt 0x0
	s_barrier_signal -1
	s_barrier_wait -1
	s_wait_xcnt 0x0
	v_cmpx_gt_u32_e32 24, v0
	s_cbranch_execz .LBB126_848
; %bb.839:
	v_cmp_ne_u32_e32 vcc_lo, 1, v70
	s_cbranch_vccnz .LBB126_841
; %bb.840:
	scratch_load_b32 v71, v7, off
	ds_load_b32 v72, v1
	s_wait_loadcnt_dscnt 0x0
	v_mul_f32_e32 v71, v71, v72
	s_cbranch_execz .LBB126_842
	s_branch .LBB126_843
.LBB126_841:
                                        ; implicit-def: $vgpr71
.LBB126_842:
	ds_load_b32 v71, v1
.LBB126_843:
	s_mov_b32 s1, exec_lo
	v_cmpx_ne_u32_e32 23, v0
	s_cbranch_execz .LBB126_847
; %bb.844:
	v_add_nc_u32_e32 v72, 0x104, v6
	v_add3_u32 v73, 0, v6, 4
	v_mov_b32_e32 v74, v0
	s_mov_b32 s2, 0
.LBB126_845:                            ; =>This Inner Loop Header: Depth=1
	scratch_load_b32 v75, v73, off
	ds_load_b32 v76, v72
	v_dual_add_nc_u32 v74, 1, v74 :: v_dual_add_nc_u32 v72, 4, v72
	s_wait_xcnt 0x0
	v_add_nc_u32_e32 v73, 4, v73
	s_delay_alu instid0(VALU_DEP_2)
	v_cmp_lt_u32_e32 vcc_lo, 22, v74
	s_or_b32 s2, vcc_lo, s2
	s_wait_loadcnt_dscnt 0x0
	v_fmac_f32_e32 v71, v75, v76
	s_and_not1_b32 exec_lo, exec_lo, s2
	s_cbranch_execnz .LBB126_845
; %bb.846:
	s_or_b32 exec_lo, exec_lo, s2
.LBB126_847:
	s_delay_alu instid0(SALU_CYCLE_1)
	s_or_b32 exec_lo, exec_lo, s1
	v_mov_b32_e32 v72, 0
	ds_load_b32 v72, v72 offset:96
	s_wait_dscnt 0x0
	v_mul_f32_e32 v71, v71, v72
	scratch_store_b32 off, v71, off offset:96
.LBB126_848:
	s_wait_xcnt 0x0
	s_or_b32 exec_lo, exec_lo, s0
	scratch_load_b32 v71, off, off offset:100
	s_mov_b32 s0, exec_lo
	s_wait_loadcnt 0x0
	ds_store_b32 v1, v71
	s_wait_storecnt_dscnt 0x0
	s_barrier_signal -1
	s_barrier_wait -1
	s_wait_xcnt 0x0
	v_cmpx_gt_u32_e32 25, v0
	s_cbranch_execz .LBB126_858
; %bb.849:
	v_cmp_ne_u32_e32 vcc_lo, 1, v70
	s_cbranch_vccnz .LBB126_851
; %bb.850:
	scratch_load_b32 v71, v7, off
	ds_load_b32 v72, v1
	s_wait_loadcnt_dscnt 0x0
	v_mul_f32_e32 v71, v71, v72
	s_cbranch_execz .LBB126_852
	s_branch .LBB126_853
.LBB126_851:
                                        ; implicit-def: $vgpr71
.LBB126_852:
	ds_load_b32 v71, v1
.LBB126_853:
	s_mov_b32 s1, exec_lo
	v_cmpx_ne_u32_e32 24, v0
	s_cbranch_execz .LBB126_857
; %bb.854:
	v_add_nc_u32_e32 v72, 0x104, v6
	v_add3_u32 v73, 0, v6, 4
	v_mov_b32_e32 v74, v0
	s_mov_b32 s2, 0
.LBB126_855:                            ; =>This Inner Loop Header: Depth=1
	scratch_load_b32 v75, v73, off
	ds_load_b32 v76, v72
	v_dual_add_nc_u32 v74, 1, v74 :: v_dual_add_nc_u32 v72, 4, v72
	s_wait_xcnt 0x0
	v_add_nc_u32_e32 v73, 4, v73
	s_delay_alu instid0(VALU_DEP_2)
	v_cmp_lt_u32_e32 vcc_lo, 23, v74
	s_or_b32 s2, vcc_lo, s2
	s_wait_loadcnt_dscnt 0x0
	v_fmac_f32_e32 v71, v75, v76
	s_and_not1_b32 exec_lo, exec_lo, s2
	s_cbranch_execnz .LBB126_855
; %bb.856:
	s_or_b32 exec_lo, exec_lo, s2
.LBB126_857:
	s_delay_alu instid0(SALU_CYCLE_1)
	s_or_b32 exec_lo, exec_lo, s1
	v_mov_b32_e32 v72, 0
	ds_load_b32 v72, v72 offset:100
	s_wait_dscnt 0x0
	v_mul_f32_e32 v71, v71, v72
	scratch_store_b32 off, v71, off offset:100
.LBB126_858:
	s_wait_xcnt 0x0
	s_or_b32 exec_lo, exec_lo, s0
	scratch_load_b32 v71, off, off offset:104
	s_mov_b32 s0, exec_lo
	s_wait_loadcnt 0x0
	ds_store_b32 v1, v71
	s_wait_storecnt_dscnt 0x0
	s_barrier_signal -1
	s_barrier_wait -1
	s_wait_xcnt 0x0
	v_cmpx_gt_u32_e32 26, v0
	s_cbranch_execz .LBB126_868
; %bb.859:
	v_cmp_ne_u32_e32 vcc_lo, 1, v70
	s_cbranch_vccnz .LBB126_861
; %bb.860:
	scratch_load_b32 v71, v7, off
	ds_load_b32 v72, v1
	s_wait_loadcnt_dscnt 0x0
	v_mul_f32_e32 v71, v71, v72
	s_cbranch_execz .LBB126_862
	s_branch .LBB126_863
.LBB126_861:
                                        ; implicit-def: $vgpr71
.LBB126_862:
	ds_load_b32 v71, v1
.LBB126_863:
	s_mov_b32 s1, exec_lo
	v_cmpx_ne_u32_e32 25, v0
	s_cbranch_execz .LBB126_867
; %bb.864:
	v_add_nc_u32_e32 v72, 0x104, v6
	v_add3_u32 v73, 0, v6, 4
	v_mov_b32_e32 v74, v0
	s_mov_b32 s2, 0
.LBB126_865:                            ; =>This Inner Loop Header: Depth=1
	scratch_load_b32 v75, v73, off
	ds_load_b32 v76, v72
	v_dual_add_nc_u32 v74, 1, v74 :: v_dual_add_nc_u32 v72, 4, v72
	s_wait_xcnt 0x0
	v_add_nc_u32_e32 v73, 4, v73
	s_delay_alu instid0(VALU_DEP_2)
	v_cmp_lt_u32_e32 vcc_lo, 24, v74
	s_or_b32 s2, vcc_lo, s2
	s_wait_loadcnt_dscnt 0x0
	v_fmac_f32_e32 v71, v75, v76
	s_and_not1_b32 exec_lo, exec_lo, s2
	s_cbranch_execnz .LBB126_865
; %bb.866:
	s_or_b32 exec_lo, exec_lo, s2
.LBB126_867:
	s_delay_alu instid0(SALU_CYCLE_1)
	s_or_b32 exec_lo, exec_lo, s1
	v_mov_b32_e32 v72, 0
	ds_load_b32 v72, v72 offset:104
	s_wait_dscnt 0x0
	v_mul_f32_e32 v71, v71, v72
	scratch_store_b32 off, v71, off offset:104
.LBB126_868:
	s_wait_xcnt 0x0
	s_or_b32 exec_lo, exec_lo, s0
	scratch_load_b32 v71, off, off offset:108
	s_mov_b32 s0, exec_lo
	s_wait_loadcnt 0x0
	ds_store_b32 v1, v71
	s_wait_storecnt_dscnt 0x0
	s_barrier_signal -1
	s_barrier_wait -1
	s_wait_xcnt 0x0
	v_cmpx_gt_u32_e32 27, v0
	s_cbranch_execz .LBB126_878
; %bb.869:
	v_cmp_ne_u32_e32 vcc_lo, 1, v70
	s_cbranch_vccnz .LBB126_871
; %bb.870:
	scratch_load_b32 v71, v7, off
	ds_load_b32 v72, v1
	s_wait_loadcnt_dscnt 0x0
	v_mul_f32_e32 v71, v71, v72
	s_cbranch_execz .LBB126_872
	s_branch .LBB126_873
.LBB126_871:
                                        ; implicit-def: $vgpr71
.LBB126_872:
	ds_load_b32 v71, v1
.LBB126_873:
	s_mov_b32 s1, exec_lo
	v_cmpx_ne_u32_e32 26, v0
	s_cbranch_execz .LBB126_877
; %bb.874:
	v_add_nc_u32_e32 v72, 0x104, v6
	v_add3_u32 v73, 0, v6, 4
	v_mov_b32_e32 v74, v0
	s_mov_b32 s2, 0
.LBB126_875:                            ; =>This Inner Loop Header: Depth=1
	scratch_load_b32 v75, v73, off
	ds_load_b32 v76, v72
	v_dual_add_nc_u32 v74, 1, v74 :: v_dual_add_nc_u32 v72, 4, v72
	s_wait_xcnt 0x0
	v_add_nc_u32_e32 v73, 4, v73
	s_delay_alu instid0(VALU_DEP_2)
	v_cmp_lt_u32_e32 vcc_lo, 25, v74
	s_or_b32 s2, vcc_lo, s2
	s_wait_loadcnt_dscnt 0x0
	v_fmac_f32_e32 v71, v75, v76
	s_and_not1_b32 exec_lo, exec_lo, s2
	s_cbranch_execnz .LBB126_875
; %bb.876:
	s_or_b32 exec_lo, exec_lo, s2
.LBB126_877:
	s_delay_alu instid0(SALU_CYCLE_1)
	s_or_b32 exec_lo, exec_lo, s1
	v_mov_b32_e32 v72, 0
	ds_load_b32 v72, v72 offset:108
	s_wait_dscnt 0x0
	v_mul_f32_e32 v71, v71, v72
	scratch_store_b32 off, v71, off offset:108
.LBB126_878:
	s_wait_xcnt 0x0
	s_or_b32 exec_lo, exec_lo, s0
	scratch_load_b32 v71, off, off offset:112
	s_mov_b32 s0, exec_lo
	s_wait_loadcnt 0x0
	ds_store_b32 v1, v71
	s_wait_storecnt_dscnt 0x0
	s_barrier_signal -1
	s_barrier_wait -1
	s_wait_xcnt 0x0
	v_cmpx_gt_u32_e32 28, v0
	s_cbranch_execz .LBB126_888
; %bb.879:
	v_cmp_ne_u32_e32 vcc_lo, 1, v70
	s_cbranch_vccnz .LBB126_881
; %bb.880:
	scratch_load_b32 v71, v7, off
	ds_load_b32 v72, v1
	s_wait_loadcnt_dscnt 0x0
	v_mul_f32_e32 v71, v71, v72
	s_cbranch_execz .LBB126_882
	s_branch .LBB126_883
.LBB126_881:
                                        ; implicit-def: $vgpr71
.LBB126_882:
	ds_load_b32 v71, v1
.LBB126_883:
	s_mov_b32 s1, exec_lo
	v_cmpx_ne_u32_e32 27, v0
	s_cbranch_execz .LBB126_887
; %bb.884:
	v_add_nc_u32_e32 v72, 0x104, v6
	v_add3_u32 v73, 0, v6, 4
	v_mov_b32_e32 v74, v0
	s_mov_b32 s2, 0
.LBB126_885:                            ; =>This Inner Loop Header: Depth=1
	scratch_load_b32 v75, v73, off
	ds_load_b32 v76, v72
	v_dual_add_nc_u32 v74, 1, v74 :: v_dual_add_nc_u32 v72, 4, v72
	s_wait_xcnt 0x0
	v_add_nc_u32_e32 v73, 4, v73
	s_delay_alu instid0(VALU_DEP_2)
	v_cmp_lt_u32_e32 vcc_lo, 26, v74
	s_or_b32 s2, vcc_lo, s2
	s_wait_loadcnt_dscnt 0x0
	v_fmac_f32_e32 v71, v75, v76
	s_and_not1_b32 exec_lo, exec_lo, s2
	s_cbranch_execnz .LBB126_885
; %bb.886:
	s_or_b32 exec_lo, exec_lo, s2
.LBB126_887:
	s_delay_alu instid0(SALU_CYCLE_1)
	s_or_b32 exec_lo, exec_lo, s1
	v_mov_b32_e32 v72, 0
	ds_load_b32 v72, v72 offset:112
	s_wait_dscnt 0x0
	v_mul_f32_e32 v71, v71, v72
	scratch_store_b32 off, v71, off offset:112
.LBB126_888:
	s_wait_xcnt 0x0
	s_or_b32 exec_lo, exec_lo, s0
	scratch_load_b32 v71, off, off offset:116
	s_mov_b32 s0, exec_lo
	s_wait_loadcnt 0x0
	ds_store_b32 v1, v71
	s_wait_storecnt_dscnt 0x0
	s_barrier_signal -1
	s_barrier_wait -1
	s_wait_xcnt 0x0
	v_cmpx_gt_u32_e32 29, v0
	s_cbranch_execz .LBB126_898
; %bb.889:
	v_cmp_ne_u32_e32 vcc_lo, 1, v70
	s_cbranch_vccnz .LBB126_891
; %bb.890:
	scratch_load_b32 v71, v7, off
	ds_load_b32 v72, v1
	s_wait_loadcnt_dscnt 0x0
	v_mul_f32_e32 v71, v71, v72
	s_cbranch_execz .LBB126_892
	s_branch .LBB126_893
.LBB126_891:
                                        ; implicit-def: $vgpr71
.LBB126_892:
	ds_load_b32 v71, v1
.LBB126_893:
	s_mov_b32 s1, exec_lo
	v_cmpx_ne_u32_e32 28, v0
	s_cbranch_execz .LBB126_897
; %bb.894:
	v_add_nc_u32_e32 v72, 0x104, v6
	v_add3_u32 v73, 0, v6, 4
	v_mov_b32_e32 v74, v0
	s_mov_b32 s2, 0
.LBB126_895:                            ; =>This Inner Loop Header: Depth=1
	scratch_load_b32 v75, v73, off
	ds_load_b32 v76, v72
	v_dual_add_nc_u32 v74, 1, v74 :: v_dual_add_nc_u32 v72, 4, v72
	s_wait_xcnt 0x0
	v_add_nc_u32_e32 v73, 4, v73
	s_delay_alu instid0(VALU_DEP_2)
	v_cmp_lt_u32_e32 vcc_lo, 27, v74
	s_or_b32 s2, vcc_lo, s2
	s_wait_loadcnt_dscnt 0x0
	v_fmac_f32_e32 v71, v75, v76
	s_and_not1_b32 exec_lo, exec_lo, s2
	s_cbranch_execnz .LBB126_895
; %bb.896:
	s_or_b32 exec_lo, exec_lo, s2
.LBB126_897:
	s_delay_alu instid0(SALU_CYCLE_1)
	s_or_b32 exec_lo, exec_lo, s1
	v_mov_b32_e32 v72, 0
	ds_load_b32 v72, v72 offset:116
	s_wait_dscnt 0x0
	v_mul_f32_e32 v71, v71, v72
	scratch_store_b32 off, v71, off offset:116
.LBB126_898:
	s_wait_xcnt 0x0
	s_or_b32 exec_lo, exec_lo, s0
	scratch_load_b32 v71, off, off offset:120
	s_mov_b32 s0, exec_lo
	s_wait_loadcnt 0x0
	ds_store_b32 v1, v71
	s_wait_storecnt_dscnt 0x0
	s_barrier_signal -1
	s_barrier_wait -1
	s_wait_xcnt 0x0
	v_cmpx_gt_u32_e32 30, v0
	s_cbranch_execz .LBB126_908
; %bb.899:
	v_cmp_ne_u32_e32 vcc_lo, 1, v70
	s_cbranch_vccnz .LBB126_901
; %bb.900:
	scratch_load_b32 v71, v7, off
	ds_load_b32 v72, v1
	s_wait_loadcnt_dscnt 0x0
	v_mul_f32_e32 v71, v71, v72
	s_cbranch_execz .LBB126_902
	s_branch .LBB126_903
.LBB126_901:
                                        ; implicit-def: $vgpr71
.LBB126_902:
	ds_load_b32 v71, v1
.LBB126_903:
	s_mov_b32 s1, exec_lo
	v_cmpx_ne_u32_e32 29, v0
	s_cbranch_execz .LBB126_907
; %bb.904:
	v_add_nc_u32_e32 v72, 0x104, v6
	v_add3_u32 v73, 0, v6, 4
	v_mov_b32_e32 v74, v0
	s_mov_b32 s2, 0
.LBB126_905:                            ; =>This Inner Loop Header: Depth=1
	scratch_load_b32 v75, v73, off
	ds_load_b32 v76, v72
	v_dual_add_nc_u32 v74, 1, v74 :: v_dual_add_nc_u32 v72, 4, v72
	s_wait_xcnt 0x0
	v_add_nc_u32_e32 v73, 4, v73
	s_delay_alu instid0(VALU_DEP_2)
	v_cmp_lt_u32_e32 vcc_lo, 28, v74
	s_or_b32 s2, vcc_lo, s2
	s_wait_loadcnt_dscnt 0x0
	v_fmac_f32_e32 v71, v75, v76
	s_and_not1_b32 exec_lo, exec_lo, s2
	s_cbranch_execnz .LBB126_905
; %bb.906:
	s_or_b32 exec_lo, exec_lo, s2
.LBB126_907:
	s_delay_alu instid0(SALU_CYCLE_1)
	s_or_b32 exec_lo, exec_lo, s1
	v_mov_b32_e32 v72, 0
	ds_load_b32 v72, v72 offset:120
	s_wait_dscnt 0x0
	v_mul_f32_e32 v71, v71, v72
	scratch_store_b32 off, v71, off offset:120
.LBB126_908:
	s_wait_xcnt 0x0
	s_or_b32 exec_lo, exec_lo, s0
	scratch_load_b32 v71, off, off offset:124
	s_mov_b32 s0, exec_lo
	s_wait_loadcnt 0x0
	ds_store_b32 v1, v71
	s_wait_storecnt_dscnt 0x0
	s_barrier_signal -1
	s_barrier_wait -1
	s_wait_xcnt 0x0
	v_cmpx_gt_u32_e32 31, v0
	s_cbranch_execz .LBB126_918
; %bb.909:
	v_cmp_ne_u32_e32 vcc_lo, 1, v70
	s_cbranch_vccnz .LBB126_911
; %bb.910:
	scratch_load_b32 v71, v7, off
	ds_load_b32 v72, v1
	s_wait_loadcnt_dscnt 0x0
	v_mul_f32_e32 v71, v71, v72
	s_cbranch_execz .LBB126_912
	s_branch .LBB126_913
.LBB126_911:
                                        ; implicit-def: $vgpr71
.LBB126_912:
	ds_load_b32 v71, v1
.LBB126_913:
	s_mov_b32 s1, exec_lo
	v_cmpx_ne_u32_e32 30, v0
	s_cbranch_execz .LBB126_917
; %bb.914:
	v_add_nc_u32_e32 v72, 0x104, v6
	v_add3_u32 v73, 0, v6, 4
	v_mov_b32_e32 v74, v0
	s_mov_b32 s2, 0
.LBB126_915:                            ; =>This Inner Loop Header: Depth=1
	scratch_load_b32 v75, v73, off
	ds_load_b32 v76, v72
	v_dual_add_nc_u32 v74, 1, v74 :: v_dual_add_nc_u32 v72, 4, v72
	s_wait_xcnt 0x0
	v_add_nc_u32_e32 v73, 4, v73
	s_delay_alu instid0(VALU_DEP_2)
	v_cmp_lt_u32_e32 vcc_lo, 29, v74
	s_or_b32 s2, vcc_lo, s2
	s_wait_loadcnt_dscnt 0x0
	v_fmac_f32_e32 v71, v75, v76
	s_and_not1_b32 exec_lo, exec_lo, s2
	s_cbranch_execnz .LBB126_915
; %bb.916:
	s_or_b32 exec_lo, exec_lo, s2
.LBB126_917:
	s_delay_alu instid0(SALU_CYCLE_1)
	s_or_b32 exec_lo, exec_lo, s1
	v_mov_b32_e32 v72, 0
	ds_load_b32 v72, v72 offset:124
	s_wait_dscnt 0x0
	v_mul_f32_e32 v71, v71, v72
	scratch_store_b32 off, v71, off offset:124
.LBB126_918:
	s_wait_xcnt 0x0
	s_or_b32 exec_lo, exec_lo, s0
	scratch_load_b32 v71, off, off offset:128
	s_mov_b32 s0, exec_lo
	s_wait_loadcnt 0x0
	ds_store_b32 v1, v71
	s_wait_storecnt_dscnt 0x0
	s_barrier_signal -1
	s_barrier_wait -1
	s_wait_xcnt 0x0
	v_cmpx_gt_u32_e32 32, v0
	s_cbranch_execz .LBB126_928
; %bb.919:
	v_cmp_ne_u32_e32 vcc_lo, 1, v70
	s_cbranch_vccnz .LBB126_921
; %bb.920:
	scratch_load_b32 v71, v7, off
	ds_load_b32 v72, v1
	s_wait_loadcnt_dscnt 0x0
	v_mul_f32_e32 v71, v71, v72
	s_cbranch_execz .LBB126_922
	s_branch .LBB126_923
.LBB126_921:
                                        ; implicit-def: $vgpr71
.LBB126_922:
	ds_load_b32 v71, v1
.LBB126_923:
	s_mov_b32 s1, exec_lo
	v_cmpx_ne_u32_e32 31, v0
	s_cbranch_execz .LBB126_927
; %bb.924:
	v_add_nc_u32_e32 v72, 0x104, v6
	v_add3_u32 v73, 0, v6, 4
	v_mov_b32_e32 v74, v0
	s_mov_b32 s2, 0
.LBB126_925:                            ; =>This Inner Loop Header: Depth=1
	scratch_load_b32 v75, v73, off
	ds_load_b32 v76, v72
	v_dual_add_nc_u32 v74, 1, v74 :: v_dual_add_nc_u32 v72, 4, v72
	s_wait_xcnt 0x0
	v_add_nc_u32_e32 v73, 4, v73
	s_delay_alu instid0(VALU_DEP_2)
	v_cmp_lt_u32_e32 vcc_lo, 30, v74
	s_or_b32 s2, vcc_lo, s2
	s_wait_loadcnt_dscnt 0x0
	v_fmac_f32_e32 v71, v75, v76
	s_and_not1_b32 exec_lo, exec_lo, s2
	s_cbranch_execnz .LBB126_925
; %bb.926:
	s_or_b32 exec_lo, exec_lo, s2
.LBB126_927:
	s_delay_alu instid0(SALU_CYCLE_1)
	s_or_b32 exec_lo, exec_lo, s1
	v_mov_b32_e32 v72, 0
	ds_load_b32 v72, v72 offset:128
	s_wait_dscnt 0x0
	v_mul_f32_e32 v71, v71, v72
	scratch_store_b32 off, v71, off offset:128
.LBB126_928:
	s_wait_xcnt 0x0
	s_or_b32 exec_lo, exec_lo, s0
	scratch_load_b32 v71, off, off offset:132
	s_mov_b32 s0, exec_lo
	s_wait_loadcnt 0x0
	ds_store_b32 v1, v71
	s_wait_storecnt_dscnt 0x0
	s_barrier_signal -1
	s_barrier_wait -1
	s_wait_xcnt 0x0
	v_cmpx_gt_u32_e32 33, v0
	s_cbranch_execz .LBB126_938
; %bb.929:
	v_cmp_ne_u32_e32 vcc_lo, 1, v70
	s_cbranch_vccnz .LBB126_931
; %bb.930:
	scratch_load_b32 v71, v7, off
	ds_load_b32 v72, v1
	s_wait_loadcnt_dscnt 0x0
	v_mul_f32_e32 v71, v71, v72
	s_cbranch_execz .LBB126_932
	s_branch .LBB126_933
.LBB126_931:
                                        ; implicit-def: $vgpr71
.LBB126_932:
	ds_load_b32 v71, v1
.LBB126_933:
	s_mov_b32 s1, exec_lo
	v_cmpx_ne_u32_e32 32, v0
	s_cbranch_execz .LBB126_937
; %bb.934:
	v_add_nc_u32_e32 v72, 0x104, v6
	v_add3_u32 v73, 0, v6, 4
	v_mov_b32_e32 v74, v0
	s_mov_b32 s2, 0
.LBB126_935:                            ; =>This Inner Loop Header: Depth=1
	scratch_load_b32 v75, v73, off
	ds_load_b32 v76, v72
	v_dual_add_nc_u32 v74, 1, v74 :: v_dual_add_nc_u32 v72, 4, v72
	s_wait_xcnt 0x0
	v_add_nc_u32_e32 v73, 4, v73
	s_delay_alu instid0(VALU_DEP_2)
	v_cmp_lt_u32_e32 vcc_lo, 31, v74
	s_or_b32 s2, vcc_lo, s2
	s_wait_loadcnt_dscnt 0x0
	v_fmac_f32_e32 v71, v75, v76
	s_and_not1_b32 exec_lo, exec_lo, s2
	s_cbranch_execnz .LBB126_935
; %bb.936:
	s_or_b32 exec_lo, exec_lo, s2
.LBB126_937:
	s_delay_alu instid0(SALU_CYCLE_1)
	s_or_b32 exec_lo, exec_lo, s1
	v_mov_b32_e32 v72, 0
	ds_load_b32 v72, v72 offset:132
	s_wait_dscnt 0x0
	v_mul_f32_e32 v71, v71, v72
	scratch_store_b32 off, v71, off offset:132
.LBB126_938:
	s_wait_xcnt 0x0
	s_or_b32 exec_lo, exec_lo, s0
	scratch_load_b32 v71, off, off offset:136
	s_mov_b32 s0, exec_lo
	s_wait_loadcnt 0x0
	ds_store_b32 v1, v71
	s_wait_storecnt_dscnt 0x0
	s_barrier_signal -1
	s_barrier_wait -1
	s_wait_xcnt 0x0
	v_cmpx_gt_u32_e32 34, v0
	s_cbranch_execz .LBB126_948
; %bb.939:
	v_cmp_ne_u32_e32 vcc_lo, 1, v70
	s_cbranch_vccnz .LBB126_941
; %bb.940:
	scratch_load_b32 v71, v7, off
	ds_load_b32 v72, v1
	s_wait_loadcnt_dscnt 0x0
	v_mul_f32_e32 v71, v71, v72
	s_cbranch_execz .LBB126_942
	s_branch .LBB126_943
.LBB126_941:
                                        ; implicit-def: $vgpr71
.LBB126_942:
	ds_load_b32 v71, v1
.LBB126_943:
	s_mov_b32 s1, exec_lo
	v_cmpx_ne_u32_e32 33, v0
	s_cbranch_execz .LBB126_947
; %bb.944:
	v_add_nc_u32_e32 v72, 0x104, v6
	v_add3_u32 v73, 0, v6, 4
	v_mov_b32_e32 v74, v0
	s_mov_b32 s2, 0
.LBB126_945:                            ; =>This Inner Loop Header: Depth=1
	scratch_load_b32 v75, v73, off
	ds_load_b32 v76, v72
	v_dual_add_nc_u32 v74, 1, v74 :: v_dual_add_nc_u32 v72, 4, v72
	s_wait_xcnt 0x0
	v_add_nc_u32_e32 v73, 4, v73
	s_delay_alu instid0(VALU_DEP_2)
	v_cmp_lt_u32_e32 vcc_lo, 32, v74
	s_or_b32 s2, vcc_lo, s2
	s_wait_loadcnt_dscnt 0x0
	v_fmac_f32_e32 v71, v75, v76
	s_and_not1_b32 exec_lo, exec_lo, s2
	s_cbranch_execnz .LBB126_945
; %bb.946:
	s_or_b32 exec_lo, exec_lo, s2
.LBB126_947:
	s_delay_alu instid0(SALU_CYCLE_1)
	s_or_b32 exec_lo, exec_lo, s1
	v_mov_b32_e32 v72, 0
	ds_load_b32 v72, v72 offset:136
	s_wait_dscnt 0x0
	v_mul_f32_e32 v71, v71, v72
	scratch_store_b32 off, v71, off offset:136
.LBB126_948:
	s_wait_xcnt 0x0
	s_or_b32 exec_lo, exec_lo, s0
	scratch_load_b32 v71, off, off offset:140
	s_mov_b32 s0, exec_lo
	s_wait_loadcnt 0x0
	ds_store_b32 v1, v71
	s_wait_storecnt_dscnt 0x0
	s_barrier_signal -1
	s_barrier_wait -1
	s_wait_xcnt 0x0
	v_cmpx_gt_u32_e32 35, v0
	s_cbranch_execz .LBB126_958
; %bb.949:
	v_cmp_ne_u32_e32 vcc_lo, 1, v70
	s_cbranch_vccnz .LBB126_951
; %bb.950:
	scratch_load_b32 v71, v7, off
	ds_load_b32 v72, v1
	s_wait_loadcnt_dscnt 0x0
	v_mul_f32_e32 v71, v71, v72
	s_cbranch_execz .LBB126_952
	s_branch .LBB126_953
.LBB126_951:
                                        ; implicit-def: $vgpr71
.LBB126_952:
	ds_load_b32 v71, v1
.LBB126_953:
	s_mov_b32 s1, exec_lo
	v_cmpx_ne_u32_e32 34, v0
	s_cbranch_execz .LBB126_957
; %bb.954:
	v_add_nc_u32_e32 v72, 0x104, v6
	v_add3_u32 v73, 0, v6, 4
	v_mov_b32_e32 v74, v0
	s_mov_b32 s2, 0
.LBB126_955:                            ; =>This Inner Loop Header: Depth=1
	scratch_load_b32 v75, v73, off
	ds_load_b32 v76, v72
	v_dual_add_nc_u32 v74, 1, v74 :: v_dual_add_nc_u32 v72, 4, v72
	s_wait_xcnt 0x0
	v_add_nc_u32_e32 v73, 4, v73
	s_delay_alu instid0(VALU_DEP_2)
	v_cmp_lt_u32_e32 vcc_lo, 33, v74
	s_or_b32 s2, vcc_lo, s2
	s_wait_loadcnt_dscnt 0x0
	v_fmac_f32_e32 v71, v75, v76
	s_and_not1_b32 exec_lo, exec_lo, s2
	s_cbranch_execnz .LBB126_955
; %bb.956:
	s_or_b32 exec_lo, exec_lo, s2
.LBB126_957:
	s_delay_alu instid0(SALU_CYCLE_1)
	s_or_b32 exec_lo, exec_lo, s1
	v_mov_b32_e32 v72, 0
	ds_load_b32 v72, v72 offset:140
	s_wait_dscnt 0x0
	v_mul_f32_e32 v71, v71, v72
	scratch_store_b32 off, v71, off offset:140
.LBB126_958:
	s_wait_xcnt 0x0
	s_or_b32 exec_lo, exec_lo, s0
	scratch_load_b32 v71, off, off offset:144
	s_mov_b32 s0, exec_lo
	s_wait_loadcnt 0x0
	ds_store_b32 v1, v71
	s_wait_storecnt_dscnt 0x0
	s_barrier_signal -1
	s_barrier_wait -1
	s_wait_xcnt 0x0
	v_cmpx_gt_u32_e32 36, v0
	s_cbranch_execz .LBB126_968
; %bb.959:
	v_cmp_ne_u32_e32 vcc_lo, 1, v70
	s_cbranch_vccnz .LBB126_961
; %bb.960:
	scratch_load_b32 v71, v7, off
	ds_load_b32 v72, v1
	s_wait_loadcnt_dscnt 0x0
	v_mul_f32_e32 v71, v71, v72
	s_cbranch_execz .LBB126_962
	s_branch .LBB126_963
.LBB126_961:
                                        ; implicit-def: $vgpr71
.LBB126_962:
	ds_load_b32 v71, v1
.LBB126_963:
	s_mov_b32 s1, exec_lo
	v_cmpx_ne_u32_e32 35, v0
	s_cbranch_execz .LBB126_967
; %bb.964:
	v_add_nc_u32_e32 v72, 0x104, v6
	v_add3_u32 v73, 0, v6, 4
	v_mov_b32_e32 v74, v0
	s_mov_b32 s2, 0
.LBB126_965:                            ; =>This Inner Loop Header: Depth=1
	scratch_load_b32 v75, v73, off
	ds_load_b32 v76, v72
	v_dual_add_nc_u32 v74, 1, v74 :: v_dual_add_nc_u32 v72, 4, v72
	s_wait_xcnt 0x0
	v_add_nc_u32_e32 v73, 4, v73
	s_delay_alu instid0(VALU_DEP_2)
	v_cmp_lt_u32_e32 vcc_lo, 34, v74
	s_or_b32 s2, vcc_lo, s2
	s_wait_loadcnt_dscnt 0x0
	v_fmac_f32_e32 v71, v75, v76
	s_and_not1_b32 exec_lo, exec_lo, s2
	s_cbranch_execnz .LBB126_965
; %bb.966:
	s_or_b32 exec_lo, exec_lo, s2
.LBB126_967:
	s_delay_alu instid0(SALU_CYCLE_1)
	s_or_b32 exec_lo, exec_lo, s1
	v_mov_b32_e32 v72, 0
	ds_load_b32 v72, v72 offset:144
	s_wait_dscnt 0x0
	v_mul_f32_e32 v71, v71, v72
	scratch_store_b32 off, v71, off offset:144
.LBB126_968:
	s_wait_xcnt 0x0
	s_or_b32 exec_lo, exec_lo, s0
	scratch_load_b32 v71, off, off offset:148
	s_mov_b32 s0, exec_lo
	s_wait_loadcnt 0x0
	ds_store_b32 v1, v71
	s_wait_storecnt_dscnt 0x0
	s_barrier_signal -1
	s_barrier_wait -1
	s_wait_xcnt 0x0
	v_cmpx_gt_u32_e32 37, v0
	s_cbranch_execz .LBB126_978
; %bb.969:
	v_cmp_ne_u32_e32 vcc_lo, 1, v70
	s_cbranch_vccnz .LBB126_971
; %bb.970:
	scratch_load_b32 v71, v7, off
	ds_load_b32 v72, v1
	s_wait_loadcnt_dscnt 0x0
	v_mul_f32_e32 v71, v71, v72
	s_cbranch_execz .LBB126_972
	s_branch .LBB126_973
.LBB126_971:
                                        ; implicit-def: $vgpr71
.LBB126_972:
	ds_load_b32 v71, v1
.LBB126_973:
	s_mov_b32 s1, exec_lo
	v_cmpx_ne_u32_e32 36, v0
	s_cbranch_execz .LBB126_977
; %bb.974:
	v_add_nc_u32_e32 v72, 0x104, v6
	v_add3_u32 v73, 0, v6, 4
	v_mov_b32_e32 v74, v0
	s_mov_b32 s2, 0
.LBB126_975:                            ; =>This Inner Loop Header: Depth=1
	scratch_load_b32 v75, v73, off
	ds_load_b32 v76, v72
	v_dual_add_nc_u32 v74, 1, v74 :: v_dual_add_nc_u32 v72, 4, v72
	s_wait_xcnt 0x0
	v_add_nc_u32_e32 v73, 4, v73
	s_delay_alu instid0(VALU_DEP_2)
	v_cmp_lt_u32_e32 vcc_lo, 35, v74
	s_or_b32 s2, vcc_lo, s2
	s_wait_loadcnt_dscnt 0x0
	v_fmac_f32_e32 v71, v75, v76
	s_and_not1_b32 exec_lo, exec_lo, s2
	s_cbranch_execnz .LBB126_975
; %bb.976:
	s_or_b32 exec_lo, exec_lo, s2
.LBB126_977:
	s_delay_alu instid0(SALU_CYCLE_1)
	s_or_b32 exec_lo, exec_lo, s1
	v_mov_b32_e32 v72, 0
	ds_load_b32 v72, v72 offset:148
	s_wait_dscnt 0x0
	v_mul_f32_e32 v71, v71, v72
	scratch_store_b32 off, v71, off offset:148
.LBB126_978:
	s_wait_xcnt 0x0
	s_or_b32 exec_lo, exec_lo, s0
	scratch_load_b32 v71, off, off offset:152
	s_mov_b32 s0, exec_lo
	s_wait_loadcnt 0x0
	ds_store_b32 v1, v71
	s_wait_storecnt_dscnt 0x0
	s_barrier_signal -1
	s_barrier_wait -1
	s_wait_xcnt 0x0
	v_cmpx_gt_u32_e32 38, v0
	s_cbranch_execz .LBB126_988
; %bb.979:
	v_cmp_ne_u32_e32 vcc_lo, 1, v70
	s_cbranch_vccnz .LBB126_981
; %bb.980:
	scratch_load_b32 v71, v7, off
	ds_load_b32 v72, v1
	s_wait_loadcnt_dscnt 0x0
	v_mul_f32_e32 v71, v71, v72
	s_cbranch_execz .LBB126_982
	s_branch .LBB126_983
.LBB126_981:
                                        ; implicit-def: $vgpr71
.LBB126_982:
	ds_load_b32 v71, v1
.LBB126_983:
	s_mov_b32 s1, exec_lo
	v_cmpx_ne_u32_e32 37, v0
	s_cbranch_execz .LBB126_987
; %bb.984:
	v_add_nc_u32_e32 v72, 0x104, v6
	v_add3_u32 v73, 0, v6, 4
	v_mov_b32_e32 v74, v0
	s_mov_b32 s2, 0
.LBB126_985:                            ; =>This Inner Loop Header: Depth=1
	scratch_load_b32 v75, v73, off
	ds_load_b32 v76, v72
	v_dual_add_nc_u32 v74, 1, v74 :: v_dual_add_nc_u32 v72, 4, v72
	s_wait_xcnt 0x0
	v_add_nc_u32_e32 v73, 4, v73
	s_delay_alu instid0(VALU_DEP_2)
	v_cmp_lt_u32_e32 vcc_lo, 36, v74
	s_or_b32 s2, vcc_lo, s2
	s_wait_loadcnt_dscnt 0x0
	v_fmac_f32_e32 v71, v75, v76
	s_and_not1_b32 exec_lo, exec_lo, s2
	s_cbranch_execnz .LBB126_985
; %bb.986:
	s_or_b32 exec_lo, exec_lo, s2
.LBB126_987:
	s_delay_alu instid0(SALU_CYCLE_1)
	s_or_b32 exec_lo, exec_lo, s1
	v_mov_b32_e32 v72, 0
	ds_load_b32 v72, v72 offset:152
	s_wait_dscnt 0x0
	v_mul_f32_e32 v71, v71, v72
	scratch_store_b32 off, v71, off offset:152
.LBB126_988:
	s_wait_xcnt 0x0
	s_or_b32 exec_lo, exec_lo, s0
	scratch_load_b32 v71, off, off offset:156
	s_mov_b32 s0, exec_lo
	s_wait_loadcnt 0x0
	ds_store_b32 v1, v71
	s_wait_storecnt_dscnt 0x0
	s_barrier_signal -1
	s_barrier_wait -1
	s_wait_xcnt 0x0
	v_cmpx_gt_u32_e32 39, v0
	s_cbranch_execz .LBB126_998
; %bb.989:
	v_cmp_ne_u32_e32 vcc_lo, 1, v70
	s_cbranch_vccnz .LBB126_991
; %bb.990:
	scratch_load_b32 v71, v7, off
	ds_load_b32 v72, v1
	s_wait_loadcnt_dscnt 0x0
	v_mul_f32_e32 v71, v71, v72
	s_cbranch_execz .LBB126_992
	s_branch .LBB126_993
.LBB126_991:
                                        ; implicit-def: $vgpr71
.LBB126_992:
	ds_load_b32 v71, v1
.LBB126_993:
	s_mov_b32 s1, exec_lo
	v_cmpx_ne_u32_e32 38, v0
	s_cbranch_execz .LBB126_997
; %bb.994:
	v_add_nc_u32_e32 v72, 0x104, v6
	v_add3_u32 v73, 0, v6, 4
	v_mov_b32_e32 v74, v0
	s_mov_b32 s2, 0
.LBB126_995:                            ; =>This Inner Loop Header: Depth=1
	scratch_load_b32 v75, v73, off
	ds_load_b32 v76, v72
	v_dual_add_nc_u32 v74, 1, v74 :: v_dual_add_nc_u32 v72, 4, v72
	s_wait_xcnt 0x0
	v_add_nc_u32_e32 v73, 4, v73
	s_delay_alu instid0(VALU_DEP_2)
	v_cmp_lt_u32_e32 vcc_lo, 37, v74
	s_or_b32 s2, vcc_lo, s2
	s_wait_loadcnt_dscnt 0x0
	v_fmac_f32_e32 v71, v75, v76
	s_and_not1_b32 exec_lo, exec_lo, s2
	s_cbranch_execnz .LBB126_995
; %bb.996:
	s_or_b32 exec_lo, exec_lo, s2
.LBB126_997:
	s_delay_alu instid0(SALU_CYCLE_1)
	s_or_b32 exec_lo, exec_lo, s1
	v_mov_b32_e32 v72, 0
	ds_load_b32 v72, v72 offset:156
	s_wait_dscnt 0x0
	v_mul_f32_e32 v71, v71, v72
	scratch_store_b32 off, v71, off offset:156
.LBB126_998:
	s_wait_xcnt 0x0
	s_or_b32 exec_lo, exec_lo, s0
	scratch_load_b32 v71, off, off offset:160
	s_mov_b32 s0, exec_lo
	s_wait_loadcnt 0x0
	ds_store_b32 v1, v71
	s_wait_storecnt_dscnt 0x0
	s_barrier_signal -1
	s_barrier_wait -1
	s_wait_xcnt 0x0
	v_cmpx_gt_u32_e32 40, v0
	s_cbranch_execz .LBB126_1008
; %bb.999:
	v_cmp_ne_u32_e32 vcc_lo, 1, v70
	s_cbranch_vccnz .LBB126_1001
; %bb.1000:
	scratch_load_b32 v71, v7, off
	ds_load_b32 v72, v1
	s_wait_loadcnt_dscnt 0x0
	v_mul_f32_e32 v71, v71, v72
	s_cbranch_execz .LBB126_1002
	s_branch .LBB126_1003
.LBB126_1001:
                                        ; implicit-def: $vgpr71
.LBB126_1002:
	ds_load_b32 v71, v1
.LBB126_1003:
	s_mov_b32 s1, exec_lo
	v_cmpx_ne_u32_e32 39, v0
	s_cbranch_execz .LBB126_1007
; %bb.1004:
	v_add_nc_u32_e32 v72, 0x104, v6
	v_add3_u32 v73, 0, v6, 4
	v_mov_b32_e32 v74, v0
	s_mov_b32 s2, 0
.LBB126_1005:                           ; =>This Inner Loop Header: Depth=1
	scratch_load_b32 v75, v73, off
	ds_load_b32 v76, v72
	v_dual_add_nc_u32 v74, 1, v74 :: v_dual_add_nc_u32 v72, 4, v72
	s_wait_xcnt 0x0
	v_add_nc_u32_e32 v73, 4, v73
	s_delay_alu instid0(VALU_DEP_2)
	v_cmp_lt_u32_e32 vcc_lo, 38, v74
	s_or_b32 s2, vcc_lo, s2
	s_wait_loadcnt_dscnt 0x0
	v_fmac_f32_e32 v71, v75, v76
	s_and_not1_b32 exec_lo, exec_lo, s2
	s_cbranch_execnz .LBB126_1005
; %bb.1006:
	s_or_b32 exec_lo, exec_lo, s2
.LBB126_1007:
	s_delay_alu instid0(SALU_CYCLE_1)
	s_or_b32 exec_lo, exec_lo, s1
	v_mov_b32_e32 v72, 0
	ds_load_b32 v72, v72 offset:160
	s_wait_dscnt 0x0
	v_mul_f32_e32 v71, v71, v72
	scratch_store_b32 off, v71, off offset:160
.LBB126_1008:
	s_wait_xcnt 0x0
	s_or_b32 exec_lo, exec_lo, s0
	scratch_load_b32 v71, off, off offset:164
	s_mov_b32 s0, exec_lo
	s_wait_loadcnt 0x0
	ds_store_b32 v1, v71
	s_wait_storecnt_dscnt 0x0
	s_barrier_signal -1
	s_barrier_wait -1
	s_wait_xcnt 0x0
	v_cmpx_gt_u32_e32 41, v0
	s_cbranch_execz .LBB126_1018
; %bb.1009:
	v_cmp_ne_u32_e32 vcc_lo, 1, v70
	s_cbranch_vccnz .LBB126_1011
; %bb.1010:
	scratch_load_b32 v71, v7, off
	ds_load_b32 v72, v1
	s_wait_loadcnt_dscnt 0x0
	v_mul_f32_e32 v71, v71, v72
	s_cbranch_execz .LBB126_1012
	s_branch .LBB126_1013
.LBB126_1011:
                                        ; implicit-def: $vgpr71
.LBB126_1012:
	ds_load_b32 v71, v1
.LBB126_1013:
	s_mov_b32 s1, exec_lo
	v_cmpx_ne_u32_e32 40, v0
	s_cbranch_execz .LBB126_1017
; %bb.1014:
	v_add_nc_u32_e32 v72, 0x104, v6
	v_add3_u32 v73, 0, v6, 4
	v_mov_b32_e32 v74, v0
	s_mov_b32 s2, 0
.LBB126_1015:                           ; =>This Inner Loop Header: Depth=1
	scratch_load_b32 v75, v73, off
	ds_load_b32 v76, v72
	v_dual_add_nc_u32 v74, 1, v74 :: v_dual_add_nc_u32 v72, 4, v72
	s_wait_xcnt 0x0
	v_add_nc_u32_e32 v73, 4, v73
	s_delay_alu instid0(VALU_DEP_2)
	v_cmp_lt_u32_e32 vcc_lo, 39, v74
	s_or_b32 s2, vcc_lo, s2
	s_wait_loadcnt_dscnt 0x0
	v_fmac_f32_e32 v71, v75, v76
	s_and_not1_b32 exec_lo, exec_lo, s2
	s_cbranch_execnz .LBB126_1015
; %bb.1016:
	s_or_b32 exec_lo, exec_lo, s2
.LBB126_1017:
	s_delay_alu instid0(SALU_CYCLE_1)
	s_or_b32 exec_lo, exec_lo, s1
	v_mov_b32_e32 v72, 0
	ds_load_b32 v72, v72 offset:164
	s_wait_dscnt 0x0
	v_mul_f32_e32 v71, v71, v72
	scratch_store_b32 off, v71, off offset:164
.LBB126_1018:
	;; [unrolled: 59-line block ×21, first 2 shown]
	s_wait_xcnt 0x0
	s_or_b32 exec_lo, exec_lo, s0
	scratch_load_b32 v71, off, off offset:244
	v_cmp_gt_u32_e64 s0, 61, v0
	s_wait_loadcnt 0x0
	ds_store_b32 v1, v71
	s_wait_storecnt_dscnt 0x0
	s_barrier_signal -1
	s_barrier_wait -1
	s_wait_xcnt 0x0
	s_and_saveexec_b32 s1, s0
	s_cbranch_execz .LBB126_1218
; %bb.1209:
	v_cmp_ne_u32_e32 vcc_lo, 1, v70
	s_cbranch_vccnz .LBB126_1211
; %bb.1210:
	scratch_load_b32 v71, v7, off
	ds_load_b32 v72, v1
	s_wait_loadcnt_dscnt 0x0
	v_mul_f32_e32 v71, v71, v72
	s_cbranch_execz .LBB126_1212
	s_branch .LBB126_1213
.LBB126_1211:
                                        ; implicit-def: $vgpr71
.LBB126_1212:
	ds_load_b32 v71, v1
.LBB126_1213:
	s_mov_b32 s2, exec_lo
	v_cmpx_ne_u32_e32 60, v0
	s_cbranch_execz .LBB126_1217
; %bb.1214:
	v_add_nc_u32_e32 v72, 0x104, v6
	v_add3_u32 v73, 0, v6, 4
	v_mov_b32_e32 v74, v0
	s_mov_b32 s3, 0
.LBB126_1215:                           ; =>This Inner Loop Header: Depth=1
	scratch_load_b32 v75, v73, off
	ds_load_b32 v76, v72
	v_dual_add_nc_u32 v74, 1, v74 :: v_dual_add_nc_u32 v72, 4, v72
	s_wait_xcnt 0x0
	v_add_nc_u32_e32 v73, 4, v73
	s_delay_alu instid0(VALU_DEP_2)
	v_cmp_lt_u32_e32 vcc_lo, 59, v74
	s_or_b32 s3, vcc_lo, s3
	s_wait_loadcnt_dscnt 0x0
	v_fmac_f32_e32 v71, v75, v76
	s_and_not1_b32 exec_lo, exec_lo, s3
	s_cbranch_execnz .LBB126_1215
; %bb.1216:
	s_or_b32 exec_lo, exec_lo, s3
.LBB126_1217:
	s_delay_alu instid0(SALU_CYCLE_1)
	s_or_b32 exec_lo, exec_lo, s2
	v_mov_b32_e32 v72, 0
	ds_load_b32 v72, v72 offset:244
	s_wait_dscnt 0x0
	v_mul_f32_e32 v71, v71, v72
	scratch_store_b32 off, v71, off offset:244
.LBB126_1218:
	s_wait_xcnt 0x0
	s_or_b32 exec_lo, exec_lo, s1
	scratch_load_b32 v71, off, off offset:248
	s_mov_b32 s1, exec_lo
	s_wait_loadcnt 0x0
	ds_store_b32 v1, v71
	s_wait_storecnt_dscnt 0x0
	s_barrier_signal -1
	s_barrier_wait -1
	s_wait_xcnt 0x0
	v_cmpx_ne_u32_e32 62, v0
	s_cbranch_execz .LBB126_1228
; %bb.1219:
	v_cmp_ne_u32_e32 vcc_lo, 1, v70
	s_cbranch_vccnz .LBB126_1221
; %bb.1220:
	scratch_load_b32 v7, v7, off
	ds_load_b32 v70, v1
	s_wait_loadcnt_dscnt 0x0
	v_mul_f32_e32 v7, v7, v70
	s_cbranch_execz .LBB126_1222
	s_branch .LBB126_1223
.LBB126_1221:
                                        ; implicit-def: $vgpr7
.LBB126_1222:
	ds_load_b32 v7, v1
.LBB126_1223:
	s_and_saveexec_b32 s2, s0
	s_cbranch_execz .LBB126_1227
; %bb.1224:
	v_add_nc_u32_e32 v1, 0x104, v6
	v_add3_u32 v6, 0, v6, 4
	s_mov_b32 s0, 0
.LBB126_1225:                           ; =>This Inner Loop Header: Depth=1
	scratch_load_b32 v70, v6, off
	ds_load_b32 v71, v1
	v_dual_add_nc_u32 v0, 1, v0 :: v_dual_add_nc_u32 v1, 4, v1
	s_wait_xcnt 0x0
	v_add_nc_u32_e32 v6, 4, v6
	s_delay_alu instid0(VALU_DEP_2)
	v_cmp_lt_u32_e32 vcc_lo, 60, v0
	s_or_b32 s0, vcc_lo, s0
	s_wait_loadcnt_dscnt 0x0
	v_fmac_f32_e32 v7, v70, v71
	s_and_not1_b32 exec_lo, exec_lo, s0
	s_cbranch_execnz .LBB126_1225
; %bb.1226:
	s_or_b32 exec_lo, exec_lo, s0
.LBB126_1227:
	s_delay_alu instid0(SALU_CYCLE_1)
	s_or_b32 exec_lo, exec_lo, s2
	v_mov_b32_e32 v0, 0
	ds_load_b32 v0, v0 offset:248
	s_wait_dscnt 0x0
	v_mul_f32_e32 v0, v7, v0
	scratch_store_b32 off, v0, off offset:248
.LBB126_1228:
	s_wait_xcnt 0x0
	s_or_b32 exec_lo, exec_lo, s1
.LBB126_1229:
	scratch_load_b32 v0, off, off
	s_wait_loadcnt 0x0
	flat_store_b32 v[2:3], v0
	scratch_load_b32 v0, off, off offset:4
	s_wait_loadcnt 0x0
	flat_store_b32 v[4:5], v0
	scratch_load_b32 v0, off, off offset:8
	;; [unrolled: 3-line block ×62, first 2 shown]
	s_wait_loadcnt 0x0
	flat_store_b32 v[8:9], v0
.LBB126_1230:
	s_sendmsg sendmsg(MSG_DEALLOC_VGPRS)
	s_endpgm
	.section	.rodata,"a",@progbits
	.p2align	6, 0x0
	.amdhsa_kernel _ZN9rocsolver6v33100L18trti2_kernel_smallILi63EfPKPfEEv13rocblas_fill_17rocblas_diagonal_T1_iil
		.amdhsa_group_segment_fixed_size 508
		.amdhsa_private_segment_fixed_size 256
		.amdhsa_kernarg_size 32
		.amdhsa_user_sgpr_count 2
		.amdhsa_user_sgpr_dispatch_ptr 0
		.amdhsa_user_sgpr_queue_ptr 0
		.amdhsa_user_sgpr_kernarg_segment_ptr 1
		.amdhsa_user_sgpr_dispatch_id 0
		.amdhsa_user_sgpr_kernarg_preload_length 0
		.amdhsa_user_sgpr_kernarg_preload_offset 0
		.amdhsa_user_sgpr_private_segment_size 0
		.amdhsa_wavefront_size32 1
		.amdhsa_uses_dynamic_stack 0
		.amdhsa_enable_private_segment 1
		.amdhsa_system_sgpr_workgroup_id_x 1
		.amdhsa_system_sgpr_workgroup_id_y 0
		.amdhsa_system_sgpr_workgroup_id_z 0
		.amdhsa_system_sgpr_workgroup_info 0
		.amdhsa_system_vgpr_workitem_id 0
		.amdhsa_next_free_vgpr 190
		.amdhsa_next_free_sgpr 69
		.amdhsa_named_barrier_count 0
		.amdhsa_reserve_vcc 1
		.amdhsa_float_round_mode_32 0
		.amdhsa_float_round_mode_16_64 0
		.amdhsa_float_denorm_mode_32 3
		.amdhsa_float_denorm_mode_16_64 3
		.amdhsa_fp16_overflow 0
		.amdhsa_memory_ordered 1
		.amdhsa_forward_progress 1
		.amdhsa_inst_pref_size 255
		.amdhsa_round_robin_scheduling 0
		.amdhsa_exception_fp_ieee_invalid_op 0
		.amdhsa_exception_fp_denorm_src 0
		.amdhsa_exception_fp_ieee_div_zero 0
		.amdhsa_exception_fp_ieee_overflow 0
		.amdhsa_exception_fp_ieee_underflow 0
		.amdhsa_exception_fp_ieee_inexact 0
		.amdhsa_exception_int_div_zero 0
	.end_amdhsa_kernel
	.section	.text._ZN9rocsolver6v33100L18trti2_kernel_smallILi63EfPKPfEEv13rocblas_fill_17rocblas_diagonal_T1_iil,"axG",@progbits,_ZN9rocsolver6v33100L18trti2_kernel_smallILi63EfPKPfEEv13rocblas_fill_17rocblas_diagonal_T1_iil,comdat
.Lfunc_end126:
	.size	_ZN9rocsolver6v33100L18trti2_kernel_smallILi63EfPKPfEEv13rocblas_fill_17rocblas_diagonal_T1_iil, .Lfunc_end126-_ZN9rocsolver6v33100L18trti2_kernel_smallILi63EfPKPfEEv13rocblas_fill_17rocblas_diagonal_T1_iil
                                        ; -- End function
	.set _ZN9rocsolver6v33100L18trti2_kernel_smallILi63EfPKPfEEv13rocblas_fill_17rocblas_diagonal_T1_iil.num_vgpr, 190
	.set _ZN9rocsolver6v33100L18trti2_kernel_smallILi63EfPKPfEEv13rocblas_fill_17rocblas_diagonal_T1_iil.num_agpr, 0
	.set _ZN9rocsolver6v33100L18trti2_kernel_smallILi63EfPKPfEEv13rocblas_fill_17rocblas_diagonal_T1_iil.numbered_sgpr, 69
	.set _ZN9rocsolver6v33100L18trti2_kernel_smallILi63EfPKPfEEv13rocblas_fill_17rocblas_diagonal_T1_iil.num_named_barrier, 0
	.set _ZN9rocsolver6v33100L18trti2_kernel_smallILi63EfPKPfEEv13rocblas_fill_17rocblas_diagonal_T1_iil.private_seg_size, 256
	.set _ZN9rocsolver6v33100L18trti2_kernel_smallILi63EfPKPfEEv13rocblas_fill_17rocblas_diagonal_T1_iil.uses_vcc, 1
	.set _ZN9rocsolver6v33100L18trti2_kernel_smallILi63EfPKPfEEv13rocblas_fill_17rocblas_diagonal_T1_iil.uses_flat_scratch, 0
	.set _ZN9rocsolver6v33100L18trti2_kernel_smallILi63EfPKPfEEv13rocblas_fill_17rocblas_diagonal_T1_iil.has_dyn_sized_stack, 0
	.set _ZN9rocsolver6v33100L18trti2_kernel_smallILi63EfPKPfEEv13rocblas_fill_17rocblas_diagonal_T1_iil.has_recursion, 0
	.set _ZN9rocsolver6v33100L18trti2_kernel_smallILi63EfPKPfEEv13rocblas_fill_17rocblas_diagonal_T1_iil.has_indirect_call, 0
	.section	.AMDGPU.csdata,"",@progbits
; Kernel info:
; codeLenInByte = 36544
; TotalNumSgprs: 71
; NumVgprs: 190
; ScratchSize: 256
; MemoryBound: 0
; FloatMode: 240
; IeeeMode: 1
; LDSByteSize: 508 bytes/workgroup (compile time only)
; SGPRBlocks: 0
; VGPRBlocks: 11
; NumSGPRsForWavesPerEU: 71
; NumVGPRsForWavesPerEU: 190
; NamedBarCnt: 0
; Occupancy: 5
; WaveLimiterHint : 1
; COMPUTE_PGM_RSRC2:SCRATCH_EN: 1
; COMPUTE_PGM_RSRC2:USER_SGPR: 2
; COMPUTE_PGM_RSRC2:TRAP_HANDLER: 0
; COMPUTE_PGM_RSRC2:TGID_X_EN: 1
; COMPUTE_PGM_RSRC2:TGID_Y_EN: 0
; COMPUTE_PGM_RSRC2:TGID_Z_EN: 0
; COMPUTE_PGM_RSRC2:TIDIG_COMP_CNT: 0
	.section	.text._ZN9rocsolver6v33100L18trti2_kernel_smallILi64EfPKPfEEv13rocblas_fill_17rocblas_diagonal_T1_iil,"axG",@progbits,_ZN9rocsolver6v33100L18trti2_kernel_smallILi64EfPKPfEEv13rocblas_fill_17rocblas_diagonal_T1_iil,comdat
	.globl	_ZN9rocsolver6v33100L18trti2_kernel_smallILi64EfPKPfEEv13rocblas_fill_17rocblas_diagonal_T1_iil ; -- Begin function _ZN9rocsolver6v33100L18trti2_kernel_smallILi64EfPKPfEEv13rocblas_fill_17rocblas_diagonal_T1_iil
	.p2align	8
	.type	_ZN9rocsolver6v33100L18trti2_kernel_smallILi64EfPKPfEEv13rocblas_fill_17rocblas_diagonal_T1_iil,@function
_ZN9rocsolver6v33100L18trti2_kernel_smallILi64EfPKPfEEv13rocblas_fill_17rocblas_diagonal_T1_iil: ; @_ZN9rocsolver6v33100L18trti2_kernel_smallILi64EfPKPfEEv13rocblas_fill_17rocblas_diagonal_T1_iil
; %bb.0:
	s_mov_b32 s2, exec_lo
	v_cmpx_gt_u32_e32 64, v0
	s_cbranch_execz .LBB127_1250
; %bb.1:
	s_clause 0x1
	s_load_b64 s[2:3], s[0:1], 0x10
	s_load_b128 s[4:7], s[0:1], 0x0
	s_wait_xcnt 0x0
	s_bfe_u32 s0, ttmp6, 0x4000c
	s_and_b32 s1, ttmp6, 15
	s_add_co_i32 s0, s0, 1
	s_getreg_b32 s8, hwreg(HW_REG_IB_STS2, 6, 4)
	s_mul_i32 s0, ttmp9, s0
	v_dual_mov_b32 v7, 0 :: v_dual_lshlrev_b32 v6, 2, v0
	s_add_co_i32 s0, s1, s0
	v_mov_b32_e32 v132, -1.0
	s_wait_kmcnt 0x0
	s_ashr_i32 s1, s2, 31
	s_cmp_eq_u32 s8, 0
	v_add3_u32 v8, s3, s3, v0
	s_cselect_b32 s8, ttmp9, s0
	s_mov_b32 s0, s2
	s_ashr_i32 s9, s8, 31
	s_lshl_b64 s[0:1], s[0:1], 2
	s_lshl_b64 s[8:9], s[8:9], 3
	v_add_nc_u32_e32 v10, s3, v8
	s_add_nc_u64 s[6:7], s[6:7], s[8:9]
	s_load_b64 s[6:7], s[6:7], 0x0
	s_delay_alu instid0(VALU_DEP_1) | instskip(NEXT) | instid1(VALU_DEP_1)
	v_add_nc_u32_e32 v12, s3, v10
	v_add_nc_u32_e32 v14, s3, v12
	s_delay_alu instid0(VALU_DEP_1) | instskip(NEXT) | instid1(VALU_DEP_1)
	v_add_nc_u32_e32 v16, s3, v14
	v_dual_ashrrev_i32 v11, 31, v10 :: v_dual_add_nc_u32 v18, s3, v16
	v_ashrrev_i32_e32 v13, 31, v12
	s_wait_kmcnt 0x0
	s_add_nc_u64 s[6:7], s[6:7], s[0:1]
	s_mov_b32 s0, s3
	flat_load_b32 v1, v0, s[6:7] scale_offset
	v_add_nc_u64_e32 v[2:3], s[6:7], v[6:7]
	s_ashr_i32 s1, s3, 31
	v_dual_add_nc_u32 v20, s3, v18 :: v_dual_ashrrev_i32 v9, 31, v8
	v_ashrrev_i32_e32 v15, 31, v14
	v_ashrrev_i32_e32 v19, 31, v18
	s_cmp_lg_u32 s5, 0x84
	s_delay_alu instid0(VALU_DEP_4) | instskip(SKIP_2) | instid1(VALU_DEP_1)
	v_lshl_add_u64 v[4:5], s[0:1], 2, v[2:3]
	v_add_nc_u32_e32 v22, s3, v20
	s_movk_i32 s1, 0x84
	v_add_nc_u32_e32 v24, s3, v22
	s_delay_alu instid0(VALU_DEP_1) | instskip(NEXT) | instid1(VALU_DEP_1)
	v_add_nc_u32_e32 v26, s3, v24
	v_dual_add_nc_u32 v28, s3, v26 :: v_dual_ashrrev_i32 v17, 31, v16
	s_delay_alu instid0(VALU_DEP_1) | instskip(NEXT) | instid1(VALU_DEP_1)
	v_dual_ashrrev_i32 v23, 31, v22 :: v_dual_add_nc_u32 v30, s3, v28
	v_dual_ashrrev_i32 v25, 31, v24 :: v_dual_ashrrev_i32 v31, 31, v30
	v_dual_add_nc_u32 v32, s3, v30 :: v_dual_ashrrev_i32 v21, 31, v20
	s_delay_alu instid0(VALU_DEP_1) | instskip(NEXT) | instid1(VALU_DEP_1)
	v_dual_ashrrev_i32 v27, 31, v26 :: v_dual_add_nc_u32 v34, s3, v32
	v_add_nc_u32_e32 v36, s3, v34
	s_delay_alu instid0(VALU_DEP_1) | instskip(NEXT) | instid1(VALU_DEP_1)
	v_add_nc_u32_e32 v38, s3, v36
	v_dual_add_nc_u32 v40, s3, v38 :: v_dual_ashrrev_i32 v29, 31, v28
	s_delay_alu instid0(VALU_DEP_1) | instskip(NEXT) | instid1(VALU_DEP_1)
	v_dual_ashrrev_i32 v35, 31, v34 :: v_dual_add_nc_u32 v42, s3, v40
	v_dual_ashrrev_i32 v37, 31, v36 :: v_dual_ashrrev_i32 v43, 31, v42
	v_dual_add_nc_u32 v44, s3, v42 :: v_dual_ashrrev_i32 v33, 31, v32
	s_delay_alu instid0(VALU_DEP_1) | instskip(NEXT) | instid1(VALU_DEP_1)
	v_dual_ashrrev_i32 v39, 31, v38 :: v_dual_add_nc_u32 v46, s3, v44
	;; [unrolled: 10-line block ×8, first 2 shown]
	v_add_nc_u32_e32 v120, s3, v118
	s_delay_alu instid0(VALU_DEP_1) | instskip(NEXT) | instid1(VALU_DEP_1)
	v_add_nc_u32_e32 v122, s3, v120
	v_dual_add_nc_u32 v124, s3, v122 :: v_dual_ashrrev_i32 v113, 31, v112
	s_delay_alu instid0(VALU_DEP_1) | instskip(NEXT) | instid1(VALU_DEP_1)
	v_dual_ashrrev_i32 v119, 31, v118 :: v_dual_add_nc_u32 v126, s3, v124
	v_dual_ashrrev_i32 v121, 31, v120 :: v_dual_ashrrev_i32 v127, 31, v126
	v_dual_add_nc_u32 v128, s3, v126 :: v_dual_ashrrev_i32 v117, 31, v116
	s_delay_alu instid0(VALU_DEP_1)
	v_dual_ashrrev_i32 v123, 31, v122 :: v_dual_add_nc_u32 v130, s3, v128
	v_ashrrev_i32_e32 v125, 31, v124
	v_ashrrev_i32_e32 v129, 31, v128
	s_cselect_b32 s3, -1, 0
	s_cmp_eq_u32 s5, 0x84
	v_ashrrev_i32_e32 v131, 31, v130
	s_wait_loadcnt_dscnt 0x0
	scratch_store_b32 off, v1, off
	flat_load_b32 v1, v[4:5]
	s_wait_loadcnt_dscnt 0x0
	scratch_store_b32 off, v1, off offset:4
	flat_load_b32 v1, v8, s[6:7] scale_offset
	s_wait_loadcnt_dscnt 0x0
	scratch_store_b32 off, v1, off offset:8
	flat_load_b32 v1, v10, s[6:7] scale_offset
	;; [unrolled: 3-line block ×62, first 2 shown]
	s_wait_loadcnt_dscnt 0x0
	scratch_store_b32 off, v1, off offset:252
	s_cbranch_scc1 .LBB127_3
; %bb.2:
	scratch_load_b32 v1, v0, off scale_offset
	s_wait_loadcnt 0x0
	v_div_scale_f32 v7, null, v1, v1, 1.0
	s_delay_alu instid0(VALU_DEP_1) | instskip(SKIP_1) | instid1(TRANS32_DEP_1)
	v_rcp_f32_e32 v132, v7
	v_nop
	v_fma_f32 v133, -v7, v132, 1.0
	s_delay_alu instid0(VALU_DEP_1) | instskip(SKIP_1) | instid1(VALU_DEP_1)
	v_fmac_f32_e32 v132, v133, v132
	v_div_scale_f32 v133, vcc_lo, 1.0, v1, 1.0
	v_mul_f32_e32 v134, v133, v132
	s_delay_alu instid0(VALU_DEP_1) | instskip(NEXT) | instid1(VALU_DEP_1)
	v_fma_f32 v135, -v7, v134, v133
	v_fmac_f32_e32 v134, v135, v132
	s_delay_alu instid0(VALU_DEP_1) | instskip(NEXT) | instid1(VALU_DEP_1)
	v_fma_f32 v7, -v7, v134, v133
	v_div_fmas_f32 v7, v7, v132, v134
	s_delay_alu instid0(VALU_DEP_1) | instskip(NEXT) | instid1(VALU_DEP_1)
	v_div_fixup_f32 v1, v7, v1, 1.0
	v_xor_b32_e32 v132, 0x80000000, v1
	scratch_store_b32 v0, v1, off scale_offset
.LBB127_3:
	s_wait_xcnt 0x0
	v_or_b32_e32 v1, 0x100, v6
	v_mov_b32_e32 v7, v6
	s_cmp_eq_u32 s4, 0x79
	s_mov_b32 s2, -1
	ds_store_b32 v6, v132
	s_cbranch_scc1 .LBB127_627
; %bb.4:
	scratch_load_b32 v132, off, off offset:248
	v_cmp_eq_u32_e64 s0, 63, v0
	s_movk_i32 s21, 0x44
	s_movk_i32 s22, 0x48
	;; [unrolled: 1-line block ×44, first 2 shown]
	s_wait_loadcnt 0x0
	ds_store_b32 v1, v132
	s_wait_storecnt_dscnt 0x0
	s_barrier_signal -1
	s_barrier_wait -1
	s_wait_xcnt 0x0
	s_and_saveexec_b32 s2, s0
	s_cbranch_execz .LBB127_10
; %bb.5:
	s_and_b32 vcc_lo, exec_lo, s3
	s_cbranch_vccz .LBB127_7
; %bb.6:
	scratch_load_b32 v132, v7, off
	ds_load_b32 v133, v1
	s_wait_loadcnt_dscnt 0x0
	v_mul_f32_e32 v132, v132, v133
	s_cbranch_execz .LBB127_8
	s_branch .LBB127_9
.LBB127_7:
                                        ; implicit-def: $vgpr132
.LBB127_8:
	ds_load_b32 v132, v1
.LBB127_9:
	v_mov_b32_e32 v133, 0
	ds_load_b32 v133, v133 offset:248
	s_wait_dscnt 0x0
	v_mul_f32_e32 v132, v132, v133
	scratch_store_b32 off, v132, off offset:248
.LBB127_10:
	s_wait_xcnt 0x0
	s_or_b32 exec_lo, exec_lo, s2
	scratch_load_b32 v132, off, off offset:244
	s_mov_b32 s38, s1
	v_cmp_lt_u32_e64 s1, 61, v0
	s_or_b32 s4, 0, 4
	s_or_b32 s5, 0, 8
	;; [unrolled: 1-line block ×3, first 2 shown]
	s_mov_b32 s2, 16
	s_mov_b32 s9, 20
	;; [unrolled: 1-line block ×13, first 2 shown]
	s_wait_loadcnt 0x0
	ds_store_b32 v1, v132
	s_wait_storecnt_dscnt 0x0
	s_barrier_signal -1
	s_barrier_wait -1
	s_wait_xcnt 0x0
	s_and_saveexec_b32 s67, s1
	s_cbranch_execz .LBB127_16
; %bb.11:
	s_and_not1_b32 vcc_lo, exec_lo, s3
	s_cbranch_vccnz .LBB127_13
; %bb.12:
	scratch_load_b32 v132, v7, off
	ds_load_b32 v133, v1
	s_wait_loadcnt_dscnt 0x0
	v_mul_f32_e32 v132, v132, v133
	s_cbranch_execz .LBB127_14
	s_branch .LBB127_15
.LBB127_13:
                                        ; implicit-def: $vgpr132
.LBB127_14:
	ds_load_b32 v132, v1
.LBB127_15:
	scratch_load_b32 v133, off, off offset:248
	v_mov_b32_e32 v134, 0
	ds_load_2addr_b32 v[134:135], v134 offset0:61 offset1:126
	s_wait_loadcnt_dscnt 0x0
	v_fma_f32 v133, v133, v135, v132
	s_delay_alu instid0(VALU_DEP_1) | instskip(NEXT) | instid1(VALU_DEP_1)
	v_cndmask_b32_e64 v132, v132, v133, s0
	v_mul_f32_e32 v132, v132, v134
	scratch_store_b32 off, v132, off offset:244
.LBB127_16:
	s_wait_xcnt 0x0
	s_or_b32 exec_lo, exec_lo, s67
	scratch_load_b32 v132, off, off offset:240
	v_cmp_lt_u32_e64 s0, 60, v0
	s_wait_loadcnt 0x0
	ds_store_b32 v1, v132
	s_wait_storecnt_dscnt 0x0
	s_barrier_signal -1
	s_barrier_wait -1
	s_wait_xcnt 0x0
	s_and_saveexec_b32 s67, s0
	s_cbranch_execz .LBB127_26
; %bb.17:
	s_and_not1_b32 vcc_lo, exec_lo, s3
	s_cbranch_vccnz .LBB127_19
; %bb.18:
	scratch_load_b32 v132, v7, off
	ds_load_b32 v133, v1
	s_wait_loadcnt_dscnt 0x0
	v_mul_f32_e32 v132, v132, v133
	s_cbranch_execz .LBB127_20
	s_branch .LBB127_21
.LBB127_19:
                                        ; implicit-def: $vgpr132
.LBB127_20:
	ds_load_b32 v132, v1
.LBB127_21:
	s_and_saveexec_b32 s68, s1
	s_cbranch_execz .LBB127_25
; %bb.22:
	v_subrev_nc_u32_e32 v133, 61, v0
	s_movk_i32 s69, 0x1f4
	s_mov_b32 s1, 0
.LBB127_23:                             ; =>This Inner Loop Header: Depth=1
	scratch_load_b32 v134, off, s66
	v_dual_mov_b32 v135, s69 :: v_dual_add_nc_u32 v133, -1, v133
	s_add_co_i32 s69, s69, 4
	s_wait_xcnt 0x0
	s_add_co_i32 s66, s66, 4
	ds_load_b32 v135, v135
	v_cmp_eq_u32_e32 vcc_lo, 0, v133
	s_or_b32 s1, vcc_lo, s1
	s_wait_loadcnt_dscnt 0x0
	v_fmac_f32_e32 v132, v134, v135
	s_and_not1_b32 exec_lo, exec_lo, s1
	s_cbranch_execnz .LBB127_23
; %bb.24:
	s_or_b32 exec_lo, exec_lo, s1
.LBB127_25:
	s_delay_alu instid0(SALU_CYCLE_1)
	s_or_b32 exec_lo, exec_lo, s68
	v_mov_b32_e32 v133, 0
	ds_load_b32 v133, v133 offset:240
	s_wait_dscnt 0x0
	v_mul_f32_e32 v132, v132, v133
	scratch_store_b32 off, v132, off offset:240
.LBB127_26:
	s_wait_xcnt 0x0
	s_or_b32 exec_lo, exec_lo, s67
	scratch_load_b32 v132, off, off offset:236
	v_cmp_lt_u32_e64 s1, 59, v0
	s_wait_loadcnt 0x0
	ds_store_b32 v1, v132
	s_wait_storecnt_dscnt 0x0
	s_barrier_signal -1
	s_barrier_wait -1
	s_wait_xcnt 0x0
	s_and_saveexec_b32 s66, s1
	s_cbranch_execz .LBB127_36
; %bb.27:
	s_and_not1_b32 vcc_lo, exec_lo, s3
	s_cbranch_vccnz .LBB127_29
; %bb.28:
	scratch_load_b32 v132, v7, off
	ds_load_b32 v133, v1
	s_wait_loadcnt_dscnt 0x0
	v_mul_f32_e32 v132, v132, v133
	s_cbranch_execz .LBB127_30
	s_branch .LBB127_31
.LBB127_29:
                                        ; implicit-def: $vgpr132
.LBB127_30:
	ds_load_b32 v132, v1
.LBB127_31:
	s_and_saveexec_b32 s67, s0
	s_cbranch_execz .LBB127_35
; %bb.32:
	v_subrev_nc_u32_e32 v133, 60, v0
	s_movk_i32 s68, 0x1f0
	s_mov_b32 s0, 0
.LBB127_33:                             ; =>This Inner Loop Header: Depth=1
	scratch_load_b32 v134, off, s65
	v_dual_mov_b32 v135, s68 :: v_dual_add_nc_u32 v133, -1, v133
	s_add_co_i32 s68, s68, 4
	s_wait_xcnt 0x0
	s_add_co_i32 s65, s65, 4
	ds_load_b32 v135, v135
	v_cmp_eq_u32_e32 vcc_lo, 0, v133
	s_or_b32 s0, vcc_lo, s0
	s_wait_loadcnt_dscnt 0x0
	v_fmac_f32_e32 v132, v134, v135
	s_and_not1_b32 exec_lo, exec_lo, s0
	s_cbranch_execnz .LBB127_33
; %bb.34:
	s_or_b32 exec_lo, exec_lo, s0
.LBB127_35:
	s_delay_alu instid0(SALU_CYCLE_1)
	s_or_b32 exec_lo, exec_lo, s67
	v_mov_b32_e32 v133, 0
	ds_load_b32 v133, v133 offset:236
	s_wait_dscnt 0x0
	v_mul_f32_e32 v132, v132, v133
	scratch_store_b32 off, v132, off offset:236
.LBB127_36:
	;; [unrolled: 57-line block ×8, first 2 shown]
	s_wait_xcnt 0x0
	s_or_b32 exec_lo, exec_lo, s60
	scratch_load_b32 v132, off, off offset:208
	v_cmp_lt_u32_e64 s0, 52, v0
	s_wait_loadcnt 0x0
	ds_store_b32 v1, v132
	s_wait_storecnt_dscnt 0x0
	s_barrier_signal -1
	s_barrier_wait -1
	s_wait_xcnt 0x0
	s_and_saveexec_b32 s59, s0
	s_cbranch_execz .LBB127_106
; %bb.97:
	s_and_not1_b32 vcc_lo, exec_lo, s3
	s_cbranch_vccnz .LBB127_99
; %bb.98:
	scratch_load_b32 v132, v7, off
	ds_load_b32 v133, v1
	s_wait_loadcnt_dscnt 0x0
	v_mul_f32_e32 v132, v132, v133
	s_cbranch_execz .LBB127_100
	s_branch .LBB127_101
.LBB127_99:
                                        ; implicit-def: $vgpr132
.LBB127_100:
	ds_load_b32 v132, v1
.LBB127_101:
	s_and_saveexec_b32 s60, s1
	s_cbranch_execz .LBB127_105
; %bb.102:
	v_subrev_nc_u32_e32 v133, 53, v0
	s_movk_i32 s61, 0x1d4
	s_mov_b32 s1, 0
.LBB127_103:                            ; =>This Inner Loop Header: Depth=1
	scratch_load_b32 v134, off, s58
	v_dual_mov_b32 v135, s61 :: v_dual_add_nc_u32 v133, -1, v133
	s_add_co_i32 s61, s61, 4
	s_wait_xcnt 0x0
	s_add_co_i32 s58, s58, 4
	ds_load_b32 v135, v135
	v_cmp_eq_u32_e32 vcc_lo, 0, v133
	s_or_b32 s1, vcc_lo, s1
	s_wait_loadcnt_dscnt 0x0
	v_fmac_f32_e32 v132, v134, v135
	s_and_not1_b32 exec_lo, exec_lo, s1
	s_cbranch_execnz .LBB127_103
; %bb.104:
	s_or_b32 exec_lo, exec_lo, s1
.LBB127_105:
	s_delay_alu instid0(SALU_CYCLE_1)
	s_or_b32 exec_lo, exec_lo, s60
	v_mov_b32_e32 v133, 0
	ds_load_b32 v133, v133 offset:208
	s_wait_dscnt 0x0
	v_mul_f32_e32 v132, v132, v133
	scratch_store_b32 off, v132, off offset:208
.LBB127_106:
	s_wait_xcnt 0x0
	s_or_b32 exec_lo, exec_lo, s59
	scratch_load_b32 v132, off, off offset:204
	v_cmp_lt_u32_e64 s1, 51, v0
	s_wait_loadcnt 0x0
	ds_store_b32 v1, v132
	s_wait_storecnt_dscnt 0x0
	s_barrier_signal -1
	s_barrier_wait -1
	s_wait_xcnt 0x0
	s_and_saveexec_b32 s58, s1
	s_cbranch_execz .LBB127_116
; %bb.107:
	s_and_not1_b32 vcc_lo, exec_lo, s3
	s_cbranch_vccnz .LBB127_109
; %bb.108:
	scratch_load_b32 v132, v7, off
	ds_load_b32 v133, v1
	s_wait_loadcnt_dscnt 0x0
	v_mul_f32_e32 v132, v132, v133
	s_cbranch_execz .LBB127_110
	s_branch .LBB127_111
.LBB127_109:
                                        ; implicit-def: $vgpr132
.LBB127_110:
	ds_load_b32 v132, v1
.LBB127_111:
	s_and_saveexec_b32 s59, s0
	s_cbranch_execz .LBB127_115
; %bb.112:
	v_subrev_nc_u32_e32 v133, 52, v0
	s_movk_i32 s60, 0x1d0
	s_mov_b32 s0, 0
.LBB127_113:                            ; =>This Inner Loop Header: Depth=1
	scratch_load_b32 v134, off, s57
	v_dual_mov_b32 v135, s60 :: v_dual_add_nc_u32 v133, -1, v133
	s_add_co_i32 s60, s60, 4
	s_wait_xcnt 0x0
	s_add_co_i32 s57, s57, 4
	ds_load_b32 v135, v135
	v_cmp_eq_u32_e32 vcc_lo, 0, v133
	s_or_b32 s0, vcc_lo, s0
	s_wait_loadcnt_dscnt 0x0
	v_fmac_f32_e32 v132, v134, v135
	s_and_not1_b32 exec_lo, exec_lo, s0
	s_cbranch_execnz .LBB127_113
; %bb.114:
	s_or_b32 exec_lo, exec_lo, s0
.LBB127_115:
	s_delay_alu instid0(SALU_CYCLE_1)
	s_or_b32 exec_lo, exec_lo, s59
	v_mov_b32_e32 v133, 0
	ds_load_b32 v133, v133 offset:204
	s_wait_dscnt 0x0
	v_mul_f32_e32 v132, v132, v133
	scratch_store_b32 off, v132, off offset:204
.LBB127_116:
	;; [unrolled: 57-line block ×37, first 2 shown]
	s_wait_xcnt 0x0
	s_or_b32 exec_lo, exec_lo, s22
	scratch_load_b32 v132, off, off offset:60
	v_cmp_lt_u32_e64 s1, 15, v0
	s_wait_loadcnt 0x0
	ds_store_b32 v1, v132
	s_wait_storecnt_dscnt 0x0
	s_barrier_signal -1
	s_barrier_wait -1
	s_wait_xcnt 0x0
	s_and_saveexec_b32 s21, s1
	s_cbranch_execz .LBB127_476
; %bb.467:
	s_and_not1_b32 vcc_lo, exec_lo, s3
	s_cbranch_vccnz .LBB127_469
; %bb.468:
	scratch_load_b32 v132, v7, off
	ds_load_b32 v133, v1
	s_wait_loadcnt_dscnt 0x0
	v_mul_f32_e32 v132, v132, v133
	s_cbranch_execz .LBB127_470
	s_branch .LBB127_471
.LBB127_469:
                                        ; implicit-def: $vgpr132
.LBB127_470:
	ds_load_b32 v132, v1
.LBB127_471:
	s_and_saveexec_b32 s22, s0
	s_cbranch_execz .LBB127_475
; %bb.472:
	v_add_nc_u32_e32 v133, -16, v0
	s_movk_i32 s23, 0x140
	s_mov_b32 s0, 0
.LBB127_473:                            ; =>This Inner Loop Header: Depth=1
	scratch_load_b32 v134, off, s20
	v_dual_mov_b32 v135, s23 :: v_dual_add_nc_u32 v133, -1, v133
	s_add_co_i32 s23, s23, 4
	s_wait_xcnt 0x0
	s_add_co_i32 s20, s20, 4
	ds_load_b32 v135, v135
	v_cmp_eq_u32_e32 vcc_lo, 0, v133
	s_or_b32 s0, vcc_lo, s0
	s_wait_loadcnt_dscnt 0x0
	v_fmac_f32_e32 v132, v134, v135
	s_and_not1_b32 exec_lo, exec_lo, s0
	s_cbranch_execnz .LBB127_473
; %bb.474:
	s_or_b32 exec_lo, exec_lo, s0
.LBB127_475:
	s_delay_alu instid0(SALU_CYCLE_1)
	s_or_b32 exec_lo, exec_lo, s22
	v_mov_b32_e32 v133, 0
	ds_load_b32 v133, v133 offset:60
	s_wait_dscnt 0x0
	v_mul_f32_e32 v132, v132, v133
	scratch_store_b32 off, v132, off offset:60
.LBB127_476:
	s_wait_xcnt 0x0
	s_or_b32 exec_lo, exec_lo, s21
	scratch_load_b32 v132, off, off offset:56
	v_cmp_lt_u32_e64 s0, 14, v0
	s_wait_loadcnt 0x0
	ds_store_b32 v1, v132
	s_wait_storecnt_dscnt 0x0
	s_barrier_signal -1
	s_barrier_wait -1
	s_wait_xcnt 0x0
	s_and_saveexec_b32 s20, s0
	s_cbranch_execz .LBB127_486
; %bb.477:
	s_and_not1_b32 vcc_lo, exec_lo, s3
	s_cbranch_vccnz .LBB127_479
; %bb.478:
	scratch_load_b32 v132, v7, off
	ds_load_b32 v133, v1
	s_wait_loadcnt_dscnt 0x0
	v_mul_f32_e32 v132, v132, v133
	s_cbranch_execz .LBB127_480
	s_branch .LBB127_481
.LBB127_479:
                                        ; implicit-def: $vgpr132
.LBB127_480:
	ds_load_b32 v132, v1
.LBB127_481:
	s_and_saveexec_b32 s21, s1
	s_cbranch_execz .LBB127_485
; %bb.482:
	v_add_nc_u32_e32 v133, -15, v0
	s_movk_i32 s22, 0x13c
	s_mov_b32 s1, 0
.LBB127_483:                            ; =>This Inner Loop Header: Depth=1
	scratch_load_b32 v134, off, s19
	v_dual_mov_b32 v135, s22 :: v_dual_add_nc_u32 v133, -1, v133
	s_add_co_i32 s22, s22, 4
	s_wait_xcnt 0x0
	s_add_co_i32 s19, s19, 4
	ds_load_b32 v135, v135
	v_cmp_eq_u32_e32 vcc_lo, 0, v133
	s_or_b32 s1, vcc_lo, s1
	s_wait_loadcnt_dscnt 0x0
	v_fmac_f32_e32 v132, v134, v135
	s_and_not1_b32 exec_lo, exec_lo, s1
	s_cbranch_execnz .LBB127_483
; %bb.484:
	s_or_b32 exec_lo, exec_lo, s1
.LBB127_485:
	s_delay_alu instid0(SALU_CYCLE_1)
	s_or_b32 exec_lo, exec_lo, s21
	v_mov_b32_e32 v133, 0
	ds_load_b32 v133, v133 offset:56
	s_wait_dscnt 0x0
	v_mul_f32_e32 v132, v132, v133
	scratch_store_b32 off, v132, off offset:56
.LBB127_486:
	;; [unrolled: 57-line block ×15, first 2 shown]
	s_wait_xcnt 0x0
	s_or_b32 exec_lo, exec_lo, s1
	scratch_load_b32 v132, off, off
	s_mov_b32 s2, 0
	s_mov_b32 s1, exec_lo
	s_wait_loadcnt 0x0
	ds_store_b32 v1, v132
	s_wait_storecnt_dscnt 0x0
	s_barrier_signal -1
	s_barrier_wait -1
	s_wait_xcnt 0x0
	v_cmpx_ne_u32_e32 0, v0
	s_cbranch_execz .LBB127_626
; %bb.617:
	s_and_not1_b32 vcc_lo, exec_lo, s3
	s_cbranch_vccnz .LBB127_619
; %bb.618:
	scratch_load_b32 v132, v7, off
	ds_load_b32 v133, v1
	s_wait_loadcnt_dscnt 0x0
	v_mul_f32_e32 v132, v132, v133
	s_cbranch_execz .LBB127_620
	s_branch .LBB127_621
.LBB127_619:
                                        ; implicit-def: $vgpr132
.LBB127_620:
	ds_load_b32 v132, v1
.LBB127_621:
	s_and_saveexec_b32 s5, s0
	s_cbranch_execz .LBB127_625
; %bb.622:
	v_add_nc_u32_e32 v133, -1, v0
	s_movk_i32 s8, 0x104
	s_mov_b32 s0, 0
.LBB127_623:                            ; =>This Inner Loop Header: Depth=1
	scratch_load_b32 v134, off, s4
	v_dual_mov_b32 v135, s8 :: v_dual_add_nc_u32 v133, -1, v133
	s_add_co_i32 s8, s8, 4
	s_wait_xcnt 0x0
	s_add_co_i32 s4, s4, 4
	ds_load_b32 v135, v135
	v_cmp_eq_u32_e32 vcc_lo, 0, v133
	s_or_b32 s0, vcc_lo, s0
	s_wait_loadcnt_dscnt 0x0
	v_fmac_f32_e32 v132, v134, v135
	s_and_not1_b32 exec_lo, exec_lo, s0
	s_cbranch_execnz .LBB127_623
; %bb.624:
	s_or_b32 exec_lo, exec_lo, s0
.LBB127_625:
	s_delay_alu instid0(SALU_CYCLE_1)
	s_or_b32 exec_lo, exec_lo, s5
	v_mov_b32_e32 v133, 0
	ds_load_b32 v133, v133
	s_wait_dscnt 0x0
	v_mul_f32_e32 v132, v132, v133
	scratch_store_b32 off, v132, off
.LBB127_626:
	s_wait_xcnt 0x0
	s_or_b32 exec_lo, exec_lo, s1
.LBB127_627:
	v_lshl_add_u64 v[192:193], v[8:9], 2, s[6:7]
	v_lshl_add_u64 v[190:191], v[10:11], 2, s[6:7]
	;; [unrolled: 1-line block ×62, first 2 shown]
	s_and_b32 vcc_lo, exec_lo, s2
	s_cbranch_vccz .LBB127_1249
; %bb.628:
	scratch_load_b32 v70, off, off offset:4
	v_cmp_eq_u32_e64 s0, 0, v0
	s_wait_loadcnt 0x0
	ds_store_b32 v1, v70
	s_wait_storecnt_dscnt 0x0
	s_barrier_signal -1
	s_barrier_wait -1
	s_wait_xcnt 0x0
	s_and_saveexec_b32 s1, s0
	s_cbranch_execz .LBB127_634
; %bb.629:
	s_and_b32 vcc_lo, exec_lo, s3
	s_cbranch_vccz .LBB127_631
; %bb.630:
	scratch_load_b32 v70, v7, off
	ds_load_b32 v71, v1
	s_wait_loadcnt_dscnt 0x0
	v_mul_f32_e32 v70, v70, v71
	s_cbranch_execz .LBB127_632
	s_branch .LBB127_633
.LBB127_631:
                                        ; implicit-def: $vgpr70
.LBB127_632:
	ds_load_b32 v70, v1
.LBB127_633:
	v_mov_b32_e32 v71, 0
	ds_load_b32 v71, v71 offset:4
	s_wait_dscnt 0x0
	v_mul_f32_e32 v70, v70, v71
	scratch_store_b32 off, v70, off offset:4
.LBB127_634:
	s_wait_xcnt 0x0
	s_or_b32 exec_lo, exec_lo, s1
	scratch_load_b32 v71, off, off offset:8
	v_cndmask_b32_e64 v70, 0, 1, s3
	s_mov_b32 s1, exec_lo
	s_wait_loadcnt 0x0
	ds_store_b32 v1, v71
	s_wait_storecnt_dscnt 0x0
	s_barrier_signal -1
	s_barrier_wait -1
	s_wait_xcnt 0x0
	v_cmpx_gt_u32_e32 2, v0
	s_cbranch_execz .LBB127_640
; %bb.635:
	s_and_not1_b32 vcc_lo, exec_lo, s3
	s_cbranch_vccnz .LBB127_637
; %bb.636:
	scratch_load_b32 v71, v7, off
	ds_load_b32 v72, v1
	s_wait_loadcnt_dscnt 0x0
	v_mul_f32_e32 v71, v71, v72
	s_cbranch_execz .LBB127_638
	s_branch .LBB127_639
.LBB127_637:
                                        ; implicit-def: $vgpr71
.LBB127_638:
	ds_load_b32 v71, v1
.LBB127_639:
	scratch_load_b32 v74, off, off offset:4
	v_mov_b32_e32 v72, 0
	ds_load_2addr_b32 v[72:73], v72 offset0:2 offset1:65
	s_wait_loadcnt_dscnt 0x0
	v_fma_f32 v73, v74, v73, v71
	s_delay_alu instid0(VALU_DEP_1) | instskip(NEXT) | instid1(VALU_DEP_1)
	v_cndmask_b32_e64 v71, v71, v73, s0
	v_mul_f32_e32 v71, v71, v72
	scratch_store_b32 off, v71, off offset:8
.LBB127_640:
	s_wait_xcnt 0x0
	s_or_b32 exec_lo, exec_lo, s1
	scratch_load_b32 v71, off, off offset:12
	s_mov_b32 s1, exec_lo
	s_wait_loadcnt 0x0
	ds_store_b32 v1, v71
	s_wait_storecnt_dscnt 0x0
	s_barrier_signal -1
	s_barrier_wait -1
	s_wait_xcnt 0x0
	v_cmpx_gt_u32_e32 3, v0
	s_cbranch_execz .LBB127_648
; %bb.641:
	v_cmp_ne_u32_e32 vcc_lo, 1, v70
	s_cbranch_vccnz .LBB127_643
; %bb.642:
	scratch_load_b32 v71, v7, off
	ds_load_b32 v72, v1
	s_wait_loadcnt_dscnt 0x0
	v_mul_f32_e32 v71, v71, v72
	s_cbranch_execz .LBB127_644
	s_branch .LBB127_645
.LBB127_643:
                                        ; implicit-def: $vgpr71
.LBB127_644:
	ds_load_b32 v71, v1
.LBB127_645:
	s_mov_b32 s2, exec_lo
	v_cmpx_ne_u32_e32 2, v0
	s_cbranch_execz .LBB127_647
; %bb.646:
	scratch_load_b32 v72, v7, off offset:4
	scratch_load_b32 v73, off, off offset:8
	ds_load_b32 v74, v1 offset:4
	v_mov_b32_e32 v75, 0
	ds_load_b32 v75, v75 offset:264
	s_wait_loadcnt_dscnt 0x101
	v_fmac_f32_e32 v71, v72, v74
	s_wait_loadcnt_dscnt 0x0
	s_delay_alu instid0(VALU_DEP_1) | instskip(NEXT) | instid1(VALU_DEP_1)
	v_fma_f32 v72, v73, v75, v71
	v_cndmask_b32_e64 v71, v71, v72, s0
.LBB127_647:
	s_or_b32 exec_lo, exec_lo, s2
	v_mov_b32_e32 v72, 0
	ds_load_b32 v72, v72 offset:12
	s_wait_dscnt 0x0
	v_mul_f32_e32 v71, v71, v72
	scratch_store_b32 off, v71, off offset:12
.LBB127_648:
	s_wait_xcnt 0x0
	s_or_b32 exec_lo, exec_lo, s1
	scratch_load_b32 v71, off, off offset:16
	s_mov_b32 s0, exec_lo
	s_wait_loadcnt 0x0
	ds_store_b32 v1, v71
	s_wait_storecnt_dscnt 0x0
	s_barrier_signal -1
	s_barrier_wait -1
	s_wait_xcnt 0x0
	v_cmpx_gt_u32_e32 4, v0
	s_cbranch_execz .LBB127_658
; %bb.649:
	v_cmp_ne_u32_e32 vcc_lo, 1, v70
	s_cbranch_vccnz .LBB127_651
; %bb.650:
	scratch_load_b32 v71, v7, off
	ds_load_b32 v72, v1
	s_wait_loadcnt_dscnt 0x0
	v_mul_f32_e32 v71, v71, v72
	s_cbranch_execz .LBB127_652
	s_branch .LBB127_653
.LBB127_651:
                                        ; implicit-def: $vgpr71
.LBB127_652:
	ds_load_b32 v71, v1
.LBB127_653:
	s_mov_b32 s1, exec_lo
	v_cmpx_ne_u32_e32 3, v0
	s_cbranch_execz .LBB127_657
; %bb.654:
	v_add_nc_u32_e32 v72, 0x104, v6
	v_add3_u32 v73, 0, v6, 4
	v_mov_b32_e32 v74, v0
	s_mov_b32 s2, 0
.LBB127_655:                            ; =>This Inner Loop Header: Depth=1
	scratch_load_b32 v75, v73, off
	ds_load_b32 v76, v72
	v_dual_add_nc_u32 v74, 1, v74 :: v_dual_add_nc_u32 v72, 4, v72
	s_wait_xcnt 0x0
	v_add_nc_u32_e32 v73, 4, v73
	s_delay_alu instid0(VALU_DEP_2)
	v_cmp_lt_u32_e32 vcc_lo, 2, v74
	s_or_b32 s2, vcc_lo, s2
	s_wait_loadcnt_dscnt 0x0
	v_fmac_f32_e32 v71, v75, v76
	s_and_not1_b32 exec_lo, exec_lo, s2
	s_cbranch_execnz .LBB127_655
; %bb.656:
	s_or_b32 exec_lo, exec_lo, s2
.LBB127_657:
	s_delay_alu instid0(SALU_CYCLE_1)
	s_or_b32 exec_lo, exec_lo, s1
	v_mov_b32_e32 v72, 0
	ds_load_b32 v72, v72 offset:16
	s_wait_dscnt 0x0
	v_mul_f32_e32 v71, v71, v72
	scratch_store_b32 off, v71, off offset:16
.LBB127_658:
	s_wait_xcnt 0x0
	s_or_b32 exec_lo, exec_lo, s0
	scratch_load_b32 v71, off, off offset:20
	s_mov_b32 s0, exec_lo
	s_wait_loadcnt 0x0
	ds_store_b32 v1, v71
	s_wait_storecnt_dscnt 0x0
	s_barrier_signal -1
	s_barrier_wait -1
	s_wait_xcnt 0x0
	v_cmpx_gt_u32_e32 5, v0
	s_cbranch_execz .LBB127_668
; %bb.659:
	v_cmp_ne_u32_e32 vcc_lo, 1, v70
	s_cbranch_vccnz .LBB127_661
; %bb.660:
	scratch_load_b32 v71, v7, off
	ds_load_b32 v72, v1
	s_wait_loadcnt_dscnt 0x0
	v_mul_f32_e32 v71, v71, v72
	s_cbranch_execz .LBB127_662
	s_branch .LBB127_663
.LBB127_661:
                                        ; implicit-def: $vgpr71
.LBB127_662:
	ds_load_b32 v71, v1
.LBB127_663:
	s_mov_b32 s1, exec_lo
	v_cmpx_ne_u32_e32 4, v0
	s_cbranch_execz .LBB127_667
; %bb.664:
	v_add_nc_u32_e32 v72, 0x104, v6
	v_add3_u32 v73, 0, v6, 4
	v_mov_b32_e32 v74, v0
	s_mov_b32 s2, 0
.LBB127_665:                            ; =>This Inner Loop Header: Depth=1
	scratch_load_b32 v75, v73, off
	ds_load_b32 v76, v72
	v_dual_add_nc_u32 v74, 1, v74 :: v_dual_add_nc_u32 v72, 4, v72
	s_wait_xcnt 0x0
	v_add_nc_u32_e32 v73, 4, v73
	s_delay_alu instid0(VALU_DEP_2)
	v_cmp_lt_u32_e32 vcc_lo, 3, v74
	s_or_b32 s2, vcc_lo, s2
	s_wait_loadcnt_dscnt 0x0
	v_fmac_f32_e32 v71, v75, v76
	s_and_not1_b32 exec_lo, exec_lo, s2
	s_cbranch_execnz .LBB127_665
; %bb.666:
	s_or_b32 exec_lo, exec_lo, s2
.LBB127_667:
	s_delay_alu instid0(SALU_CYCLE_1)
	s_or_b32 exec_lo, exec_lo, s1
	v_mov_b32_e32 v72, 0
	ds_load_b32 v72, v72 offset:20
	s_wait_dscnt 0x0
	v_mul_f32_e32 v71, v71, v72
	scratch_store_b32 off, v71, off offset:20
.LBB127_668:
	;; [unrolled: 59-line block ×35, first 2 shown]
	s_wait_xcnt 0x0
	s_or_b32 exec_lo, exec_lo, s0
	scratch_load_b32 v71, off, off offset:156
	s_mov_b32 s0, exec_lo
	s_wait_loadcnt 0x0
	ds_store_b32 v1, v71
	s_wait_storecnt_dscnt 0x0
	s_barrier_signal -1
	s_barrier_wait -1
	s_wait_xcnt 0x0
	v_cmpx_gt_u32_e32 39, v0
	s_cbranch_execz .LBB127_1008
; %bb.999:
	v_cmp_ne_u32_e32 vcc_lo, 1, v70
	s_cbranch_vccnz .LBB127_1001
; %bb.1000:
	scratch_load_b32 v71, v7, off
	ds_load_b32 v72, v1
	s_wait_loadcnt_dscnt 0x0
	v_mul_f32_e32 v71, v71, v72
	s_cbranch_execz .LBB127_1002
	s_branch .LBB127_1003
.LBB127_1001:
                                        ; implicit-def: $vgpr71
.LBB127_1002:
	ds_load_b32 v71, v1
.LBB127_1003:
	s_mov_b32 s1, exec_lo
	v_cmpx_ne_u32_e32 38, v0
	s_cbranch_execz .LBB127_1007
; %bb.1004:
	v_add_nc_u32_e32 v72, 0x104, v6
	v_add3_u32 v73, 0, v6, 4
	v_mov_b32_e32 v74, v0
	s_mov_b32 s2, 0
.LBB127_1005:                           ; =>This Inner Loop Header: Depth=1
	scratch_load_b32 v75, v73, off
	ds_load_b32 v76, v72
	v_dual_add_nc_u32 v74, 1, v74 :: v_dual_add_nc_u32 v72, 4, v72
	s_wait_xcnt 0x0
	v_add_nc_u32_e32 v73, 4, v73
	s_delay_alu instid0(VALU_DEP_2)
	v_cmp_lt_u32_e32 vcc_lo, 37, v74
	s_or_b32 s2, vcc_lo, s2
	s_wait_loadcnt_dscnt 0x0
	v_fmac_f32_e32 v71, v75, v76
	s_and_not1_b32 exec_lo, exec_lo, s2
	s_cbranch_execnz .LBB127_1005
; %bb.1006:
	s_or_b32 exec_lo, exec_lo, s2
.LBB127_1007:
	s_delay_alu instid0(SALU_CYCLE_1)
	s_or_b32 exec_lo, exec_lo, s1
	v_mov_b32_e32 v72, 0
	ds_load_b32 v72, v72 offset:156
	s_wait_dscnt 0x0
	v_mul_f32_e32 v71, v71, v72
	scratch_store_b32 off, v71, off offset:156
.LBB127_1008:
	s_wait_xcnt 0x0
	s_or_b32 exec_lo, exec_lo, s0
	scratch_load_b32 v71, off, off offset:160
	s_mov_b32 s0, exec_lo
	s_wait_loadcnt 0x0
	ds_store_b32 v1, v71
	s_wait_storecnt_dscnt 0x0
	s_barrier_signal -1
	s_barrier_wait -1
	s_wait_xcnt 0x0
	v_cmpx_gt_u32_e32 40, v0
	s_cbranch_execz .LBB127_1018
; %bb.1009:
	v_cmp_ne_u32_e32 vcc_lo, 1, v70
	s_cbranch_vccnz .LBB127_1011
; %bb.1010:
	scratch_load_b32 v71, v7, off
	ds_load_b32 v72, v1
	s_wait_loadcnt_dscnt 0x0
	v_mul_f32_e32 v71, v71, v72
	s_cbranch_execz .LBB127_1012
	s_branch .LBB127_1013
.LBB127_1011:
                                        ; implicit-def: $vgpr71
.LBB127_1012:
	ds_load_b32 v71, v1
.LBB127_1013:
	s_mov_b32 s1, exec_lo
	v_cmpx_ne_u32_e32 39, v0
	s_cbranch_execz .LBB127_1017
; %bb.1014:
	v_add_nc_u32_e32 v72, 0x104, v6
	v_add3_u32 v73, 0, v6, 4
	v_mov_b32_e32 v74, v0
	s_mov_b32 s2, 0
.LBB127_1015:                           ; =>This Inner Loop Header: Depth=1
	scratch_load_b32 v75, v73, off
	ds_load_b32 v76, v72
	v_dual_add_nc_u32 v74, 1, v74 :: v_dual_add_nc_u32 v72, 4, v72
	s_wait_xcnt 0x0
	v_add_nc_u32_e32 v73, 4, v73
	s_delay_alu instid0(VALU_DEP_2)
	v_cmp_lt_u32_e32 vcc_lo, 38, v74
	s_or_b32 s2, vcc_lo, s2
	s_wait_loadcnt_dscnt 0x0
	v_fmac_f32_e32 v71, v75, v76
	s_and_not1_b32 exec_lo, exec_lo, s2
	s_cbranch_execnz .LBB127_1015
; %bb.1016:
	s_or_b32 exec_lo, exec_lo, s2
.LBB127_1017:
	s_delay_alu instid0(SALU_CYCLE_1)
	s_or_b32 exec_lo, exec_lo, s1
	v_mov_b32_e32 v72, 0
	ds_load_b32 v72, v72 offset:160
	s_wait_dscnt 0x0
	v_mul_f32_e32 v71, v71, v72
	scratch_store_b32 off, v71, off offset:160
.LBB127_1018:
	;; [unrolled: 59-line block ×23, first 2 shown]
	s_wait_xcnt 0x0
	s_or_b32 exec_lo, exec_lo, s0
	scratch_load_b32 v71, off, off offset:248
	v_cmp_gt_u32_e64 s0, 62, v0
	s_wait_loadcnt 0x0
	ds_store_b32 v1, v71
	s_wait_storecnt_dscnt 0x0
	s_barrier_signal -1
	s_barrier_wait -1
	s_wait_xcnt 0x0
	s_and_saveexec_b32 s1, s0
	s_cbranch_execz .LBB127_1238
; %bb.1229:
	v_cmp_ne_u32_e32 vcc_lo, 1, v70
	s_cbranch_vccnz .LBB127_1231
; %bb.1230:
	scratch_load_b32 v71, v7, off
	ds_load_b32 v72, v1
	s_wait_loadcnt_dscnt 0x0
	v_mul_f32_e32 v71, v71, v72
	s_cbranch_execz .LBB127_1232
	s_branch .LBB127_1233
.LBB127_1231:
                                        ; implicit-def: $vgpr71
.LBB127_1232:
	ds_load_b32 v71, v1
.LBB127_1233:
	s_mov_b32 s2, exec_lo
	v_cmpx_ne_u32_e32 61, v0
	s_cbranch_execz .LBB127_1237
; %bb.1234:
	v_add_nc_u32_e32 v72, 0x104, v6
	v_add3_u32 v73, 0, v6, 4
	v_mov_b32_e32 v74, v0
	s_mov_b32 s3, 0
.LBB127_1235:                           ; =>This Inner Loop Header: Depth=1
	scratch_load_b32 v75, v73, off
	ds_load_b32 v76, v72
	v_dual_add_nc_u32 v74, 1, v74 :: v_dual_add_nc_u32 v72, 4, v72
	s_wait_xcnt 0x0
	v_add_nc_u32_e32 v73, 4, v73
	s_delay_alu instid0(VALU_DEP_2)
	v_cmp_lt_u32_e32 vcc_lo, 60, v74
	s_or_b32 s3, vcc_lo, s3
	s_wait_loadcnt_dscnt 0x0
	v_fmac_f32_e32 v71, v75, v76
	s_and_not1_b32 exec_lo, exec_lo, s3
	s_cbranch_execnz .LBB127_1235
; %bb.1236:
	s_or_b32 exec_lo, exec_lo, s3
.LBB127_1237:
	s_delay_alu instid0(SALU_CYCLE_1)
	s_or_b32 exec_lo, exec_lo, s2
	v_mov_b32_e32 v72, 0
	ds_load_b32 v72, v72 offset:248
	s_wait_dscnt 0x0
	v_mul_f32_e32 v71, v71, v72
	scratch_store_b32 off, v71, off offset:248
.LBB127_1238:
	s_wait_xcnt 0x0
	s_or_b32 exec_lo, exec_lo, s1
	scratch_load_b32 v71, off, off offset:252
	s_mov_b32 s1, exec_lo
	s_wait_loadcnt 0x0
	ds_store_b32 v1, v71
	s_wait_storecnt_dscnt 0x0
	s_barrier_signal -1
	s_barrier_wait -1
	s_wait_xcnt 0x0
	v_cmpx_ne_u32_e32 63, v0
	s_cbranch_execz .LBB127_1248
; %bb.1239:
	v_cmp_ne_u32_e32 vcc_lo, 1, v70
	s_cbranch_vccnz .LBB127_1241
; %bb.1240:
	scratch_load_b32 v7, v7, off
	ds_load_b32 v70, v1
	s_wait_loadcnt_dscnt 0x0
	v_mul_f32_e32 v7, v7, v70
	s_cbranch_execz .LBB127_1242
	s_branch .LBB127_1243
.LBB127_1241:
                                        ; implicit-def: $vgpr7
.LBB127_1242:
	ds_load_b32 v7, v1
.LBB127_1243:
	s_and_saveexec_b32 s2, s0
	s_cbranch_execz .LBB127_1247
; %bb.1244:
	v_add_nc_u32_e32 v1, 0x104, v6
	v_add3_u32 v6, 0, v6, 4
	s_mov_b32 s0, 0
.LBB127_1245:                           ; =>This Inner Loop Header: Depth=1
	scratch_load_b32 v70, v6, off
	ds_load_b32 v71, v1
	v_dual_add_nc_u32 v0, 1, v0 :: v_dual_add_nc_u32 v1, 4, v1
	s_wait_xcnt 0x0
	v_add_nc_u32_e32 v6, 4, v6
	s_delay_alu instid0(VALU_DEP_2)
	v_cmp_lt_u32_e32 vcc_lo, 61, v0
	s_or_b32 s0, vcc_lo, s0
	s_wait_loadcnt_dscnt 0x0
	v_fmac_f32_e32 v7, v70, v71
	s_and_not1_b32 exec_lo, exec_lo, s0
	s_cbranch_execnz .LBB127_1245
; %bb.1246:
	s_or_b32 exec_lo, exec_lo, s0
.LBB127_1247:
	s_delay_alu instid0(SALU_CYCLE_1)
	s_or_b32 exec_lo, exec_lo, s2
	v_mov_b32_e32 v0, 0
	ds_load_b32 v0, v0 offset:252
	s_wait_dscnt 0x0
	v_mul_f32_e32 v0, v7, v0
	scratch_store_b32 off, v0, off offset:252
.LBB127_1248:
	s_wait_xcnt 0x0
	s_or_b32 exec_lo, exec_lo, s1
.LBB127_1249:
	scratch_load_b32 v0, off, off
	s_wait_loadcnt 0x0
	flat_store_b32 v[2:3], v0
	scratch_load_b32 v0, off, off offset:4
	s_wait_loadcnt 0x0
	flat_store_b32 v[4:5], v0
	scratch_load_b32 v0, off, off offset:8
	;; [unrolled: 3-line block ×63, first 2 shown]
	s_wait_loadcnt 0x0
	flat_store_b32 v[8:9], v0
.LBB127_1250:
	s_sendmsg sendmsg(MSG_DEALLOC_VGPRS)
	s_endpgm
	.section	.rodata,"a",@progbits
	.p2align	6, 0x0
	.amdhsa_kernel _ZN9rocsolver6v33100L18trti2_kernel_smallILi64EfPKPfEEv13rocblas_fill_17rocblas_diagonal_T1_iil
		.amdhsa_group_segment_fixed_size 512
		.amdhsa_private_segment_fixed_size 272
		.amdhsa_kernarg_size 32
		.amdhsa_user_sgpr_count 2
		.amdhsa_user_sgpr_dispatch_ptr 0
		.amdhsa_user_sgpr_queue_ptr 0
		.amdhsa_user_sgpr_kernarg_segment_ptr 1
		.amdhsa_user_sgpr_dispatch_id 0
		.amdhsa_user_sgpr_kernarg_preload_length 0
		.amdhsa_user_sgpr_kernarg_preload_offset 0
		.amdhsa_user_sgpr_private_segment_size 0
		.amdhsa_wavefront_size32 1
		.amdhsa_uses_dynamic_stack 0
		.amdhsa_enable_private_segment 1
		.amdhsa_system_sgpr_workgroup_id_x 1
		.amdhsa_system_sgpr_workgroup_id_y 0
		.amdhsa_system_sgpr_workgroup_id_z 0
		.amdhsa_system_sgpr_workgroup_info 0
		.amdhsa_system_vgpr_workitem_id 0
		.amdhsa_next_free_vgpr 194
		.amdhsa_next_free_sgpr 70
		.amdhsa_named_barrier_count 0
		.amdhsa_reserve_vcc 1
		.amdhsa_float_round_mode_32 0
		.amdhsa_float_round_mode_16_64 0
		.amdhsa_float_denorm_mode_32 3
		.amdhsa_float_denorm_mode_16_64 3
		.amdhsa_fp16_overflow 0
		.amdhsa_memory_ordered 1
		.amdhsa_forward_progress 1
		.amdhsa_inst_pref_size 255
		.amdhsa_round_robin_scheduling 0
		.amdhsa_exception_fp_ieee_invalid_op 0
		.amdhsa_exception_fp_denorm_src 0
		.amdhsa_exception_fp_ieee_div_zero 0
		.amdhsa_exception_fp_ieee_overflow 0
		.amdhsa_exception_fp_ieee_underflow 0
		.amdhsa_exception_fp_ieee_inexact 0
		.amdhsa_exception_int_div_zero 0
	.end_amdhsa_kernel
	.section	.text._ZN9rocsolver6v33100L18trti2_kernel_smallILi64EfPKPfEEv13rocblas_fill_17rocblas_diagonal_T1_iil,"axG",@progbits,_ZN9rocsolver6v33100L18trti2_kernel_smallILi64EfPKPfEEv13rocblas_fill_17rocblas_diagonal_T1_iil,comdat
.Lfunc_end127:
	.size	_ZN9rocsolver6v33100L18trti2_kernel_smallILi64EfPKPfEEv13rocblas_fill_17rocblas_diagonal_T1_iil, .Lfunc_end127-_ZN9rocsolver6v33100L18trti2_kernel_smallILi64EfPKPfEEv13rocblas_fill_17rocblas_diagonal_T1_iil
                                        ; -- End function
	.set _ZN9rocsolver6v33100L18trti2_kernel_smallILi64EfPKPfEEv13rocblas_fill_17rocblas_diagonal_T1_iil.num_vgpr, 194
	.set _ZN9rocsolver6v33100L18trti2_kernel_smallILi64EfPKPfEEv13rocblas_fill_17rocblas_diagonal_T1_iil.num_agpr, 0
	.set _ZN9rocsolver6v33100L18trti2_kernel_smallILi64EfPKPfEEv13rocblas_fill_17rocblas_diagonal_T1_iil.numbered_sgpr, 70
	.set _ZN9rocsolver6v33100L18trti2_kernel_smallILi64EfPKPfEEv13rocblas_fill_17rocblas_diagonal_T1_iil.num_named_barrier, 0
	.set _ZN9rocsolver6v33100L18trti2_kernel_smallILi64EfPKPfEEv13rocblas_fill_17rocblas_diagonal_T1_iil.private_seg_size, 272
	.set _ZN9rocsolver6v33100L18trti2_kernel_smallILi64EfPKPfEEv13rocblas_fill_17rocblas_diagonal_T1_iil.uses_vcc, 1
	.set _ZN9rocsolver6v33100L18trti2_kernel_smallILi64EfPKPfEEv13rocblas_fill_17rocblas_diagonal_T1_iil.uses_flat_scratch, 0
	.set _ZN9rocsolver6v33100L18trti2_kernel_smallILi64EfPKPfEEv13rocblas_fill_17rocblas_diagonal_T1_iil.has_dyn_sized_stack, 0
	.set _ZN9rocsolver6v33100L18trti2_kernel_smallILi64EfPKPfEEv13rocblas_fill_17rocblas_diagonal_T1_iil.has_recursion, 0
	.set _ZN9rocsolver6v33100L18trti2_kernel_smallILi64EfPKPfEEv13rocblas_fill_17rocblas_diagonal_T1_iil.has_indirect_call, 0
	.section	.AMDGPU.csdata,"",@progbits
; Kernel info:
; codeLenInByte = 37116
; TotalNumSgprs: 72
; NumVgprs: 194
; ScratchSize: 272
; MemoryBound: 0
; FloatMode: 240
; IeeeMode: 1
; LDSByteSize: 512 bytes/workgroup (compile time only)
; SGPRBlocks: 0
; VGPRBlocks: 12
; NumSGPRsForWavesPerEU: 72
; NumVGPRsForWavesPerEU: 194
; NamedBarCnt: 0
; Occupancy: 4
; WaveLimiterHint : 1
; COMPUTE_PGM_RSRC2:SCRATCH_EN: 1
; COMPUTE_PGM_RSRC2:USER_SGPR: 2
; COMPUTE_PGM_RSRC2:TRAP_HANDLER: 0
; COMPUTE_PGM_RSRC2:TGID_X_EN: 1
; COMPUTE_PGM_RSRC2:TGID_Y_EN: 0
; COMPUTE_PGM_RSRC2:TGID_Z_EN: 0
; COMPUTE_PGM_RSRC2:TIDIG_COMP_CNT: 0
	.section	.AMDGPU.gpr_maximums,"",@progbits
	.set amdgpu.max_num_vgpr, 0
	.set amdgpu.max_num_agpr, 0
	.set amdgpu.max_num_sgpr, 0
	.section	.AMDGPU.csdata,"",@progbits
	.type	__hip_cuid_c590f75c24adbd76,@object ; @__hip_cuid_c590f75c24adbd76
	.section	.bss,"aw",@nobits
	.globl	__hip_cuid_c590f75c24adbd76
__hip_cuid_c590f75c24adbd76:
	.byte	0                               ; 0x0
	.size	__hip_cuid_c590f75c24adbd76, 1

	.ident	"AMD clang version 22.0.0git (https://github.com/RadeonOpenCompute/llvm-project roc-7.2.4 26084 f58b06dce1f9c15707c5f808fd002e18c2accf7e)"
	.section	".note.GNU-stack","",@progbits
	.addrsig
	.addrsig_sym __hip_cuid_c590f75c24adbd76
	.amdgpu_metadata
---
amdhsa.kernels:
  - .args:
      - .offset:         0
        .size:           4
        .value_kind:     by_value
      - .offset:         4
        .size:           4
        .value_kind:     by_value
      - .address_space:  global
        .offset:         8
        .size:           8
        .value_kind:     global_buffer
      - .offset:         16
        .size:           4
        .value_kind:     by_value
      - .offset:         20
        .size:           4
        .value_kind:     by_value
      - .offset:         24
        .size:           8
        .value_kind:     by_value
    .group_segment_fixed_size: 0
    .kernarg_segment_align: 8
    .kernarg_segment_size: 32
    .language:       OpenCL C
    .language_version:
      - 2
      - 0
    .max_flat_workgroup_size: 64
    .name:           _ZN9rocsolver6v33100L18trti2_kernel_smallILi1EfPfEEv13rocblas_fill_17rocblas_diagonal_T1_iil
    .private_segment_fixed_size: 0
    .sgpr_count:     14
    .sgpr_spill_count: 0
    .symbol:         _ZN9rocsolver6v33100L18trti2_kernel_smallILi1EfPfEEv13rocblas_fill_17rocblas_diagonal_T1_iil.kd
    .uniform_work_group_size: 1
    .uses_dynamic_stack: false
    .vgpr_count:     5
    .vgpr_spill_count: 0
    .wavefront_size: 32
  - .args:
      - .offset:         0
        .size:           4
        .value_kind:     by_value
      - .offset:         4
        .size:           4
        .value_kind:     by_value
      - .address_space:  global
        .offset:         8
        .size:           8
        .value_kind:     global_buffer
      - .offset:         16
        .size:           4
        .value_kind:     by_value
      - .offset:         20
        .size:           4
        .value_kind:     by_value
      - .offset:         24
        .size:           8
        .value_kind:     by_value
    .group_segment_fixed_size: 16
    .kernarg_segment_align: 8
    .kernarg_segment_size: 32
    .language:       OpenCL C
    .language_version:
      - 2
      - 0
    .max_flat_workgroup_size: 64
    .name:           _ZN9rocsolver6v33100L18trti2_kernel_smallILi2EfPfEEv13rocblas_fill_17rocblas_diagonal_T1_iil
    .private_segment_fixed_size: 0
    .sgpr_count:     14
    .sgpr_spill_count: 0
    .symbol:         _ZN9rocsolver6v33100L18trti2_kernel_smallILi2EfPfEEv13rocblas_fill_17rocblas_diagonal_T1_iil.kd
    .uniform_work_group_size: 1
    .uses_dynamic_stack: false
    .vgpr_count:     14
    .vgpr_spill_count: 0
    .wavefront_size: 32
  - .args:
      - .offset:         0
        .size:           4
        .value_kind:     by_value
      - .offset:         4
        .size:           4
        .value_kind:     by_value
      - .address_space:  global
        .offset:         8
        .size:           8
        .value_kind:     global_buffer
      - .offset:         16
        .size:           4
        .value_kind:     by_value
      - .offset:         20
        .size:           4
        .value_kind:     by_value
      - .offset:         24
        .size:           8
        .value_kind:     by_value
    .group_segment_fixed_size: 28
    .kernarg_segment_align: 8
    .kernarg_segment_size: 32
    .language:       OpenCL C
    .language_version:
      - 2
      - 0
    .max_flat_workgroup_size: 64
    .name:           _ZN9rocsolver6v33100L18trti2_kernel_smallILi3EfPfEEv13rocblas_fill_17rocblas_diagonal_T1_iil
    .private_segment_fixed_size: 0
    .sgpr_count:     14
    .sgpr_spill_count: 0
    .symbol:         _ZN9rocsolver6v33100L18trti2_kernel_smallILi3EfPfEEv13rocblas_fill_17rocblas_diagonal_T1_iil.kd
    .uniform_work_group_size: 1
    .uses_dynamic_stack: false
    .vgpr_count:     18
    .vgpr_spill_count: 0
    .wavefront_size: 32
  - .args:
      - .offset:         0
        .size:           4
        .value_kind:     by_value
      - .offset:         4
        .size:           4
        .value_kind:     by_value
      - .address_space:  global
        .offset:         8
        .size:           8
        .value_kind:     global_buffer
      - .offset:         16
        .size:           4
        .value_kind:     by_value
      - .offset:         20
        .size:           4
        .value_kind:     by_value
      - .offset:         24
        .size:           8
        .value_kind:     by_value
    .group_segment_fixed_size: 32
    .kernarg_segment_align: 8
    .kernarg_segment_size: 32
    .language:       OpenCL C
    .language_version:
      - 2
      - 0
    .max_flat_workgroup_size: 64
    .name:           _ZN9rocsolver6v33100L18trti2_kernel_smallILi4EfPfEEv13rocblas_fill_17rocblas_diagonal_T1_iil
    .private_segment_fixed_size: 0
    .sgpr_count:     15
    .sgpr_spill_count: 0
    .symbol:         _ZN9rocsolver6v33100L18trti2_kernel_smallILi4EfPfEEv13rocblas_fill_17rocblas_diagonal_T1_iil.kd
    .uniform_work_group_size: 1
    .uses_dynamic_stack: false
    .vgpr_count:     32
    .vgpr_spill_count: 0
    .wavefront_size: 32
  - .args:
      - .offset:         0
        .size:           4
        .value_kind:     by_value
      - .offset:         4
        .size:           4
        .value_kind:     by_value
      - .address_space:  global
        .offset:         8
        .size:           8
        .value_kind:     global_buffer
      - .offset:         16
        .size:           4
        .value_kind:     by_value
      - .offset:         20
        .size:           4
        .value_kind:     by_value
      - .offset:         24
        .size:           8
        .value_kind:     by_value
    .group_segment_fixed_size: 52
    .kernarg_segment_align: 8
    .kernarg_segment_size: 32
    .language:       OpenCL C
    .language_version:
      - 2
      - 0
    .max_flat_workgroup_size: 64
    .name:           _ZN9rocsolver6v33100L18trti2_kernel_smallILi5EfPfEEv13rocblas_fill_17rocblas_diagonal_T1_iil
    .private_segment_fixed_size: 0
    .sgpr_count:     18
    .sgpr_spill_count: 0
    .symbol:         _ZN9rocsolver6v33100L18trti2_kernel_smallILi5EfPfEEv13rocblas_fill_17rocblas_diagonal_T1_iil.kd
    .uniform_work_group_size: 1
    .uses_dynamic_stack: false
    .vgpr_count:     36
    .vgpr_spill_count: 0
    .wavefront_size: 32
  - .args:
      - .offset:         0
        .size:           4
        .value_kind:     by_value
      - .offset:         4
        .size:           4
        .value_kind:     by_value
      - .address_space:  global
        .offset:         8
        .size:           8
        .value_kind:     global_buffer
      - .offset:         16
        .size:           4
        .value_kind:     by_value
      - .offset:         20
        .size:           4
        .value_kind:     by_value
      - .offset:         24
        .size:           8
        .value_kind:     by_value
    .group_segment_fixed_size: 56
    .kernarg_segment_align: 8
    .kernarg_segment_size: 32
    .language:       OpenCL C
    .language_version:
      - 2
      - 0
    .max_flat_workgroup_size: 64
    .name:           _ZN9rocsolver6v33100L18trti2_kernel_smallILi6EfPfEEv13rocblas_fill_17rocblas_diagonal_T1_iil
    .private_segment_fixed_size: 0
    .sgpr_count:     18
    .sgpr_spill_count: 0
    .symbol:         _ZN9rocsolver6v33100L18trti2_kernel_smallILi6EfPfEEv13rocblas_fill_17rocblas_diagonal_T1_iil.kd
    .uniform_work_group_size: 1
    .uses_dynamic_stack: false
    .vgpr_count:     40
    .vgpr_spill_count: 0
    .wavefront_size: 32
  - .args:
      - .offset:         0
        .size:           4
        .value_kind:     by_value
      - .offset:         4
        .size:           4
        .value_kind:     by_value
      - .address_space:  global
        .offset:         8
        .size:           8
        .value_kind:     global_buffer
      - .offset:         16
        .size:           4
        .value_kind:     by_value
      - .offset:         20
        .size:           4
        .value_kind:     by_value
      - .offset:         24
        .size:           8
        .value_kind:     by_value
    .group_segment_fixed_size: 60
    .kernarg_segment_align: 8
    .kernarg_segment_size: 32
    .language:       OpenCL C
    .language_version:
      - 2
      - 0
    .max_flat_workgroup_size: 64
    .name:           _ZN9rocsolver6v33100L18trti2_kernel_smallILi7EfPfEEv13rocblas_fill_17rocblas_diagonal_T1_iil
    .private_segment_fixed_size: 0
    .sgpr_count:     18
    .sgpr_spill_count: 0
    .symbol:         _ZN9rocsolver6v33100L18trti2_kernel_smallILi7EfPfEEv13rocblas_fill_17rocblas_diagonal_T1_iil.kd
    .uniform_work_group_size: 1
    .uses_dynamic_stack: false
    .vgpr_count:     44
    .vgpr_spill_count: 0
    .wavefront_size: 32
  - .args:
      - .offset:         0
        .size:           4
        .value_kind:     by_value
      - .offset:         4
        .size:           4
        .value_kind:     by_value
      - .address_space:  global
        .offset:         8
        .size:           8
        .value_kind:     global_buffer
      - .offset:         16
        .size:           4
        .value_kind:     by_value
      - .offset:         20
        .size:           4
        .value_kind:     by_value
      - .offset:         24
        .size:           8
        .value_kind:     by_value
    .group_segment_fixed_size: 64
    .kernarg_segment_align: 8
    .kernarg_segment_size: 32
    .language:       OpenCL C
    .language_version:
      - 2
      - 0
    .max_flat_workgroup_size: 64
    .name:           _ZN9rocsolver6v33100L18trti2_kernel_smallILi8EfPfEEv13rocblas_fill_17rocblas_diagonal_T1_iil
    .private_segment_fixed_size: 0
    .sgpr_count:     18
    .sgpr_spill_count: 0
    .symbol:         _ZN9rocsolver6v33100L18trti2_kernel_smallILi8EfPfEEv13rocblas_fill_17rocblas_diagonal_T1_iil.kd
    .uniform_work_group_size: 1
    .uses_dynamic_stack: false
    .vgpr_count:     49
    .vgpr_spill_count: 0
    .wavefront_size: 32
  - .args:
      - .offset:         0
        .size:           4
        .value_kind:     by_value
      - .offset:         4
        .size:           4
        .value_kind:     by_value
      - .address_space:  global
        .offset:         8
        .size:           8
        .value_kind:     global_buffer
      - .offset:         16
        .size:           4
        .value_kind:     by_value
      - .offset:         20
        .size:           4
        .value_kind:     by_value
      - .offset:         24
        .size:           8
        .value_kind:     by_value
    .group_segment_fixed_size: 84
    .kernarg_segment_align: 8
    .kernarg_segment_size: 32
    .language:       OpenCL C
    .language_version:
      - 2
      - 0
    .max_flat_workgroup_size: 64
    .name:           _ZN9rocsolver6v33100L18trti2_kernel_smallILi9EfPfEEv13rocblas_fill_17rocblas_diagonal_T1_iil
    .private_segment_fixed_size: 0
    .sgpr_count:     22
    .sgpr_spill_count: 0
    .symbol:         _ZN9rocsolver6v33100L18trti2_kernel_smallILi9EfPfEEv13rocblas_fill_17rocblas_diagonal_T1_iil.kd
    .uniform_work_group_size: 1
    .uses_dynamic_stack: false
    .vgpr_count:     53
    .vgpr_spill_count: 0
    .wavefront_size: 32
  - .args:
      - .offset:         0
        .size:           4
        .value_kind:     by_value
      - .offset:         4
        .size:           4
        .value_kind:     by_value
      - .address_space:  global
        .offset:         8
        .size:           8
        .value_kind:     global_buffer
      - .offset:         16
        .size:           4
        .value_kind:     by_value
      - .offset:         20
        .size:           4
        .value_kind:     by_value
      - .offset:         24
        .size:           8
        .value_kind:     by_value
    .group_segment_fixed_size: 88
    .kernarg_segment_align: 8
    .kernarg_segment_size: 32
    .language:       OpenCL C
    .language_version:
      - 2
      - 0
    .max_flat_workgroup_size: 64
    .name:           _ZN9rocsolver6v33100L18trti2_kernel_smallILi10EfPfEEv13rocblas_fill_17rocblas_diagonal_T1_iil
    .private_segment_fixed_size: 0
    .sgpr_count:     22
    .sgpr_spill_count: 0
    .symbol:         _ZN9rocsolver6v33100L18trti2_kernel_smallILi10EfPfEEv13rocblas_fill_17rocblas_diagonal_T1_iil.kd
    .uniform_work_group_size: 1
    .uses_dynamic_stack: false
    .vgpr_count:     57
    .vgpr_spill_count: 0
    .wavefront_size: 32
  - .args:
      - .offset:         0
        .size:           4
        .value_kind:     by_value
      - .offset:         4
        .size:           4
        .value_kind:     by_value
      - .address_space:  global
        .offset:         8
        .size:           8
        .value_kind:     global_buffer
      - .offset:         16
        .size:           4
        .value_kind:     by_value
      - .offset:         20
        .size:           4
        .value_kind:     by_value
      - .offset:         24
        .size:           8
        .value_kind:     by_value
    .group_segment_fixed_size: 92
    .kernarg_segment_align: 8
    .kernarg_segment_size: 32
    .language:       OpenCL C
    .language_version:
      - 2
      - 0
    .max_flat_workgroup_size: 64
    .name:           _ZN9rocsolver6v33100L18trti2_kernel_smallILi11EfPfEEv13rocblas_fill_17rocblas_diagonal_T1_iil
    .private_segment_fixed_size: 0
    .sgpr_count:     22
    .sgpr_spill_count: 0
    .symbol:         _ZN9rocsolver6v33100L18trti2_kernel_smallILi11EfPfEEv13rocblas_fill_17rocblas_diagonal_T1_iil.kd
    .uniform_work_group_size: 1
    .uses_dynamic_stack: false
    .vgpr_count:     61
    .vgpr_spill_count: 0
    .wavefront_size: 32
  - .args:
      - .offset:         0
        .size:           4
        .value_kind:     by_value
      - .offset:         4
        .size:           4
        .value_kind:     by_value
      - .address_space:  global
        .offset:         8
        .size:           8
        .value_kind:     global_buffer
      - .offset:         16
        .size:           4
        .value_kind:     by_value
      - .offset:         20
        .size:           4
        .value_kind:     by_value
      - .offset:         24
        .size:           8
        .value_kind:     by_value
    .group_segment_fixed_size: 96
    .kernarg_segment_align: 8
    .kernarg_segment_size: 32
    .language:       OpenCL C
    .language_version:
      - 2
      - 0
    .max_flat_workgroup_size: 64
    .name:           _ZN9rocsolver6v33100L18trti2_kernel_smallILi12EfPfEEv13rocblas_fill_17rocblas_diagonal_T1_iil
    .private_segment_fixed_size: 0
    .sgpr_count:     22
    .sgpr_spill_count: 0
    .symbol:         _ZN9rocsolver6v33100L18trti2_kernel_smallILi12EfPfEEv13rocblas_fill_17rocblas_diagonal_T1_iil.kd
    .uniform_work_group_size: 1
    .uses_dynamic_stack: false
    .vgpr_count:     64
    .vgpr_spill_count: 0
    .wavefront_size: 32
  - .args:
      - .offset:         0
        .size:           4
        .value_kind:     by_value
      - .offset:         4
        .size:           4
        .value_kind:     by_value
      - .address_space:  global
        .offset:         8
        .size:           8
        .value_kind:     global_buffer
      - .offset:         16
        .size:           4
        .value_kind:     by_value
      - .offset:         20
        .size:           4
        .value_kind:     by_value
      - .offset:         24
        .size:           8
        .value_kind:     by_value
    .group_segment_fixed_size: 116
    .kernarg_segment_align: 8
    .kernarg_segment_size: 32
    .language:       OpenCL C
    .language_version:
      - 2
      - 0
    .max_flat_workgroup_size: 64
    .name:           _ZN9rocsolver6v33100L18trti2_kernel_smallILi13EfPfEEv13rocblas_fill_17rocblas_diagonal_T1_iil
    .private_segment_fixed_size: 0
    .sgpr_count:     26
    .sgpr_spill_count: 0
    .symbol:         _ZN9rocsolver6v33100L18trti2_kernel_smallILi13EfPfEEv13rocblas_fill_17rocblas_diagonal_T1_iil.kd
    .uniform_work_group_size: 1
    .uses_dynamic_stack: false
    .vgpr_count:     75
    .vgpr_spill_count: 0
    .wavefront_size: 32
  - .args:
      - .offset:         0
        .size:           4
        .value_kind:     by_value
      - .offset:         4
        .size:           4
        .value_kind:     by_value
      - .address_space:  global
        .offset:         8
        .size:           8
        .value_kind:     global_buffer
      - .offset:         16
        .size:           4
        .value_kind:     by_value
      - .offset:         20
        .size:           4
        .value_kind:     by_value
      - .offset:         24
        .size:           8
        .value_kind:     by_value
    .group_segment_fixed_size: 120
    .kernarg_segment_align: 8
    .kernarg_segment_size: 32
    .language:       OpenCL C
    .language_version:
      - 2
      - 0
    .max_flat_workgroup_size: 64
    .name:           _ZN9rocsolver6v33100L18trti2_kernel_smallILi14EfPfEEv13rocblas_fill_17rocblas_diagonal_T1_iil
    .private_segment_fixed_size: 0
    .sgpr_count:     26
    .sgpr_spill_count: 0
    .symbol:         _ZN9rocsolver6v33100L18trti2_kernel_smallILi14EfPfEEv13rocblas_fill_17rocblas_diagonal_T1_iil.kd
    .uniform_work_group_size: 1
    .uses_dynamic_stack: false
    .vgpr_count:     77
    .vgpr_spill_count: 0
    .wavefront_size: 32
  - .args:
      - .offset:         0
        .size:           4
        .value_kind:     by_value
      - .offset:         4
        .size:           4
        .value_kind:     by_value
      - .address_space:  global
        .offset:         8
        .size:           8
        .value_kind:     global_buffer
      - .offset:         16
        .size:           4
        .value_kind:     by_value
      - .offset:         20
        .size:           4
        .value_kind:     by_value
      - .offset:         24
        .size:           8
        .value_kind:     by_value
    .group_segment_fixed_size: 124
    .kernarg_segment_align: 8
    .kernarg_segment_size: 32
    .language:       OpenCL C
    .language_version:
      - 2
      - 0
    .max_flat_workgroup_size: 64
    .name:           _ZN9rocsolver6v33100L18trti2_kernel_smallILi15EfPfEEv13rocblas_fill_17rocblas_diagonal_T1_iil
    .private_segment_fixed_size: 0
    .sgpr_count:     26
    .sgpr_spill_count: 0
    .symbol:         _ZN9rocsolver6v33100L18trti2_kernel_smallILi15EfPfEEv13rocblas_fill_17rocblas_diagonal_T1_iil.kd
    .uniform_work_group_size: 1
    .uses_dynamic_stack: false
    .vgpr_count:     79
    .vgpr_spill_count: 0
    .wavefront_size: 32
  - .args:
      - .offset:         0
        .size:           4
        .value_kind:     by_value
      - .offset:         4
        .size:           4
        .value_kind:     by_value
      - .address_space:  global
        .offset:         8
        .size:           8
        .value_kind:     global_buffer
      - .offset:         16
        .size:           4
        .value_kind:     by_value
      - .offset:         20
        .size:           4
        .value_kind:     by_value
      - .offset:         24
        .size:           8
        .value_kind:     by_value
    .group_segment_fixed_size: 128
    .kernarg_segment_align: 8
    .kernarg_segment_size: 32
    .language:       OpenCL C
    .language_version:
      - 2
      - 0
    .max_flat_workgroup_size: 64
    .name:           _ZN9rocsolver6v33100L18trti2_kernel_smallILi16EfPfEEv13rocblas_fill_17rocblas_diagonal_T1_iil
    .private_segment_fixed_size: 0
    .sgpr_count:     26
    .sgpr_spill_count: 0
    .symbol:         _ZN9rocsolver6v33100L18trti2_kernel_smallILi16EfPfEEv13rocblas_fill_17rocblas_diagonal_T1_iil.kd
    .uniform_work_group_size: 1
    .uses_dynamic_stack: false
    .vgpr_count:     80
    .vgpr_spill_count: 0
    .wavefront_size: 32
  - .args:
      - .offset:         0
        .size:           4
        .value_kind:     by_value
      - .offset:         4
        .size:           4
        .value_kind:     by_value
      - .address_space:  global
        .offset:         8
        .size:           8
        .value_kind:     global_buffer
      - .offset:         16
        .size:           4
        .value_kind:     by_value
      - .offset:         20
        .size:           4
        .value_kind:     by_value
      - .offset:         24
        .size:           8
        .value_kind:     by_value
    .group_segment_fixed_size: 148
    .kernarg_segment_align: 8
    .kernarg_segment_size: 32
    .language:       OpenCL C
    .language_version:
      - 2
      - 0
    .max_flat_workgroup_size: 64
    .name:           _ZN9rocsolver6v33100L18trti2_kernel_smallILi17EfPfEEv13rocblas_fill_17rocblas_diagonal_T1_iil
    .private_segment_fixed_size: 0
    .sgpr_count:     30
    .sgpr_spill_count: 0
    .symbol:         _ZN9rocsolver6v33100L18trti2_kernel_smallILi17EfPfEEv13rocblas_fill_17rocblas_diagonal_T1_iil.kd
    .uniform_work_group_size: 1
    .uses_dynamic_stack: false
    .vgpr_count:     115
    .vgpr_spill_count: 0
    .wavefront_size: 32
  - .args:
      - .offset:         0
        .size:           4
        .value_kind:     by_value
      - .offset:         4
        .size:           4
        .value_kind:     by_value
      - .address_space:  global
        .offset:         8
        .size:           8
        .value_kind:     global_buffer
      - .offset:         16
        .size:           4
        .value_kind:     by_value
      - .offset:         20
        .size:           4
        .value_kind:     by_value
      - .offset:         24
        .size:           8
        .value_kind:     by_value
    .group_segment_fixed_size: 152
    .kernarg_segment_align: 8
    .kernarg_segment_size: 32
    .language:       OpenCL C
    .language_version:
      - 2
      - 0
    .max_flat_workgroup_size: 64
    .name:           _ZN9rocsolver6v33100L18trti2_kernel_smallILi18EfPfEEv13rocblas_fill_17rocblas_diagonal_T1_iil
    .private_segment_fixed_size: 0
    .sgpr_count:     30
    .sgpr_spill_count: 0
    .symbol:         _ZN9rocsolver6v33100L18trti2_kernel_smallILi18EfPfEEv13rocblas_fill_17rocblas_diagonal_T1_iil.kd
    .uniform_work_group_size: 1
    .uses_dynamic_stack: false
    .vgpr_count:     117
    .vgpr_spill_count: 0
    .wavefront_size: 32
  - .args:
      - .offset:         0
        .size:           4
        .value_kind:     by_value
      - .offset:         4
        .size:           4
        .value_kind:     by_value
      - .address_space:  global
        .offset:         8
        .size:           8
        .value_kind:     global_buffer
      - .offset:         16
        .size:           4
        .value_kind:     by_value
      - .offset:         20
        .size:           4
        .value_kind:     by_value
      - .offset:         24
        .size:           8
        .value_kind:     by_value
    .group_segment_fixed_size: 156
    .kernarg_segment_align: 8
    .kernarg_segment_size: 32
    .language:       OpenCL C
    .language_version:
      - 2
      - 0
    .max_flat_workgroup_size: 64
    .name:           _ZN9rocsolver6v33100L18trti2_kernel_smallILi19EfPfEEv13rocblas_fill_17rocblas_diagonal_T1_iil
    .private_segment_fixed_size: 0
    .sgpr_count:     30
    .sgpr_spill_count: 0
    .symbol:         _ZN9rocsolver6v33100L18trti2_kernel_smallILi19EfPfEEv13rocblas_fill_17rocblas_diagonal_T1_iil.kd
    .uniform_work_group_size: 1
    .uses_dynamic_stack: false
    .vgpr_count:     119
    .vgpr_spill_count: 0
    .wavefront_size: 32
  - .args:
      - .offset:         0
        .size:           4
        .value_kind:     by_value
      - .offset:         4
        .size:           4
        .value_kind:     by_value
      - .address_space:  global
        .offset:         8
        .size:           8
        .value_kind:     global_buffer
      - .offset:         16
        .size:           4
        .value_kind:     by_value
      - .offset:         20
        .size:           4
        .value_kind:     by_value
      - .offset:         24
        .size:           8
        .value_kind:     by_value
    .group_segment_fixed_size: 160
    .kernarg_segment_align: 8
    .kernarg_segment_size: 32
    .language:       OpenCL C
    .language_version:
      - 2
      - 0
    .max_flat_workgroup_size: 64
    .name:           _ZN9rocsolver6v33100L18trti2_kernel_smallILi20EfPfEEv13rocblas_fill_17rocblas_diagonal_T1_iil
    .private_segment_fixed_size: 0
    .sgpr_count:     30
    .sgpr_spill_count: 0
    .symbol:         _ZN9rocsolver6v33100L18trti2_kernel_smallILi20EfPfEEv13rocblas_fill_17rocblas_diagonal_T1_iil.kd
    .uniform_work_group_size: 1
    .uses_dynamic_stack: false
    .vgpr_count:     121
    .vgpr_spill_count: 0
    .wavefront_size: 32
  - .args:
      - .offset:         0
        .size:           4
        .value_kind:     by_value
      - .offset:         4
        .size:           4
        .value_kind:     by_value
      - .address_space:  global
        .offset:         8
        .size:           8
        .value_kind:     global_buffer
      - .offset:         16
        .size:           4
        .value_kind:     by_value
      - .offset:         20
        .size:           4
        .value_kind:     by_value
      - .offset:         24
        .size:           8
        .value_kind:     by_value
    .group_segment_fixed_size: 180
    .kernarg_segment_align: 8
    .kernarg_segment_size: 32
    .language:       OpenCL C
    .language_version:
      - 2
      - 0
    .max_flat_workgroup_size: 64
    .name:           _ZN9rocsolver6v33100L18trti2_kernel_smallILi21EfPfEEv13rocblas_fill_17rocblas_diagonal_T1_iil
    .private_segment_fixed_size: 0
    .sgpr_count:     34
    .sgpr_spill_count: 0
    .symbol:         _ZN9rocsolver6v33100L18trti2_kernel_smallILi21EfPfEEv13rocblas_fill_17rocblas_diagonal_T1_iil.kd
    .uniform_work_group_size: 1
    .uses_dynamic_stack: false
    .vgpr_count:     123
    .vgpr_spill_count: 0
    .wavefront_size: 32
  - .args:
      - .offset:         0
        .size:           4
        .value_kind:     by_value
      - .offset:         4
        .size:           4
        .value_kind:     by_value
      - .address_space:  global
        .offset:         8
        .size:           8
        .value_kind:     global_buffer
      - .offset:         16
        .size:           4
        .value_kind:     by_value
      - .offset:         20
        .size:           4
        .value_kind:     by_value
      - .offset:         24
        .size:           8
        .value_kind:     by_value
    .group_segment_fixed_size: 184
    .kernarg_segment_align: 8
    .kernarg_segment_size: 32
    .language:       OpenCL C
    .language_version:
      - 2
      - 0
    .max_flat_workgroup_size: 64
    .name:           _ZN9rocsolver6v33100L18trti2_kernel_smallILi22EfPfEEv13rocblas_fill_17rocblas_diagonal_T1_iil
    .private_segment_fixed_size: 0
    .sgpr_count:     34
    .sgpr_spill_count: 0
    .symbol:         _ZN9rocsolver6v33100L18trti2_kernel_smallILi22EfPfEEv13rocblas_fill_17rocblas_diagonal_T1_iil.kd
    .uniform_work_group_size: 1
    .uses_dynamic_stack: false
    .vgpr_count:     125
    .vgpr_spill_count: 0
    .wavefront_size: 32
  - .args:
      - .offset:         0
        .size:           4
        .value_kind:     by_value
      - .offset:         4
        .size:           4
        .value_kind:     by_value
      - .address_space:  global
        .offset:         8
        .size:           8
        .value_kind:     global_buffer
      - .offset:         16
        .size:           4
        .value_kind:     by_value
      - .offset:         20
        .size:           4
        .value_kind:     by_value
      - .offset:         24
        .size:           8
        .value_kind:     by_value
    .group_segment_fixed_size: 188
    .kernarg_segment_align: 8
    .kernarg_segment_size: 32
    .language:       OpenCL C
    .language_version:
      - 2
      - 0
    .max_flat_workgroup_size: 64
    .name:           _ZN9rocsolver6v33100L18trti2_kernel_smallILi23EfPfEEv13rocblas_fill_17rocblas_diagonal_T1_iil
    .private_segment_fixed_size: 0
    .sgpr_count:     34
    .sgpr_spill_count: 0
    .symbol:         _ZN9rocsolver6v33100L18trti2_kernel_smallILi23EfPfEEv13rocblas_fill_17rocblas_diagonal_T1_iil.kd
    .uniform_work_group_size: 1
    .uses_dynamic_stack: false
    .vgpr_count:     127
    .vgpr_spill_count: 0
    .wavefront_size: 32
  - .args:
      - .offset:         0
        .size:           4
        .value_kind:     by_value
      - .offset:         4
        .size:           4
        .value_kind:     by_value
      - .address_space:  global
        .offset:         8
        .size:           8
        .value_kind:     global_buffer
      - .offset:         16
        .size:           4
        .value_kind:     by_value
      - .offset:         20
        .size:           4
        .value_kind:     by_value
      - .offset:         24
        .size:           8
        .value_kind:     by_value
    .group_segment_fixed_size: 192
    .kernarg_segment_align: 8
    .kernarg_segment_size: 32
    .language:       OpenCL C
    .language_version:
      - 2
      - 0
    .max_flat_workgroup_size: 64
    .name:           _ZN9rocsolver6v33100L18trti2_kernel_smallILi24EfPfEEv13rocblas_fill_17rocblas_diagonal_T1_iil
    .private_segment_fixed_size: 0
    .sgpr_count:     34
    .sgpr_spill_count: 0
    .symbol:         _ZN9rocsolver6v33100L18trti2_kernel_smallILi24EfPfEEv13rocblas_fill_17rocblas_diagonal_T1_iil.kd
    .uniform_work_group_size: 1
    .uses_dynamic_stack: false
    .vgpr_count:     128
    .vgpr_spill_count: 0
    .wavefront_size: 32
  - .args:
      - .offset:         0
        .size:           4
        .value_kind:     by_value
      - .offset:         4
        .size:           4
        .value_kind:     by_value
      - .address_space:  global
        .offset:         8
        .size:           8
        .value_kind:     global_buffer
      - .offset:         16
        .size:           4
        .value_kind:     by_value
      - .offset:         20
        .size:           4
        .value_kind:     by_value
      - .offset:         24
        .size:           8
        .value_kind:     by_value
    .group_segment_fixed_size: 212
    .kernarg_segment_align: 8
    .kernarg_segment_size: 32
    .language:       OpenCL C
    .language_version:
      - 2
      - 0
    .max_flat_workgroup_size: 64
    .name:           _ZN9rocsolver6v33100L18trti2_kernel_smallILi25EfPfEEv13rocblas_fill_17rocblas_diagonal_T1_iil
    .private_segment_fixed_size: 0
    .sgpr_count:     46
    .sgpr_spill_count: 0
    .symbol:         _ZN9rocsolver6v33100L18trti2_kernel_smallILi25EfPfEEv13rocblas_fill_17rocblas_diagonal_T1_iil.kd
    .uniform_work_group_size: 1
    .uses_dynamic_stack: false
    .vgpr_count:     131
    .vgpr_spill_count: 0
    .wavefront_size: 32
  - .args:
      - .offset:         0
        .size:           4
        .value_kind:     by_value
      - .offset:         4
        .size:           4
        .value_kind:     by_value
      - .address_space:  global
        .offset:         8
        .size:           8
        .value_kind:     global_buffer
      - .offset:         16
        .size:           4
        .value_kind:     by_value
      - .offset:         20
        .size:           4
        .value_kind:     by_value
      - .offset:         24
        .size:           8
        .value_kind:     by_value
    .group_segment_fixed_size: 216
    .kernarg_segment_align: 8
    .kernarg_segment_size: 32
    .language:       OpenCL C
    .language_version:
      - 2
      - 0
    .max_flat_workgroup_size: 64
    .name:           _ZN9rocsolver6v33100L18trti2_kernel_smallILi26EfPfEEv13rocblas_fill_17rocblas_diagonal_T1_iil
    .private_segment_fixed_size: 0
    .sgpr_count:     46
    .sgpr_spill_count: 0
    .symbol:         _ZN9rocsolver6v33100L18trti2_kernel_smallILi26EfPfEEv13rocblas_fill_17rocblas_diagonal_T1_iil.kd
    .uniform_work_group_size: 1
    .uses_dynamic_stack: false
    .vgpr_count:     133
    .vgpr_spill_count: 0
    .wavefront_size: 32
  - .args:
      - .offset:         0
        .size:           4
        .value_kind:     by_value
      - .offset:         4
        .size:           4
        .value_kind:     by_value
      - .address_space:  global
        .offset:         8
        .size:           8
        .value_kind:     global_buffer
      - .offset:         16
        .size:           4
        .value_kind:     by_value
      - .offset:         20
        .size:           4
        .value_kind:     by_value
      - .offset:         24
        .size:           8
        .value_kind:     by_value
    .group_segment_fixed_size: 220
    .kernarg_segment_align: 8
    .kernarg_segment_size: 32
    .language:       OpenCL C
    .language_version:
      - 2
      - 0
    .max_flat_workgroup_size: 64
    .name:           _ZN9rocsolver6v33100L18trti2_kernel_smallILi27EfPfEEv13rocblas_fill_17rocblas_diagonal_T1_iil
    .private_segment_fixed_size: 0
    .sgpr_count:     46
    .sgpr_spill_count: 0
    .symbol:         _ZN9rocsolver6v33100L18trti2_kernel_smallILi27EfPfEEv13rocblas_fill_17rocblas_diagonal_T1_iil.kd
    .uniform_work_group_size: 1
    .uses_dynamic_stack: false
    .vgpr_count:     135
    .vgpr_spill_count: 0
    .wavefront_size: 32
  - .args:
      - .offset:         0
        .size:           4
        .value_kind:     by_value
      - .offset:         4
        .size:           4
        .value_kind:     by_value
      - .address_space:  global
        .offset:         8
        .size:           8
        .value_kind:     global_buffer
      - .offset:         16
        .size:           4
        .value_kind:     by_value
      - .offset:         20
        .size:           4
        .value_kind:     by_value
      - .offset:         24
        .size:           8
        .value_kind:     by_value
    .group_segment_fixed_size: 224
    .kernarg_segment_align: 8
    .kernarg_segment_size: 32
    .language:       OpenCL C
    .language_version:
      - 2
      - 0
    .max_flat_workgroup_size: 64
    .name:           _ZN9rocsolver6v33100L18trti2_kernel_smallILi28EfPfEEv13rocblas_fill_17rocblas_diagonal_T1_iil
    .private_segment_fixed_size: 0
    .sgpr_count:     46
    .sgpr_spill_count: 0
    .symbol:         _ZN9rocsolver6v33100L18trti2_kernel_smallILi28EfPfEEv13rocblas_fill_17rocblas_diagonal_T1_iil.kd
    .uniform_work_group_size: 1
    .uses_dynamic_stack: false
    .vgpr_count:     137
    .vgpr_spill_count: 0
    .wavefront_size: 32
  - .args:
      - .offset:         0
        .size:           4
        .value_kind:     by_value
      - .offset:         4
        .size:           4
        .value_kind:     by_value
      - .address_space:  global
        .offset:         8
        .size:           8
        .value_kind:     global_buffer
      - .offset:         16
        .size:           4
        .value_kind:     by_value
      - .offset:         20
        .size:           4
        .value_kind:     by_value
      - .offset:         24
        .size:           8
        .value_kind:     by_value
    .group_segment_fixed_size: 244
    .kernarg_segment_align: 8
    .kernarg_segment_size: 32
    .language:       OpenCL C
    .language_version:
      - 2
      - 0
    .max_flat_workgroup_size: 64
    .name:           _ZN9rocsolver6v33100L18trti2_kernel_smallILi29EfPfEEv13rocblas_fill_17rocblas_diagonal_T1_iil
    .private_segment_fixed_size: 0
    .sgpr_count:     46
    .sgpr_spill_count: 0
    .symbol:         _ZN9rocsolver6v33100L18trti2_kernel_smallILi29EfPfEEv13rocblas_fill_17rocblas_diagonal_T1_iil.kd
    .uniform_work_group_size: 1
    .uses_dynamic_stack: false
    .vgpr_count:     139
    .vgpr_spill_count: 0
    .wavefront_size: 32
  - .args:
      - .offset:         0
        .size:           4
        .value_kind:     by_value
      - .offset:         4
        .size:           4
        .value_kind:     by_value
      - .address_space:  global
        .offset:         8
        .size:           8
        .value_kind:     global_buffer
      - .offset:         16
        .size:           4
        .value_kind:     by_value
      - .offset:         20
        .size:           4
        .value_kind:     by_value
      - .offset:         24
        .size:           8
        .value_kind:     by_value
    .group_segment_fixed_size: 248
    .kernarg_segment_align: 8
    .kernarg_segment_size: 32
    .language:       OpenCL C
    .language_version:
      - 2
      - 0
    .max_flat_workgroup_size: 64
    .name:           _ZN9rocsolver6v33100L18trti2_kernel_smallILi30EfPfEEv13rocblas_fill_17rocblas_diagonal_T1_iil
    .private_segment_fixed_size: 0
    .sgpr_count:     46
    .sgpr_spill_count: 0
    .symbol:         _ZN9rocsolver6v33100L18trti2_kernel_smallILi30EfPfEEv13rocblas_fill_17rocblas_diagonal_T1_iil.kd
    .uniform_work_group_size: 1
    .uses_dynamic_stack: false
    .vgpr_count:     141
    .vgpr_spill_count: 0
    .wavefront_size: 32
  - .args:
      - .offset:         0
        .size:           4
        .value_kind:     by_value
      - .offset:         4
        .size:           4
        .value_kind:     by_value
      - .address_space:  global
        .offset:         8
        .size:           8
        .value_kind:     global_buffer
      - .offset:         16
        .size:           4
        .value_kind:     by_value
      - .offset:         20
        .size:           4
        .value_kind:     by_value
      - .offset:         24
        .size:           8
        .value_kind:     by_value
    .group_segment_fixed_size: 252
    .kernarg_segment_align: 8
    .kernarg_segment_size: 32
    .language:       OpenCL C
    .language_version:
      - 2
      - 0
    .max_flat_workgroup_size: 64
    .name:           _ZN9rocsolver6v33100L18trti2_kernel_smallILi31EfPfEEv13rocblas_fill_17rocblas_diagonal_T1_iil
    .private_segment_fixed_size: 0
    .sgpr_count:     46
    .sgpr_spill_count: 0
    .symbol:         _ZN9rocsolver6v33100L18trti2_kernel_smallILi31EfPfEEv13rocblas_fill_17rocblas_diagonal_T1_iil.kd
    .uniform_work_group_size: 1
    .uses_dynamic_stack: false
    .vgpr_count:     143
    .vgpr_spill_count: 0
    .wavefront_size: 32
  - .args:
      - .offset:         0
        .size:           4
        .value_kind:     by_value
      - .offset:         4
        .size:           4
        .value_kind:     by_value
      - .address_space:  global
        .offset:         8
        .size:           8
        .value_kind:     global_buffer
      - .offset:         16
        .size:           4
        .value_kind:     by_value
      - .offset:         20
        .size:           4
        .value_kind:     by_value
      - .offset:         24
        .size:           8
        .value_kind:     by_value
    .group_segment_fixed_size: 256
    .kernarg_segment_align: 8
    .kernarg_segment_size: 32
    .language:       OpenCL C
    .language_version:
      - 2
      - 0
    .max_flat_workgroup_size: 64
    .name:           _ZN9rocsolver6v33100L18trti2_kernel_smallILi32EfPfEEv13rocblas_fill_17rocblas_diagonal_T1_iil
    .private_segment_fixed_size: 0
    .sgpr_count:     46
    .sgpr_spill_count: 0
    .symbol:         _ZN9rocsolver6v33100L18trti2_kernel_smallILi32EfPfEEv13rocblas_fill_17rocblas_diagonal_T1_iil.kd
    .uniform_work_group_size: 1
    .uses_dynamic_stack: false
    .vgpr_count:     144
    .vgpr_spill_count: 0
    .wavefront_size: 32
  - .args:
      - .offset:         0
        .size:           4
        .value_kind:     by_value
      - .offset:         4
        .size:           4
        .value_kind:     by_value
      - .address_space:  global
        .offset:         8
        .size:           8
        .value_kind:     global_buffer
      - .offset:         16
        .size:           4
        .value_kind:     by_value
      - .offset:         20
        .size:           4
        .value_kind:     by_value
      - .offset:         24
        .size:           8
        .value_kind:     by_value
    .group_segment_fixed_size: 8736
    .kernarg_segment_align: 8
    .kernarg_segment_size: 32
    .language:       OpenCL C
    .language_version:
      - 2
      - 0
    .max_flat_workgroup_size: 64
    .name:           _ZN9rocsolver6v33100L18trti2_kernel_smallILi33EfPfEEv13rocblas_fill_17rocblas_diagonal_T1_iil
    .private_segment_fixed_size: 0
    .sgpr_count:     16
    .sgpr_spill_count: 0
    .symbol:         _ZN9rocsolver6v33100L18trti2_kernel_smallILi33EfPfEEv13rocblas_fill_17rocblas_diagonal_T1_iil.kd
    .uniform_work_group_size: 1
    .uses_dynamic_stack: false
    .vgpr_count:     94
    .vgpr_spill_count: 0
    .wavefront_size: 32
  - .args:
      - .offset:         0
        .size:           4
        .value_kind:     by_value
      - .offset:         4
        .size:           4
        .value_kind:     by_value
      - .address_space:  global
        .offset:         8
        .size:           8
        .value_kind:     global_buffer
      - .offset:         16
        .size:           4
        .value_kind:     by_value
      - .offset:         20
        .size:           4
        .value_kind:     by_value
      - .offset:         24
        .size:           8
        .value_kind:     by_value
    .group_segment_fixed_size: 8992
    .kernarg_segment_align: 8
    .kernarg_segment_size: 32
    .language:       OpenCL C
    .language_version:
      - 2
      - 0
    .max_flat_workgroup_size: 64
    .name:           _ZN9rocsolver6v33100L18trti2_kernel_smallILi34EfPfEEv13rocblas_fill_17rocblas_diagonal_T1_iil
    .private_segment_fixed_size: 0
    .sgpr_count:     16
    .sgpr_spill_count: 0
    .symbol:         _ZN9rocsolver6v33100L18trti2_kernel_smallILi34EfPfEEv13rocblas_fill_17rocblas_diagonal_T1_iil.kd
    .uniform_work_group_size: 1
    .uses_dynamic_stack: false
    .vgpr_count:     108
    .vgpr_spill_count: 0
    .wavefront_size: 32
  - .args:
      - .offset:         0
        .size:           4
        .value_kind:     by_value
      - .offset:         4
        .size:           4
        .value_kind:     by_value
      - .address_space:  global
        .offset:         8
        .size:           8
        .value_kind:     global_buffer
      - .offset:         16
        .size:           4
        .value_kind:     by_value
      - .offset:         20
        .size:           4
        .value_kind:     by_value
      - .offset:         24
        .size:           8
        .value_kind:     by_value
    .group_segment_fixed_size: 9248
    .kernarg_segment_align: 8
    .kernarg_segment_size: 32
    .language:       OpenCL C
    .language_version:
      - 2
      - 0
    .max_flat_workgroup_size: 64
    .name:           _ZN9rocsolver6v33100L18trti2_kernel_smallILi35EfPfEEv13rocblas_fill_17rocblas_diagonal_T1_iil
    .private_segment_fixed_size: 0
    .sgpr_count:     16
    .sgpr_spill_count: 0
    .symbol:         _ZN9rocsolver6v33100L18trti2_kernel_smallILi35EfPfEEv13rocblas_fill_17rocblas_diagonal_T1_iil.kd
    .uniform_work_group_size: 1
    .uses_dynamic_stack: false
    .vgpr_count:     108
    .vgpr_spill_count: 0
    .wavefront_size: 32
  - .args:
      - .offset:         0
        .size:           4
        .value_kind:     by_value
      - .offset:         4
        .size:           4
        .value_kind:     by_value
      - .address_space:  global
        .offset:         8
        .size:           8
        .value_kind:     global_buffer
      - .offset:         16
        .size:           4
        .value_kind:     by_value
      - .offset:         20
        .size:           4
        .value_kind:     by_value
      - .offset:         24
        .size:           8
        .value_kind:     by_value
    .group_segment_fixed_size: 9504
    .kernarg_segment_align: 8
    .kernarg_segment_size: 32
    .language:       OpenCL C
    .language_version:
      - 2
      - 0
    .max_flat_workgroup_size: 64
    .name:           _ZN9rocsolver6v33100L18trti2_kernel_smallILi36EfPfEEv13rocblas_fill_17rocblas_diagonal_T1_iil
    .private_segment_fixed_size: 0
    .sgpr_count:     16
    .sgpr_spill_count: 0
    .symbol:         _ZN9rocsolver6v33100L18trti2_kernel_smallILi36EfPfEEv13rocblas_fill_17rocblas_diagonal_T1_iil.kd
    .uniform_work_group_size: 1
    .uses_dynamic_stack: false
    .vgpr_count:     110
    .vgpr_spill_count: 0
    .wavefront_size: 32
  - .args:
      - .offset:         0
        .size:           4
        .value_kind:     by_value
      - .offset:         4
        .size:           4
        .value_kind:     by_value
      - .address_space:  global
        .offset:         8
        .size:           8
        .value_kind:     global_buffer
      - .offset:         16
        .size:           4
        .value_kind:     by_value
      - .offset:         20
        .size:           4
        .value_kind:     by_value
      - .offset:         24
        .size:           8
        .value_kind:     by_value
    .group_segment_fixed_size: 9792
    .kernarg_segment_align: 8
    .kernarg_segment_size: 32
    .language:       OpenCL C
    .language_version:
      - 2
      - 0
    .max_flat_workgroup_size: 64
    .name:           _ZN9rocsolver6v33100L18trti2_kernel_smallILi37EfPfEEv13rocblas_fill_17rocblas_diagonal_T1_iil
    .private_segment_fixed_size: 0
    .sgpr_count:     16
    .sgpr_spill_count: 0
    .symbol:         _ZN9rocsolver6v33100L18trti2_kernel_smallILi37EfPfEEv13rocblas_fill_17rocblas_diagonal_T1_iil.kd
    .uniform_work_group_size: 1
    .uses_dynamic_stack: false
    .vgpr_count:     110
    .vgpr_spill_count: 0
    .wavefront_size: 32
  - .args:
      - .offset:         0
        .size:           4
        .value_kind:     by_value
      - .offset:         4
        .size:           4
        .value_kind:     by_value
      - .address_space:  global
        .offset:         8
        .size:           8
        .value_kind:     global_buffer
      - .offset:         16
        .size:           4
        .value_kind:     by_value
      - .offset:         20
        .size:           4
        .value_kind:     by_value
      - .offset:         24
        .size:           8
        .value_kind:     by_value
    .group_segment_fixed_size: 10048
    .kernarg_segment_align: 8
    .kernarg_segment_size: 32
    .language:       OpenCL C
    .language_version:
      - 2
      - 0
    .max_flat_workgroup_size: 64
    .name:           _ZN9rocsolver6v33100L18trti2_kernel_smallILi38EfPfEEv13rocblas_fill_17rocblas_diagonal_T1_iil
    .private_segment_fixed_size: 0
    .sgpr_count:     16
    .sgpr_spill_count: 0
    .symbol:         _ZN9rocsolver6v33100L18trti2_kernel_smallILi38EfPfEEv13rocblas_fill_17rocblas_diagonal_T1_iil.kd
    .uniform_work_group_size: 1
    .uses_dynamic_stack: false
    .vgpr_count:     120
    .vgpr_spill_count: 0
    .wavefront_size: 32
  - .args:
      - .offset:         0
        .size:           4
        .value_kind:     by_value
      - .offset:         4
        .size:           4
        .value_kind:     by_value
      - .address_space:  global
        .offset:         8
        .size:           8
        .value_kind:     global_buffer
      - .offset:         16
        .size:           4
        .value_kind:     by_value
      - .offset:         20
        .size:           4
        .value_kind:     by_value
      - .offset:         24
        .size:           8
        .value_kind:     by_value
    .group_segment_fixed_size: 316
    .kernarg_segment_align: 8
    .kernarg_segment_size: 32
    .language:       OpenCL C
    .language_version:
      - 2
      - 0
    .max_flat_workgroup_size: 64
    .name:           _ZN9rocsolver6v33100L18trti2_kernel_smallILi39EfPfEEv13rocblas_fill_17rocblas_diagonal_T1_iil
    .private_segment_fixed_size: 160
    .sgpr_count:     19
    .sgpr_spill_count: 0
    .symbol:         _ZN9rocsolver6v33100L18trti2_kernel_smallILi39EfPfEEv13rocblas_fill_17rocblas_diagonal_T1_iil.kd
    .uniform_work_group_size: 1
    .uses_dynamic_stack: false
    .vgpr_count:     96
    .vgpr_spill_count: 0
    .wavefront_size: 32
  - .args:
      - .offset:         0
        .size:           4
        .value_kind:     by_value
      - .offset:         4
        .size:           4
        .value_kind:     by_value
      - .address_space:  global
        .offset:         8
        .size:           8
        .value_kind:     global_buffer
      - .offset:         16
        .size:           4
        .value_kind:     by_value
      - .offset:         20
        .size:           4
        .value_kind:     by_value
      - .offset:         24
        .size:           8
        .value_kind:     by_value
    .group_segment_fixed_size: 320
    .kernarg_segment_align: 8
    .kernarg_segment_size: 32
    .language:       OpenCL C
    .language_version:
      - 2
      - 0
    .max_flat_workgroup_size: 64
    .name:           _ZN9rocsolver6v33100L18trti2_kernel_smallILi40EfPfEEv13rocblas_fill_17rocblas_diagonal_T1_iil
    .private_segment_fixed_size: 176
    .sgpr_count:     20
    .sgpr_spill_count: 0
    .symbol:         _ZN9rocsolver6v33100L18trti2_kernel_smallILi40EfPfEEv13rocblas_fill_17rocblas_diagonal_T1_iil.kd
    .uniform_work_group_size: 1
    .uses_dynamic_stack: false
    .vgpr_count:     100
    .vgpr_spill_count: 0
    .wavefront_size: 32
  - .args:
      - .offset:         0
        .size:           4
        .value_kind:     by_value
      - .offset:         4
        .size:           4
        .value_kind:     by_value
      - .address_space:  global
        .offset:         8
        .size:           8
        .value_kind:     global_buffer
      - .offset:         16
        .size:           4
        .value_kind:     by_value
      - .offset:         20
        .size:           4
        .value_kind:     by_value
      - .offset:         24
        .size:           8
        .value_kind:     by_value
    .group_segment_fixed_size: 340
    .kernarg_segment_align: 8
    .kernarg_segment_size: 32
    .language:       OpenCL C
    .language_version:
      - 2
      - 0
    .max_flat_workgroup_size: 64
    .name:           _ZN9rocsolver6v33100L18trti2_kernel_smallILi41EfPfEEv13rocblas_fill_17rocblas_diagonal_T1_iil
    .private_segment_fixed_size: 176
    .sgpr_count:     20
    .sgpr_spill_count: 0
    .symbol:         _ZN9rocsolver6v33100L18trti2_kernel_smallILi41EfPfEEv13rocblas_fill_17rocblas_diagonal_T1_iil.kd
    .uniform_work_group_size: 1
    .uses_dynamic_stack: false
    .vgpr_count:     106
    .vgpr_spill_count: 0
    .wavefront_size: 32
  - .args:
      - .offset:         0
        .size:           4
        .value_kind:     by_value
      - .offset:         4
        .size:           4
        .value_kind:     by_value
      - .address_space:  global
        .offset:         8
        .size:           8
        .value_kind:     global_buffer
      - .offset:         16
        .size:           4
        .value_kind:     by_value
      - .offset:         20
        .size:           4
        .value_kind:     by_value
      - .offset:         24
        .size:           8
        .value_kind:     by_value
    .group_segment_fixed_size: 344
    .kernarg_segment_align: 8
    .kernarg_segment_size: 32
    .language:       OpenCL C
    .language_version:
      - 2
      - 0
    .max_flat_workgroup_size: 64
    .name:           _ZN9rocsolver6v33100L18trti2_kernel_smallILi42EfPfEEv13rocblas_fill_17rocblas_diagonal_T1_iil
    .private_segment_fixed_size: 176
    .sgpr_count:     20
    .sgpr_spill_count: 0
    .symbol:         _ZN9rocsolver6v33100L18trti2_kernel_smallILi42EfPfEEv13rocblas_fill_17rocblas_diagonal_T1_iil.kd
    .uniform_work_group_size: 1
    .uses_dynamic_stack: false
    .vgpr_count:     108
    .vgpr_spill_count: 0
    .wavefront_size: 32
  - .args:
      - .offset:         0
        .size:           4
        .value_kind:     by_value
      - .offset:         4
        .size:           4
        .value_kind:     by_value
      - .address_space:  global
        .offset:         8
        .size:           8
        .value_kind:     global_buffer
      - .offset:         16
        .size:           4
        .value_kind:     by_value
      - .offset:         20
        .size:           4
        .value_kind:     by_value
      - .offset:         24
        .size:           8
        .value_kind:     by_value
    .group_segment_fixed_size: 348
    .kernarg_segment_align: 8
    .kernarg_segment_size: 32
    .language:       OpenCL C
    .language_version:
      - 2
      - 0
    .max_flat_workgroup_size: 64
    .name:           _ZN9rocsolver6v33100L18trti2_kernel_smallILi43EfPfEEv13rocblas_fill_17rocblas_diagonal_T1_iil
    .private_segment_fixed_size: 176
    .sgpr_count:     20
    .sgpr_spill_count: 0
    .symbol:         _ZN9rocsolver6v33100L18trti2_kernel_smallILi43EfPfEEv13rocblas_fill_17rocblas_diagonal_T1_iil.kd
    .uniform_work_group_size: 1
    .uses_dynamic_stack: false
    .vgpr_count:     111
    .vgpr_spill_count: 0
    .wavefront_size: 32
  - .args:
      - .offset:         0
        .size:           4
        .value_kind:     by_value
      - .offset:         4
        .size:           4
        .value_kind:     by_value
      - .address_space:  global
        .offset:         8
        .size:           8
        .value_kind:     global_buffer
      - .offset:         16
        .size:           4
        .value_kind:     by_value
      - .offset:         20
        .size:           4
        .value_kind:     by_value
      - .offset:         24
        .size:           8
        .value_kind:     by_value
    .group_segment_fixed_size: 352
    .kernarg_segment_align: 8
    .kernarg_segment_size: 32
    .language:       OpenCL C
    .language_version:
      - 2
      - 0
    .max_flat_workgroup_size: 64
    .name:           _ZN9rocsolver6v33100L18trti2_kernel_smallILi44EfPfEEv13rocblas_fill_17rocblas_diagonal_T1_iil
    .private_segment_fixed_size: 192
    .sgpr_count:     21
    .sgpr_spill_count: 0
    .symbol:         _ZN9rocsolver6v33100L18trti2_kernel_smallILi44EfPfEEv13rocblas_fill_17rocblas_diagonal_T1_iil.kd
    .uniform_work_group_size: 1
    .uses_dynamic_stack: false
    .vgpr_count:     112
    .vgpr_spill_count: 0
    .wavefront_size: 32
  - .args:
      - .offset:         0
        .size:           4
        .value_kind:     by_value
      - .offset:         4
        .size:           4
        .value_kind:     by_value
      - .address_space:  global
        .offset:         8
        .size:           8
        .value_kind:     global_buffer
      - .offset:         16
        .size:           4
        .value_kind:     by_value
      - .offset:         20
        .size:           4
        .value_kind:     by_value
      - .offset:         24
        .size:           8
        .value_kind:     by_value
    .group_segment_fixed_size: 372
    .kernarg_segment_align: 8
    .kernarg_segment_size: 32
    .language:       OpenCL C
    .language_version:
      - 2
      - 0
    .max_flat_workgroup_size: 64
    .name:           _ZN9rocsolver6v33100L18trti2_kernel_smallILi45EfPfEEv13rocblas_fill_17rocblas_diagonal_T1_iil
    .private_segment_fixed_size: 192
    .sgpr_count:     21
    .sgpr_spill_count: 0
    .symbol:         _ZN9rocsolver6v33100L18trti2_kernel_smallILi45EfPfEEv13rocblas_fill_17rocblas_diagonal_T1_iil.kd
    .uniform_work_group_size: 1
    .uses_dynamic_stack: false
    .vgpr_count:     116
    .vgpr_spill_count: 0
    .wavefront_size: 32
  - .args:
      - .offset:         0
        .size:           4
        .value_kind:     by_value
      - .offset:         4
        .size:           4
        .value_kind:     by_value
      - .address_space:  global
        .offset:         8
        .size:           8
        .value_kind:     global_buffer
      - .offset:         16
        .size:           4
        .value_kind:     by_value
      - .offset:         20
        .size:           4
        .value_kind:     by_value
      - .offset:         24
        .size:           8
        .value_kind:     by_value
    .group_segment_fixed_size: 376
    .kernarg_segment_align: 8
    .kernarg_segment_size: 32
    .language:       OpenCL C
    .language_version:
      - 2
      - 0
    .max_flat_workgroup_size: 64
    .name:           _ZN9rocsolver6v33100L18trti2_kernel_smallILi46EfPfEEv13rocblas_fill_17rocblas_diagonal_T1_iil
    .private_segment_fixed_size: 192
    .sgpr_count:     21
    .sgpr_spill_count: 0
    .symbol:         _ZN9rocsolver6v33100L18trti2_kernel_smallILi46EfPfEEv13rocblas_fill_17rocblas_diagonal_T1_iil.kd
    .uniform_work_group_size: 1
    .uses_dynamic_stack: false
    .vgpr_count:     116
    .vgpr_spill_count: 0
    .wavefront_size: 32
  - .args:
      - .offset:         0
        .size:           4
        .value_kind:     by_value
      - .offset:         4
        .size:           4
        .value_kind:     by_value
      - .address_space:  global
        .offset:         8
        .size:           8
        .value_kind:     global_buffer
      - .offset:         16
        .size:           4
        .value_kind:     by_value
      - .offset:         20
        .size:           4
        .value_kind:     by_value
      - .offset:         24
        .size:           8
        .value_kind:     by_value
    .group_segment_fixed_size: 380
    .kernarg_segment_align: 8
    .kernarg_segment_size: 32
    .language:       OpenCL C
    .language_version:
      - 2
      - 0
    .max_flat_workgroup_size: 64
    .name:           _ZN9rocsolver6v33100L18trti2_kernel_smallILi47EfPfEEv13rocblas_fill_17rocblas_diagonal_T1_iil
    .private_segment_fixed_size: 192
    .sgpr_count:     21
    .sgpr_spill_count: 0
    .symbol:         _ZN9rocsolver6v33100L18trti2_kernel_smallILi47EfPfEEv13rocblas_fill_17rocblas_diagonal_T1_iil.kd
    .uniform_work_group_size: 1
    .uses_dynamic_stack: false
    .vgpr_count:     118
    .vgpr_spill_count: 0
    .wavefront_size: 32
  - .args:
      - .offset:         0
        .size:           4
        .value_kind:     by_value
      - .offset:         4
        .size:           4
        .value_kind:     by_value
      - .address_space:  global
        .offset:         8
        .size:           8
        .value_kind:     global_buffer
      - .offset:         16
        .size:           4
        .value_kind:     by_value
      - .offset:         20
        .size:           4
        .value_kind:     by_value
      - .offset:         24
        .size:           8
        .value_kind:     by_value
    .group_segment_fixed_size: 384
    .kernarg_segment_align: 8
    .kernarg_segment_size: 32
    .language:       OpenCL C
    .language_version:
      - 2
      - 0
    .max_flat_workgroup_size: 64
    .name:           _ZN9rocsolver6v33100L18trti2_kernel_smallILi48EfPfEEv13rocblas_fill_17rocblas_diagonal_T1_iil
    .private_segment_fixed_size: 208
    .sgpr_count:     22
    .sgpr_spill_count: 0
    .symbol:         _ZN9rocsolver6v33100L18trti2_kernel_smallILi48EfPfEEv13rocblas_fill_17rocblas_diagonal_T1_iil.kd
    .uniform_work_group_size: 1
    .uses_dynamic_stack: false
    .vgpr_count:     120
    .vgpr_spill_count: 0
    .wavefront_size: 32
  - .args:
      - .offset:         0
        .size:           4
        .value_kind:     by_value
      - .offset:         4
        .size:           4
        .value_kind:     by_value
      - .address_space:  global
        .offset:         8
        .size:           8
        .value_kind:     global_buffer
      - .offset:         16
        .size:           4
        .value_kind:     by_value
      - .offset:         20
        .size:           4
        .value_kind:     by_value
      - .offset:         24
        .size:           8
        .value_kind:     by_value
    .group_segment_fixed_size: 404
    .kernarg_segment_align: 8
    .kernarg_segment_size: 32
    .language:       OpenCL C
    .language_version:
      - 2
      - 0
    .max_flat_workgroup_size: 64
    .name:           _ZN9rocsolver6v33100L18trti2_kernel_smallILi49EfPfEEv13rocblas_fill_17rocblas_diagonal_T1_iil
    .private_segment_fixed_size: 208
    .sgpr_count:     22
    .sgpr_spill_count: 0
    .symbol:         _ZN9rocsolver6v33100L18trti2_kernel_smallILi49EfPfEEv13rocblas_fill_17rocblas_diagonal_T1_iil.kd
    .uniform_work_group_size: 1
    .uses_dynamic_stack: false
    .vgpr_count:     126
    .vgpr_spill_count: 0
    .wavefront_size: 32
  - .args:
      - .offset:         0
        .size:           4
        .value_kind:     by_value
      - .offset:         4
        .size:           4
        .value_kind:     by_value
      - .address_space:  global
        .offset:         8
        .size:           8
        .value_kind:     global_buffer
      - .offset:         16
        .size:           4
        .value_kind:     by_value
      - .offset:         20
        .size:           4
        .value_kind:     by_value
      - .offset:         24
        .size:           8
        .value_kind:     by_value
    .group_segment_fixed_size: 408
    .kernarg_segment_align: 8
    .kernarg_segment_size: 32
    .language:       OpenCL C
    .language_version:
      - 2
      - 0
    .max_flat_workgroup_size: 64
    .name:           _ZN9rocsolver6v33100L18trti2_kernel_smallILi50EfPfEEv13rocblas_fill_17rocblas_diagonal_T1_iil
    .private_segment_fixed_size: 208
    .sgpr_count:     22
    .sgpr_spill_count: 0
    .symbol:         _ZN9rocsolver6v33100L18trti2_kernel_smallILi50EfPfEEv13rocblas_fill_17rocblas_diagonal_T1_iil.kd
    .uniform_work_group_size: 1
    .uses_dynamic_stack: false
    .vgpr_count:     130
    .vgpr_spill_count: 0
    .wavefront_size: 32
  - .args:
      - .offset:         0
        .size:           4
        .value_kind:     by_value
      - .offset:         4
        .size:           4
        .value_kind:     by_value
      - .address_space:  global
        .offset:         8
        .size:           8
        .value_kind:     global_buffer
      - .offset:         16
        .size:           4
        .value_kind:     by_value
      - .offset:         20
        .size:           4
        .value_kind:     by_value
      - .offset:         24
        .size:           8
        .value_kind:     by_value
    .group_segment_fixed_size: 412
    .kernarg_segment_align: 8
    .kernarg_segment_size: 32
    .language:       OpenCL C
    .language_version:
      - 2
      - 0
    .max_flat_workgroup_size: 64
    .name:           _ZN9rocsolver6v33100L18trti2_kernel_smallILi51EfPfEEv13rocblas_fill_17rocblas_diagonal_T1_iil
    .private_segment_fixed_size: 208
    .sgpr_count:     22
    .sgpr_spill_count: 0
    .symbol:         _ZN9rocsolver6v33100L18trti2_kernel_smallILi51EfPfEEv13rocblas_fill_17rocblas_diagonal_T1_iil.kd
    .uniform_work_group_size: 1
    .uses_dynamic_stack: false
    .vgpr_count:     128
    .vgpr_spill_count: 0
    .wavefront_size: 32
  - .args:
      - .offset:         0
        .size:           4
        .value_kind:     by_value
      - .offset:         4
        .size:           4
        .value_kind:     by_value
      - .address_space:  global
        .offset:         8
        .size:           8
        .value_kind:     global_buffer
      - .offset:         16
        .size:           4
        .value_kind:     by_value
      - .offset:         20
        .size:           4
        .value_kind:     by_value
      - .offset:         24
        .size:           8
        .value_kind:     by_value
    .group_segment_fixed_size: 416
    .kernarg_segment_align: 8
    .kernarg_segment_size: 32
    .language:       OpenCL C
    .language_version:
      - 2
      - 0
    .max_flat_workgroup_size: 64
    .name:           _ZN9rocsolver6v33100L18trti2_kernel_smallILi52EfPfEEv13rocblas_fill_17rocblas_diagonal_T1_iil
    .private_segment_fixed_size: 224
    .sgpr_count:     23
    .sgpr_spill_count: 0
    .symbol:         _ZN9rocsolver6v33100L18trti2_kernel_smallILi52EfPfEEv13rocblas_fill_17rocblas_diagonal_T1_iil.kd
    .uniform_work_group_size: 1
    .uses_dynamic_stack: false
    .vgpr_count:     128
    .vgpr_spill_count: 0
    .wavefront_size: 32
  - .args:
      - .offset:         0
        .size:           4
        .value_kind:     by_value
      - .offset:         4
        .size:           4
        .value_kind:     by_value
      - .address_space:  global
        .offset:         8
        .size:           8
        .value_kind:     global_buffer
      - .offset:         16
        .size:           4
        .value_kind:     by_value
      - .offset:         20
        .size:           4
        .value_kind:     by_value
      - .offset:         24
        .size:           8
        .value_kind:     by_value
    .group_segment_fixed_size: 436
    .kernarg_segment_align: 8
    .kernarg_segment_size: 32
    .language:       OpenCL C
    .language_version:
      - 2
      - 0
    .max_flat_workgroup_size: 64
    .name:           _ZN9rocsolver6v33100L18trti2_kernel_smallILi53EfPfEEv13rocblas_fill_17rocblas_diagonal_T1_iil
    .private_segment_fixed_size: 224
    .sgpr_count:     23
    .sgpr_spill_count: 0
    .symbol:         _ZN9rocsolver6v33100L18trti2_kernel_smallILi53EfPfEEv13rocblas_fill_17rocblas_diagonal_T1_iil.kd
    .uniform_work_group_size: 1
    .uses_dynamic_stack: false
    .vgpr_count:     132
    .vgpr_spill_count: 0
    .wavefront_size: 32
  - .args:
      - .offset:         0
        .size:           4
        .value_kind:     by_value
      - .offset:         4
        .size:           4
        .value_kind:     by_value
      - .address_space:  global
        .offset:         8
        .size:           8
        .value_kind:     global_buffer
      - .offset:         16
        .size:           4
        .value_kind:     by_value
      - .offset:         20
        .size:           4
        .value_kind:     by_value
      - .offset:         24
        .size:           8
        .value_kind:     by_value
    .group_segment_fixed_size: 440
    .kernarg_segment_align: 8
    .kernarg_segment_size: 32
    .language:       OpenCL C
    .language_version:
      - 2
      - 0
    .max_flat_workgroup_size: 64
    .name:           _ZN9rocsolver6v33100L18trti2_kernel_smallILi54EfPfEEv13rocblas_fill_17rocblas_diagonal_T1_iil
    .private_segment_fixed_size: 224
    .sgpr_count:     23
    .sgpr_spill_count: 0
    .symbol:         _ZN9rocsolver6v33100L18trti2_kernel_smallILi54EfPfEEv13rocblas_fill_17rocblas_diagonal_T1_iil.kd
    .uniform_work_group_size: 1
    .uses_dynamic_stack: false
    .vgpr_count:     134
    .vgpr_spill_count: 0
    .wavefront_size: 32
  - .args:
      - .offset:         0
        .size:           4
        .value_kind:     by_value
      - .offset:         4
        .size:           4
        .value_kind:     by_value
      - .address_space:  global
        .offset:         8
        .size:           8
        .value_kind:     global_buffer
      - .offset:         16
        .size:           4
        .value_kind:     by_value
      - .offset:         20
        .size:           4
        .value_kind:     by_value
      - .offset:         24
        .size:           8
        .value_kind:     by_value
    .group_segment_fixed_size: 444
    .kernarg_segment_align: 8
    .kernarg_segment_size: 32
    .language:       OpenCL C
    .language_version:
      - 2
      - 0
    .max_flat_workgroup_size: 64
    .name:           _ZN9rocsolver6v33100L18trti2_kernel_smallILi55EfPfEEv13rocblas_fill_17rocblas_diagonal_T1_iil
    .private_segment_fixed_size: 224
    .sgpr_count:     23
    .sgpr_spill_count: 0
    .symbol:         _ZN9rocsolver6v33100L18trti2_kernel_smallILi55EfPfEEv13rocblas_fill_17rocblas_diagonal_T1_iil.kd
    .uniform_work_group_size: 1
    .uses_dynamic_stack: false
    .vgpr_count:     140
    .vgpr_spill_count: 0
    .wavefront_size: 32
  - .args:
      - .offset:         0
        .size:           4
        .value_kind:     by_value
      - .offset:         4
        .size:           4
        .value_kind:     by_value
      - .address_space:  global
        .offset:         8
        .size:           8
        .value_kind:     global_buffer
      - .offset:         16
        .size:           4
        .value_kind:     by_value
      - .offset:         20
        .size:           4
        .value_kind:     by_value
      - .offset:         24
        .size:           8
        .value_kind:     by_value
    .group_segment_fixed_size: 448
    .kernarg_segment_align: 8
    .kernarg_segment_size: 32
    .language:       OpenCL C
    .language_version:
      - 2
      - 0
    .max_flat_workgroup_size: 64
    .name:           _ZN9rocsolver6v33100L18trti2_kernel_smallILi56EfPfEEv13rocblas_fill_17rocblas_diagonal_T1_iil
    .private_segment_fixed_size: 240
    .sgpr_count:     24
    .sgpr_spill_count: 0
    .symbol:         _ZN9rocsolver6v33100L18trti2_kernel_smallILi56EfPfEEv13rocblas_fill_17rocblas_diagonal_T1_iil.kd
    .uniform_work_group_size: 1
    .uses_dynamic_stack: false
    .vgpr_count:     144
    .vgpr_spill_count: 0
    .wavefront_size: 32
  - .args:
      - .offset:         0
        .size:           4
        .value_kind:     by_value
      - .offset:         4
        .size:           4
        .value_kind:     by_value
      - .address_space:  global
        .offset:         8
        .size:           8
        .value_kind:     global_buffer
      - .offset:         16
        .size:           4
        .value_kind:     by_value
      - .offset:         20
        .size:           4
        .value_kind:     by_value
      - .offset:         24
        .size:           8
        .value_kind:     by_value
    .group_segment_fixed_size: 468
    .kernarg_segment_align: 8
    .kernarg_segment_size: 32
    .language:       OpenCL C
    .language_version:
      - 2
      - 0
    .max_flat_workgroup_size: 64
    .name:           _ZN9rocsolver6v33100L18trti2_kernel_smallILi57EfPfEEv13rocblas_fill_17rocblas_diagonal_T1_iil
    .private_segment_fixed_size: 240
    .sgpr_count:     24
    .sgpr_spill_count: 0
    .symbol:         _ZN9rocsolver6v33100L18trti2_kernel_smallILi57EfPfEEv13rocblas_fill_17rocblas_diagonal_T1_iil.kd
    .uniform_work_group_size: 1
    .uses_dynamic_stack: false
    .vgpr_count:     146
    .vgpr_spill_count: 0
    .wavefront_size: 32
  - .args:
      - .offset:         0
        .size:           4
        .value_kind:     by_value
      - .offset:         4
        .size:           4
        .value_kind:     by_value
      - .address_space:  global
        .offset:         8
        .size:           8
        .value_kind:     global_buffer
      - .offset:         16
        .size:           4
        .value_kind:     by_value
      - .offset:         20
        .size:           4
        .value_kind:     by_value
      - .offset:         24
        .size:           8
        .value_kind:     by_value
    .group_segment_fixed_size: 472
    .kernarg_segment_align: 8
    .kernarg_segment_size: 32
    .language:       OpenCL C
    .language_version:
      - 2
      - 0
    .max_flat_workgroup_size: 64
    .name:           _ZN9rocsolver6v33100L18trti2_kernel_smallILi58EfPfEEv13rocblas_fill_17rocblas_diagonal_T1_iil
    .private_segment_fixed_size: 240
    .sgpr_count:     24
    .sgpr_spill_count: 0
    .symbol:         _ZN9rocsolver6v33100L18trti2_kernel_smallILi58EfPfEEv13rocblas_fill_17rocblas_diagonal_T1_iil.kd
    .uniform_work_group_size: 1
    .uses_dynamic_stack: false
    .vgpr_count:     150
    .vgpr_spill_count: 0
    .wavefront_size: 32
  - .args:
      - .offset:         0
        .size:           4
        .value_kind:     by_value
      - .offset:         4
        .size:           4
        .value_kind:     by_value
      - .address_space:  global
        .offset:         8
        .size:           8
        .value_kind:     global_buffer
      - .offset:         16
        .size:           4
        .value_kind:     by_value
      - .offset:         20
        .size:           4
        .value_kind:     by_value
      - .offset:         24
        .size:           8
        .value_kind:     by_value
    .group_segment_fixed_size: 476
    .kernarg_segment_align: 8
    .kernarg_segment_size: 32
    .language:       OpenCL C
    .language_version:
      - 2
      - 0
    .max_flat_workgroup_size: 64
    .name:           _ZN9rocsolver6v33100L18trti2_kernel_smallILi59EfPfEEv13rocblas_fill_17rocblas_diagonal_T1_iil
    .private_segment_fixed_size: 240
    .sgpr_count:     24
    .sgpr_spill_count: 0
    .symbol:         _ZN9rocsolver6v33100L18trti2_kernel_smallILi59EfPfEEv13rocblas_fill_17rocblas_diagonal_T1_iil.kd
    .uniform_work_group_size: 1
    .uses_dynamic_stack: false
    .vgpr_count:     148
    .vgpr_spill_count: 0
    .wavefront_size: 32
  - .args:
      - .offset:         0
        .size:           4
        .value_kind:     by_value
      - .offset:         4
        .size:           4
        .value_kind:     by_value
      - .address_space:  global
        .offset:         8
        .size:           8
        .value_kind:     global_buffer
      - .offset:         16
        .size:           4
        .value_kind:     by_value
      - .offset:         20
        .size:           4
        .value_kind:     by_value
      - .offset:         24
        .size:           8
        .value_kind:     by_value
    .group_segment_fixed_size: 480
    .kernarg_segment_align: 8
    .kernarg_segment_size: 32
    .language:       OpenCL C
    .language_version:
      - 2
      - 0
    .max_flat_workgroup_size: 64
    .name:           _ZN9rocsolver6v33100L18trti2_kernel_smallILi60EfPfEEv13rocblas_fill_17rocblas_diagonal_T1_iil
    .private_segment_fixed_size: 256
    .sgpr_count:     25
    .sgpr_spill_count: 0
    .symbol:         _ZN9rocsolver6v33100L18trti2_kernel_smallILi60EfPfEEv13rocblas_fill_17rocblas_diagonal_T1_iil.kd
    .uniform_work_group_size: 1
    .uses_dynamic_stack: false
    .vgpr_count:     148
    .vgpr_spill_count: 0
    .wavefront_size: 32
  - .args:
      - .offset:         0
        .size:           4
        .value_kind:     by_value
      - .offset:         4
        .size:           4
        .value_kind:     by_value
      - .address_space:  global
        .offset:         8
        .size:           8
        .value_kind:     global_buffer
      - .offset:         16
        .size:           4
        .value_kind:     by_value
      - .offset:         20
        .size:           4
        .value_kind:     by_value
      - .offset:         24
        .size:           8
        .value_kind:     by_value
    .group_segment_fixed_size: 500
    .kernarg_segment_align: 8
    .kernarg_segment_size: 32
    .language:       OpenCL C
    .language_version:
      - 2
      - 0
    .max_flat_workgroup_size: 64
    .name:           _ZN9rocsolver6v33100L18trti2_kernel_smallILi61EfPfEEv13rocblas_fill_17rocblas_diagonal_T1_iil
    .private_segment_fixed_size: 256
    .sgpr_count:     25
    .sgpr_spill_count: 0
    .symbol:         _ZN9rocsolver6v33100L18trti2_kernel_smallILi61EfPfEEv13rocblas_fill_17rocblas_diagonal_T1_iil.kd
    .uniform_work_group_size: 1
    .uses_dynamic_stack: false
    .vgpr_count:     154
    .vgpr_spill_count: 0
    .wavefront_size: 32
  - .args:
      - .offset:         0
        .size:           4
        .value_kind:     by_value
      - .offset:         4
        .size:           4
        .value_kind:     by_value
      - .address_space:  global
        .offset:         8
        .size:           8
        .value_kind:     global_buffer
      - .offset:         16
        .size:           4
        .value_kind:     by_value
      - .offset:         20
        .size:           4
        .value_kind:     by_value
      - .offset:         24
        .size:           8
        .value_kind:     by_value
    .group_segment_fixed_size: 504
    .kernarg_segment_align: 8
    .kernarg_segment_size: 32
    .language:       OpenCL C
    .language_version:
      - 2
      - 0
    .max_flat_workgroup_size: 64
    .name:           _ZN9rocsolver6v33100L18trti2_kernel_smallILi62EfPfEEv13rocblas_fill_17rocblas_diagonal_T1_iil
    .private_segment_fixed_size: 256
    .sgpr_count:     25
    .sgpr_spill_count: 0
    .symbol:         _ZN9rocsolver6v33100L18trti2_kernel_smallILi62EfPfEEv13rocblas_fill_17rocblas_diagonal_T1_iil.kd
    .uniform_work_group_size: 1
    .uses_dynamic_stack: false
    .vgpr_count:     156
    .vgpr_spill_count: 0
    .wavefront_size: 32
  - .args:
      - .offset:         0
        .size:           4
        .value_kind:     by_value
      - .offset:         4
        .size:           4
        .value_kind:     by_value
      - .address_space:  global
        .offset:         8
        .size:           8
        .value_kind:     global_buffer
      - .offset:         16
        .size:           4
        .value_kind:     by_value
      - .offset:         20
        .size:           4
        .value_kind:     by_value
      - .offset:         24
        .size:           8
        .value_kind:     by_value
    .group_segment_fixed_size: 508
    .kernarg_segment_align: 8
    .kernarg_segment_size: 32
    .language:       OpenCL C
    .language_version:
      - 2
      - 0
    .max_flat_workgroup_size: 64
    .name:           _ZN9rocsolver6v33100L18trti2_kernel_smallILi63EfPfEEv13rocblas_fill_17rocblas_diagonal_T1_iil
    .private_segment_fixed_size: 256
    .sgpr_count:     25
    .sgpr_spill_count: 0
    .symbol:         _ZN9rocsolver6v33100L18trti2_kernel_smallILi63EfPfEEv13rocblas_fill_17rocblas_diagonal_T1_iil.kd
    .uniform_work_group_size: 1
    .uses_dynamic_stack: false
    .vgpr_count:     160
    .vgpr_spill_count: 0
    .wavefront_size: 32
  - .args:
      - .offset:         0
        .size:           4
        .value_kind:     by_value
      - .offset:         4
        .size:           4
        .value_kind:     by_value
      - .address_space:  global
        .offset:         8
        .size:           8
        .value_kind:     global_buffer
      - .offset:         16
        .size:           4
        .value_kind:     by_value
      - .offset:         20
        .size:           4
        .value_kind:     by_value
      - .offset:         24
        .size:           8
        .value_kind:     by_value
    .group_segment_fixed_size: 512
    .kernarg_segment_align: 8
    .kernarg_segment_size: 32
    .language:       OpenCL C
    .language_version:
      - 2
      - 0
    .max_flat_workgroup_size: 64
    .name:           _ZN9rocsolver6v33100L18trti2_kernel_smallILi64EfPfEEv13rocblas_fill_17rocblas_diagonal_T1_iil
    .private_segment_fixed_size: 272
    .sgpr_count:     26
    .sgpr_spill_count: 0
    .symbol:         _ZN9rocsolver6v33100L18trti2_kernel_smallILi64EfPfEEv13rocblas_fill_17rocblas_diagonal_T1_iil.kd
    .uniform_work_group_size: 1
    .uses_dynamic_stack: false
    .vgpr_count:     164
    .vgpr_spill_count: 0
    .wavefront_size: 32
  - .args:
      - .offset:         0
        .size:           4
        .value_kind:     by_value
      - .offset:         4
        .size:           4
        .value_kind:     by_value
      - .address_space:  global
        .offset:         8
        .size:           8
        .value_kind:     global_buffer
      - .offset:         16
        .size:           4
        .value_kind:     by_value
      - .offset:         20
        .size:           4
        .value_kind:     by_value
      - .offset:         24
        .size:           8
        .value_kind:     by_value
    .group_segment_fixed_size: 0
    .kernarg_segment_align: 8
    .kernarg_segment_size: 32
    .language:       OpenCL C
    .language_version:
      - 2
      - 0
    .max_flat_workgroup_size: 64
    .name:           _ZN9rocsolver6v33100L18trti2_kernel_smallILi1EfPKPfEEv13rocblas_fill_17rocblas_diagonal_T1_iil
    .private_segment_fixed_size: 0
    .sgpr_count:     10
    .sgpr_spill_count: 0
    .symbol:         _ZN9rocsolver6v33100L18trti2_kernel_smallILi1EfPKPfEEv13rocblas_fill_17rocblas_diagonal_T1_iil.kd
    .uniform_work_group_size: 1
    .uses_dynamic_stack: false
    .vgpr_count:     7
    .vgpr_spill_count: 0
    .wavefront_size: 32
  - .args:
      - .offset:         0
        .size:           4
        .value_kind:     by_value
      - .offset:         4
        .size:           4
        .value_kind:     by_value
      - .address_space:  global
        .offset:         8
        .size:           8
        .value_kind:     global_buffer
      - .offset:         16
        .size:           4
        .value_kind:     by_value
      - .offset:         20
        .size:           4
        .value_kind:     by_value
      - .offset:         24
        .size:           8
        .value_kind:     by_value
    .group_segment_fixed_size: 16
    .kernarg_segment_align: 8
    .kernarg_segment_size: 32
    .language:       OpenCL C
    .language_version:
      - 2
      - 0
    .max_flat_workgroup_size: 64
    .name:           _ZN9rocsolver6v33100L18trti2_kernel_smallILi2EfPKPfEEv13rocblas_fill_17rocblas_diagonal_T1_iil
    .private_segment_fixed_size: 0
    .sgpr_count:     12
    .sgpr_spill_count: 0
    .symbol:         _ZN9rocsolver6v33100L18trti2_kernel_smallILi2EfPKPfEEv13rocblas_fill_17rocblas_diagonal_T1_iil.kd
    .uniform_work_group_size: 1
    .uses_dynamic_stack: false
    .vgpr_count:     14
    .vgpr_spill_count: 0
    .wavefront_size: 32
  - .args:
      - .offset:         0
        .size:           4
        .value_kind:     by_value
      - .offset:         4
        .size:           4
        .value_kind:     by_value
      - .address_space:  global
        .offset:         8
        .size:           8
        .value_kind:     global_buffer
      - .offset:         16
        .size:           4
        .value_kind:     by_value
      - .offset:         20
        .size:           4
        .value_kind:     by_value
      - .offset:         24
        .size:           8
        .value_kind:     by_value
    .group_segment_fixed_size: 28
    .kernarg_segment_align: 8
    .kernarg_segment_size: 32
    .language:       OpenCL C
    .language_version:
      - 2
      - 0
    .max_flat_workgroup_size: 64
    .name:           _ZN9rocsolver6v33100L18trti2_kernel_smallILi3EfPKPfEEv13rocblas_fill_17rocblas_diagonal_T1_iil
    .private_segment_fixed_size: 0
    .sgpr_count:     12
    .sgpr_spill_count: 0
    .symbol:         _ZN9rocsolver6v33100L18trti2_kernel_smallILi3EfPKPfEEv13rocblas_fill_17rocblas_diagonal_T1_iil.kd
    .uniform_work_group_size: 1
    .uses_dynamic_stack: false
    .vgpr_count:     18
    .vgpr_spill_count: 0
    .wavefront_size: 32
  - .args:
      - .offset:         0
        .size:           4
        .value_kind:     by_value
      - .offset:         4
        .size:           4
        .value_kind:     by_value
      - .address_space:  global
        .offset:         8
        .size:           8
        .value_kind:     global_buffer
      - .offset:         16
        .size:           4
        .value_kind:     by_value
      - .offset:         20
        .size:           4
        .value_kind:     by_value
      - .offset:         24
        .size:           8
        .value_kind:     by_value
    .group_segment_fixed_size: 32
    .kernarg_segment_align: 8
    .kernarg_segment_size: 32
    .language:       OpenCL C
    .language_version:
      - 2
      - 0
    .max_flat_workgroup_size: 64
    .name:           _ZN9rocsolver6v33100L18trti2_kernel_smallILi4EfPKPfEEv13rocblas_fill_17rocblas_diagonal_T1_iil
    .private_segment_fixed_size: 0
    .sgpr_count:     15
    .sgpr_spill_count: 0
    .symbol:         _ZN9rocsolver6v33100L18trti2_kernel_smallILi4EfPKPfEEv13rocblas_fill_17rocblas_diagonal_T1_iil.kd
    .uniform_work_group_size: 1
    .uses_dynamic_stack: false
    .vgpr_count:     32
    .vgpr_spill_count: 0
    .wavefront_size: 32
  - .args:
      - .offset:         0
        .size:           4
        .value_kind:     by_value
      - .offset:         4
        .size:           4
        .value_kind:     by_value
      - .address_space:  global
        .offset:         8
        .size:           8
        .value_kind:     global_buffer
      - .offset:         16
        .size:           4
        .value_kind:     by_value
      - .offset:         20
        .size:           4
        .value_kind:     by_value
      - .offset:         24
        .size:           8
        .value_kind:     by_value
    .group_segment_fixed_size: 52
    .kernarg_segment_align: 8
    .kernarg_segment_size: 32
    .language:       OpenCL C
    .language_version:
      - 2
      - 0
    .max_flat_workgroup_size: 64
    .name:           _ZN9rocsolver6v33100L18trti2_kernel_smallILi5EfPKPfEEv13rocblas_fill_17rocblas_diagonal_T1_iil
    .private_segment_fixed_size: 0
    .sgpr_count:     15
    .sgpr_spill_count: 0
    .symbol:         _ZN9rocsolver6v33100L18trti2_kernel_smallILi5EfPKPfEEv13rocblas_fill_17rocblas_diagonal_T1_iil.kd
    .uniform_work_group_size: 1
    .uses_dynamic_stack: false
    .vgpr_count:     36
    .vgpr_spill_count: 0
    .wavefront_size: 32
  - .args:
      - .offset:         0
        .size:           4
        .value_kind:     by_value
      - .offset:         4
        .size:           4
        .value_kind:     by_value
      - .address_space:  global
        .offset:         8
        .size:           8
        .value_kind:     global_buffer
      - .offset:         16
        .size:           4
        .value_kind:     by_value
      - .offset:         20
        .size:           4
        .value_kind:     by_value
      - .offset:         24
        .size:           8
        .value_kind:     by_value
    .group_segment_fixed_size: 56
    .kernarg_segment_align: 8
    .kernarg_segment_size: 32
    .language:       OpenCL C
    .language_version:
      - 2
      - 0
    .max_flat_workgroup_size: 64
    .name:           _ZN9rocsolver6v33100L18trti2_kernel_smallILi6EfPKPfEEv13rocblas_fill_17rocblas_diagonal_T1_iil
    .private_segment_fixed_size: 0
    .sgpr_count:     15
    .sgpr_spill_count: 0
    .symbol:         _ZN9rocsolver6v33100L18trti2_kernel_smallILi6EfPKPfEEv13rocblas_fill_17rocblas_diagonal_T1_iil.kd
    .uniform_work_group_size: 1
    .uses_dynamic_stack: false
    .vgpr_count:     40
    .vgpr_spill_count: 0
    .wavefront_size: 32
  - .args:
      - .offset:         0
        .size:           4
        .value_kind:     by_value
      - .offset:         4
        .size:           4
        .value_kind:     by_value
      - .address_space:  global
        .offset:         8
        .size:           8
        .value_kind:     global_buffer
      - .offset:         16
        .size:           4
        .value_kind:     by_value
      - .offset:         20
        .size:           4
        .value_kind:     by_value
      - .offset:         24
        .size:           8
        .value_kind:     by_value
    .group_segment_fixed_size: 60
    .kernarg_segment_align: 8
    .kernarg_segment_size: 32
    .language:       OpenCL C
    .language_version:
      - 2
      - 0
    .max_flat_workgroup_size: 64
    .name:           _ZN9rocsolver6v33100L18trti2_kernel_smallILi7EfPKPfEEv13rocblas_fill_17rocblas_diagonal_T1_iil
    .private_segment_fixed_size: 0
    .sgpr_count:     15
    .sgpr_spill_count: 0
    .symbol:         _ZN9rocsolver6v33100L18trti2_kernel_smallILi7EfPKPfEEv13rocblas_fill_17rocblas_diagonal_T1_iil.kd
    .uniform_work_group_size: 1
    .uses_dynamic_stack: false
    .vgpr_count:     44
    .vgpr_spill_count: 0
    .wavefront_size: 32
  - .args:
      - .offset:         0
        .size:           4
        .value_kind:     by_value
      - .offset:         4
        .size:           4
        .value_kind:     by_value
      - .address_space:  global
        .offset:         8
        .size:           8
        .value_kind:     global_buffer
      - .offset:         16
        .size:           4
        .value_kind:     by_value
      - .offset:         20
        .size:           4
        .value_kind:     by_value
      - .offset:         24
        .size:           8
        .value_kind:     by_value
    .group_segment_fixed_size: 64
    .kernarg_segment_align: 8
    .kernarg_segment_size: 32
    .language:       OpenCL C
    .language_version:
      - 2
      - 0
    .max_flat_workgroup_size: 64
    .name:           _ZN9rocsolver6v33100L18trti2_kernel_smallILi8EfPKPfEEv13rocblas_fill_17rocblas_diagonal_T1_iil
    .private_segment_fixed_size: 0
    .sgpr_count:     15
    .sgpr_spill_count: 0
    .symbol:         _ZN9rocsolver6v33100L18trti2_kernel_smallILi8EfPKPfEEv13rocblas_fill_17rocblas_diagonal_T1_iil.kd
    .uniform_work_group_size: 1
    .uses_dynamic_stack: false
    .vgpr_count:     49
    .vgpr_spill_count: 0
    .wavefront_size: 32
  - .args:
      - .offset:         0
        .size:           4
        .value_kind:     by_value
      - .offset:         4
        .size:           4
        .value_kind:     by_value
      - .address_space:  global
        .offset:         8
        .size:           8
        .value_kind:     global_buffer
      - .offset:         16
        .size:           4
        .value_kind:     by_value
      - .offset:         20
        .size:           4
        .value_kind:     by_value
      - .offset:         24
        .size:           8
        .value_kind:     by_value
    .group_segment_fixed_size: 84
    .kernarg_segment_align: 8
    .kernarg_segment_size: 32
    .language:       OpenCL C
    .language_version:
      - 2
      - 0
    .max_flat_workgroup_size: 64
    .name:           _ZN9rocsolver6v33100L18trti2_kernel_smallILi9EfPKPfEEv13rocblas_fill_17rocblas_diagonal_T1_iil
    .private_segment_fixed_size: 0
    .sgpr_count:     18
    .sgpr_spill_count: 0
    .symbol:         _ZN9rocsolver6v33100L18trti2_kernel_smallILi9EfPKPfEEv13rocblas_fill_17rocblas_diagonal_T1_iil.kd
    .uniform_work_group_size: 1
    .uses_dynamic_stack: false
    .vgpr_count:     53
    .vgpr_spill_count: 0
    .wavefront_size: 32
  - .args:
      - .offset:         0
        .size:           4
        .value_kind:     by_value
      - .offset:         4
        .size:           4
        .value_kind:     by_value
      - .address_space:  global
        .offset:         8
        .size:           8
        .value_kind:     global_buffer
      - .offset:         16
        .size:           4
        .value_kind:     by_value
      - .offset:         20
        .size:           4
        .value_kind:     by_value
      - .offset:         24
        .size:           8
        .value_kind:     by_value
    .group_segment_fixed_size: 88
    .kernarg_segment_align: 8
    .kernarg_segment_size: 32
    .language:       OpenCL C
    .language_version:
      - 2
      - 0
    .max_flat_workgroup_size: 64
    .name:           _ZN9rocsolver6v33100L18trti2_kernel_smallILi10EfPKPfEEv13rocblas_fill_17rocblas_diagonal_T1_iil
    .private_segment_fixed_size: 0
    .sgpr_count:     18
    .sgpr_spill_count: 0
    .symbol:         _ZN9rocsolver6v33100L18trti2_kernel_smallILi10EfPKPfEEv13rocblas_fill_17rocblas_diagonal_T1_iil.kd
    .uniform_work_group_size: 1
    .uses_dynamic_stack: false
    .vgpr_count:     57
    .vgpr_spill_count: 0
    .wavefront_size: 32
  - .args:
      - .offset:         0
        .size:           4
        .value_kind:     by_value
      - .offset:         4
        .size:           4
        .value_kind:     by_value
      - .address_space:  global
        .offset:         8
        .size:           8
        .value_kind:     global_buffer
      - .offset:         16
        .size:           4
        .value_kind:     by_value
      - .offset:         20
        .size:           4
        .value_kind:     by_value
      - .offset:         24
        .size:           8
        .value_kind:     by_value
    .group_segment_fixed_size: 92
    .kernarg_segment_align: 8
    .kernarg_segment_size: 32
    .language:       OpenCL C
    .language_version:
      - 2
      - 0
    .max_flat_workgroup_size: 64
    .name:           _ZN9rocsolver6v33100L18trti2_kernel_smallILi11EfPKPfEEv13rocblas_fill_17rocblas_diagonal_T1_iil
    .private_segment_fixed_size: 0
    .sgpr_count:     18
    .sgpr_spill_count: 0
    .symbol:         _ZN9rocsolver6v33100L18trti2_kernel_smallILi11EfPKPfEEv13rocblas_fill_17rocblas_diagonal_T1_iil.kd
    .uniform_work_group_size: 1
    .uses_dynamic_stack: false
    .vgpr_count:     61
    .vgpr_spill_count: 0
    .wavefront_size: 32
  - .args:
      - .offset:         0
        .size:           4
        .value_kind:     by_value
      - .offset:         4
        .size:           4
        .value_kind:     by_value
      - .address_space:  global
        .offset:         8
        .size:           8
        .value_kind:     global_buffer
      - .offset:         16
        .size:           4
        .value_kind:     by_value
      - .offset:         20
        .size:           4
        .value_kind:     by_value
      - .offset:         24
        .size:           8
        .value_kind:     by_value
    .group_segment_fixed_size: 96
    .kernarg_segment_align: 8
    .kernarg_segment_size: 32
    .language:       OpenCL C
    .language_version:
      - 2
      - 0
    .max_flat_workgroup_size: 64
    .name:           _ZN9rocsolver6v33100L18trti2_kernel_smallILi12EfPKPfEEv13rocblas_fill_17rocblas_diagonal_T1_iil
    .private_segment_fixed_size: 0
    .sgpr_count:     19
    .sgpr_spill_count: 0
    .symbol:         _ZN9rocsolver6v33100L18trti2_kernel_smallILi12EfPKPfEEv13rocblas_fill_17rocblas_diagonal_T1_iil.kd
    .uniform_work_group_size: 1
    .uses_dynamic_stack: false
    .vgpr_count:     65
    .vgpr_spill_count: 0
    .wavefront_size: 32
  - .args:
      - .offset:         0
        .size:           4
        .value_kind:     by_value
      - .offset:         4
        .size:           4
        .value_kind:     by_value
      - .address_space:  global
        .offset:         8
        .size:           8
        .value_kind:     global_buffer
      - .offset:         16
        .size:           4
        .value_kind:     by_value
      - .offset:         20
        .size:           4
        .value_kind:     by_value
      - .offset:         24
        .size:           8
        .value_kind:     by_value
    .group_segment_fixed_size: 116
    .kernarg_segment_align: 8
    .kernarg_segment_size: 32
    .language:       OpenCL C
    .language_version:
      - 2
      - 0
    .max_flat_workgroup_size: 64
    .name:           _ZN9rocsolver6v33100L18trti2_kernel_smallILi13EfPKPfEEv13rocblas_fill_17rocblas_diagonal_T1_iil
    .private_segment_fixed_size: 0
    .sgpr_count:     22
    .sgpr_spill_count: 0
    .symbol:         _ZN9rocsolver6v33100L18trti2_kernel_smallILi13EfPKPfEEv13rocblas_fill_17rocblas_diagonal_T1_iil.kd
    .uniform_work_group_size: 1
    .uses_dynamic_stack: false
    .vgpr_count:     75
    .vgpr_spill_count: 0
    .wavefront_size: 32
  - .args:
      - .offset:         0
        .size:           4
        .value_kind:     by_value
      - .offset:         4
        .size:           4
        .value_kind:     by_value
      - .address_space:  global
        .offset:         8
        .size:           8
        .value_kind:     global_buffer
      - .offset:         16
        .size:           4
        .value_kind:     by_value
      - .offset:         20
        .size:           4
        .value_kind:     by_value
      - .offset:         24
        .size:           8
        .value_kind:     by_value
    .group_segment_fixed_size: 120
    .kernarg_segment_align: 8
    .kernarg_segment_size: 32
    .language:       OpenCL C
    .language_version:
      - 2
      - 0
    .max_flat_workgroup_size: 64
    .name:           _ZN9rocsolver6v33100L18trti2_kernel_smallILi14EfPKPfEEv13rocblas_fill_17rocblas_diagonal_T1_iil
    .private_segment_fixed_size: 0
    .sgpr_count:     22
    .sgpr_spill_count: 0
    .symbol:         _ZN9rocsolver6v33100L18trti2_kernel_smallILi14EfPKPfEEv13rocblas_fill_17rocblas_diagonal_T1_iil.kd
    .uniform_work_group_size: 1
    .uses_dynamic_stack: false
    .vgpr_count:     77
    .vgpr_spill_count: 0
    .wavefront_size: 32
  - .args:
      - .offset:         0
        .size:           4
        .value_kind:     by_value
      - .offset:         4
        .size:           4
        .value_kind:     by_value
      - .address_space:  global
        .offset:         8
        .size:           8
        .value_kind:     global_buffer
      - .offset:         16
        .size:           4
        .value_kind:     by_value
      - .offset:         20
        .size:           4
        .value_kind:     by_value
      - .offset:         24
        .size:           8
        .value_kind:     by_value
    .group_segment_fixed_size: 124
    .kernarg_segment_align: 8
    .kernarg_segment_size: 32
    .language:       OpenCL C
    .language_version:
      - 2
      - 0
    .max_flat_workgroup_size: 64
    .name:           _ZN9rocsolver6v33100L18trti2_kernel_smallILi15EfPKPfEEv13rocblas_fill_17rocblas_diagonal_T1_iil
    .private_segment_fixed_size: 0
    .sgpr_count:     22
    .sgpr_spill_count: 0
    .symbol:         _ZN9rocsolver6v33100L18trti2_kernel_smallILi15EfPKPfEEv13rocblas_fill_17rocblas_diagonal_T1_iil.kd
    .uniform_work_group_size: 1
    .uses_dynamic_stack: false
    .vgpr_count:     79
    .vgpr_spill_count: 0
    .wavefront_size: 32
  - .args:
      - .offset:         0
        .size:           4
        .value_kind:     by_value
      - .offset:         4
        .size:           4
        .value_kind:     by_value
      - .address_space:  global
        .offset:         8
        .size:           8
        .value_kind:     global_buffer
      - .offset:         16
        .size:           4
        .value_kind:     by_value
      - .offset:         20
        .size:           4
        .value_kind:     by_value
      - .offset:         24
        .size:           8
        .value_kind:     by_value
    .group_segment_fixed_size: 128
    .kernarg_segment_align: 8
    .kernarg_segment_size: 32
    .language:       OpenCL C
    .language_version:
      - 2
      - 0
    .max_flat_workgroup_size: 64
    .name:           _ZN9rocsolver6v33100L18trti2_kernel_smallILi16EfPKPfEEv13rocblas_fill_17rocblas_diagonal_T1_iil
    .private_segment_fixed_size: 0
    .sgpr_count:     23
    .sgpr_spill_count: 0
    .symbol:         _ZN9rocsolver6v33100L18trti2_kernel_smallILi16EfPKPfEEv13rocblas_fill_17rocblas_diagonal_T1_iil.kd
    .uniform_work_group_size: 1
    .uses_dynamic_stack: false
    .vgpr_count:     81
    .vgpr_spill_count: 0
    .wavefront_size: 32
  - .args:
      - .offset:         0
        .size:           4
        .value_kind:     by_value
      - .offset:         4
        .size:           4
        .value_kind:     by_value
      - .address_space:  global
        .offset:         8
        .size:           8
        .value_kind:     global_buffer
      - .offset:         16
        .size:           4
        .value_kind:     by_value
      - .offset:         20
        .size:           4
        .value_kind:     by_value
      - .offset:         24
        .size:           8
        .value_kind:     by_value
    .group_segment_fixed_size: 148
    .kernarg_segment_align: 8
    .kernarg_segment_size: 32
    .language:       OpenCL C
    .language_version:
      - 2
      - 0
    .max_flat_workgroup_size: 64
    .name:           _ZN9rocsolver6v33100L18trti2_kernel_smallILi17EfPKPfEEv13rocblas_fill_17rocblas_diagonal_T1_iil
    .private_segment_fixed_size: 0
    .sgpr_count:     26
    .sgpr_spill_count: 0
    .symbol:         _ZN9rocsolver6v33100L18trti2_kernel_smallILi17EfPKPfEEv13rocblas_fill_17rocblas_diagonal_T1_iil.kd
    .uniform_work_group_size: 1
    .uses_dynamic_stack: false
    .vgpr_count:     115
    .vgpr_spill_count: 0
    .wavefront_size: 32
  - .args:
      - .offset:         0
        .size:           4
        .value_kind:     by_value
      - .offset:         4
        .size:           4
        .value_kind:     by_value
      - .address_space:  global
        .offset:         8
        .size:           8
        .value_kind:     global_buffer
      - .offset:         16
        .size:           4
        .value_kind:     by_value
      - .offset:         20
        .size:           4
        .value_kind:     by_value
      - .offset:         24
        .size:           8
        .value_kind:     by_value
    .group_segment_fixed_size: 152
    .kernarg_segment_align: 8
    .kernarg_segment_size: 32
    .language:       OpenCL C
    .language_version:
      - 2
      - 0
    .max_flat_workgroup_size: 64
    .name:           _ZN9rocsolver6v33100L18trti2_kernel_smallILi18EfPKPfEEv13rocblas_fill_17rocblas_diagonal_T1_iil
    .private_segment_fixed_size: 0
    .sgpr_count:     26
    .sgpr_spill_count: 0
    .symbol:         _ZN9rocsolver6v33100L18trti2_kernel_smallILi18EfPKPfEEv13rocblas_fill_17rocblas_diagonal_T1_iil.kd
    .uniform_work_group_size: 1
    .uses_dynamic_stack: false
    .vgpr_count:     117
    .vgpr_spill_count: 0
    .wavefront_size: 32
  - .args:
      - .offset:         0
        .size:           4
        .value_kind:     by_value
      - .offset:         4
        .size:           4
        .value_kind:     by_value
      - .address_space:  global
        .offset:         8
        .size:           8
        .value_kind:     global_buffer
      - .offset:         16
        .size:           4
        .value_kind:     by_value
      - .offset:         20
        .size:           4
        .value_kind:     by_value
      - .offset:         24
        .size:           8
        .value_kind:     by_value
    .group_segment_fixed_size: 156
    .kernarg_segment_align: 8
    .kernarg_segment_size: 32
    .language:       OpenCL C
    .language_version:
      - 2
      - 0
    .max_flat_workgroup_size: 64
    .name:           _ZN9rocsolver6v33100L18trti2_kernel_smallILi19EfPKPfEEv13rocblas_fill_17rocblas_diagonal_T1_iil
    .private_segment_fixed_size: 0
    .sgpr_count:     26
    .sgpr_spill_count: 0
    .symbol:         _ZN9rocsolver6v33100L18trti2_kernel_smallILi19EfPKPfEEv13rocblas_fill_17rocblas_diagonal_T1_iil.kd
    .uniform_work_group_size: 1
    .uses_dynamic_stack: false
    .vgpr_count:     119
    .vgpr_spill_count: 0
    .wavefront_size: 32
  - .args:
      - .offset:         0
        .size:           4
        .value_kind:     by_value
      - .offset:         4
        .size:           4
        .value_kind:     by_value
      - .address_space:  global
        .offset:         8
        .size:           8
        .value_kind:     global_buffer
      - .offset:         16
        .size:           4
        .value_kind:     by_value
      - .offset:         20
        .size:           4
        .value_kind:     by_value
      - .offset:         24
        .size:           8
        .value_kind:     by_value
    .group_segment_fixed_size: 160
    .kernarg_segment_align: 8
    .kernarg_segment_size: 32
    .language:       OpenCL C
    .language_version:
      - 2
      - 0
    .max_flat_workgroup_size: 64
    .name:           _ZN9rocsolver6v33100L18trti2_kernel_smallILi20EfPKPfEEv13rocblas_fill_17rocblas_diagonal_T1_iil
    .private_segment_fixed_size: 0
    .sgpr_count:     27
    .sgpr_spill_count: 0
    .symbol:         _ZN9rocsolver6v33100L18trti2_kernel_smallILi20EfPKPfEEv13rocblas_fill_17rocblas_diagonal_T1_iil.kd
    .uniform_work_group_size: 1
    .uses_dynamic_stack: false
    .vgpr_count:     121
    .vgpr_spill_count: 0
    .wavefront_size: 32
  - .args:
      - .offset:         0
        .size:           4
        .value_kind:     by_value
      - .offset:         4
        .size:           4
        .value_kind:     by_value
      - .address_space:  global
        .offset:         8
        .size:           8
        .value_kind:     global_buffer
      - .offset:         16
        .size:           4
        .value_kind:     by_value
      - .offset:         20
        .size:           4
        .value_kind:     by_value
      - .offset:         24
        .size:           8
        .value_kind:     by_value
    .group_segment_fixed_size: 180
    .kernarg_segment_align: 8
    .kernarg_segment_size: 32
    .language:       OpenCL C
    .language_version:
      - 2
      - 0
    .max_flat_workgroup_size: 64
    .name:           _ZN9rocsolver6v33100L18trti2_kernel_smallILi21EfPKPfEEv13rocblas_fill_17rocblas_diagonal_T1_iil
    .private_segment_fixed_size: 0
    .sgpr_count:     30
    .sgpr_spill_count: 0
    .symbol:         _ZN9rocsolver6v33100L18trti2_kernel_smallILi21EfPKPfEEv13rocblas_fill_17rocblas_diagonal_T1_iil.kd
    .uniform_work_group_size: 1
    .uses_dynamic_stack: false
    .vgpr_count:     123
    .vgpr_spill_count: 0
    .wavefront_size: 32
  - .args:
      - .offset:         0
        .size:           4
        .value_kind:     by_value
      - .offset:         4
        .size:           4
        .value_kind:     by_value
      - .address_space:  global
        .offset:         8
        .size:           8
        .value_kind:     global_buffer
      - .offset:         16
        .size:           4
        .value_kind:     by_value
      - .offset:         20
        .size:           4
        .value_kind:     by_value
      - .offset:         24
        .size:           8
        .value_kind:     by_value
    .group_segment_fixed_size: 184
    .kernarg_segment_align: 8
    .kernarg_segment_size: 32
    .language:       OpenCL C
    .language_version:
      - 2
      - 0
    .max_flat_workgroup_size: 64
    .name:           _ZN9rocsolver6v33100L18trti2_kernel_smallILi22EfPKPfEEv13rocblas_fill_17rocblas_diagonal_T1_iil
    .private_segment_fixed_size: 0
    .sgpr_count:     30
    .sgpr_spill_count: 0
    .symbol:         _ZN9rocsolver6v33100L18trti2_kernel_smallILi22EfPKPfEEv13rocblas_fill_17rocblas_diagonal_T1_iil.kd
    .uniform_work_group_size: 1
    .uses_dynamic_stack: false
    .vgpr_count:     125
    .vgpr_spill_count: 0
    .wavefront_size: 32
  - .args:
      - .offset:         0
        .size:           4
        .value_kind:     by_value
      - .offset:         4
        .size:           4
        .value_kind:     by_value
      - .address_space:  global
        .offset:         8
        .size:           8
        .value_kind:     global_buffer
      - .offset:         16
        .size:           4
        .value_kind:     by_value
      - .offset:         20
        .size:           4
        .value_kind:     by_value
      - .offset:         24
        .size:           8
        .value_kind:     by_value
    .group_segment_fixed_size: 188
    .kernarg_segment_align: 8
    .kernarg_segment_size: 32
    .language:       OpenCL C
    .language_version:
      - 2
      - 0
    .max_flat_workgroup_size: 64
    .name:           _ZN9rocsolver6v33100L18trti2_kernel_smallILi23EfPKPfEEv13rocblas_fill_17rocblas_diagonal_T1_iil
    .private_segment_fixed_size: 0
    .sgpr_count:     30
    .sgpr_spill_count: 0
    .symbol:         _ZN9rocsolver6v33100L18trti2_kernel_smallILi23EfPKPfEEv13rocblas_fill_17rocblas_diagonal_T1_iil.kd
    .uniform_work_group_size: 1
    .uses_dynamic_stack: false
    .vgpr_count:     127
    .vgpr_spill_count: 0
    .wavefront_size: 32
  - .args:
      - .offset:         0
        .size:           4
        .value_kind:     by_value
      - .offset:         4
        .size:           4
        .value_kind:     by_value
      - .address_space:  global
        .offset:         8
        .size:           8
        .value_kind:     global_buffer
      - .offset:         16
        .size:           4
        .value_kind:     by_value
      - .offset:         20
        .size:           4
        .value_kind:     by_value
      - .offset:         24
        .size:           8
        .value_kind:     by_value
    .group_segment_fixed_size: 192
    .kernarg_segment_align: 8
    .kernarg_segment_size: 32
    .language:       OpenCL C
    .language_version:
      - 2
      - 0
    .max_flat_workgroup_size: 64
    .name:           _ZN9rocsolver6v33100L18trti2_kernel_smallILi24EfPKPfEEv13rocblas_fill_17rocblas_diagonal_T1_iil
    .private_segment_fixed_size: 0
    .sgpr_count:     31
    .sgpr_spill_count: 0
    .symbol:         _ZN9rocsolver6v33100L18trti2_kernel_smallILi24EfPKPfEEv13rocblas_fill_17rocblas_diagonal_T1_iil.kd
    .uniform_work_group_size: 1
    .uses_dynamic_stack: false
    .vgpr_count:     129
    .vgpr_spill_count: 0
    .wavefront_size: 32
  - .args:
      - .offset:         0
        .size:           4
        .value_kind:     by_value
      - .offset:         4
        .size:           4
        .value_kind:     by_value
      - .address_space:  global
        .offset:         8
        .size:           8
        .value_kind:     global_buffer
      - .offset:         16
        .size:           4
        .value_kind:     by_value
      - .offset:         20
        .size:           4
        .value_kind:     by_value
      - .offset:         24
        .size:           8
        .value_kind:     by_value
    .group_segment_fixed_size: 212
    .kernarg_segment_align: 8
    .kernarg_segment_size: 32
    .language:       OpenCL C
    .language_version:
      - 2
      - 0
    .max_flat_workgroup_size: 64
    .name:           _ZN9rocsolver6v33100L18trti2_kernel_smallILi25EfPKPfEEv13rocblas_fill_17rocblas_diagonal_T1_iil
    .private_segment_fixed_size: 0
    .sgpr_count:     34
    .sgpr_spill_count: 0
    .symbol:         _ZN9rocsolver6v33100L18trti2_kernel_smallILi25EfPKPfEEv13rocblas_fill_17rocblas_diagonal_T1_iil.kd
    .uniform_work_group_size: 1
    .uses_dynamic_stack: false
    .vgpr_count:     131
    .vgpr_spill_count: 0
    .wavefront_size: 32
  - .args:
      - .offset:         0
        .size:           4
        .value_kind:     by_value
      - .offset:         4
        .size:           4
        .value_kind:     by_value
      - .address_space:  global
        .offset:         8
        .size:           8
        .value_kind:     global_buffer
      - .offset:         16
        .size:           4
        .value_kind:     by_value
      - .offset:         20
        .size:           4
        .value_kind:     by_value
      - .offset:         24
        .size:           8
        .value_kind:     by_value
    .group_segment_fixed_size: 216
    .kernarg_segment_align: 8
    .kernarg_segment_size: 32
    .language:       OpenCL C
    .language_version:
      - 2
      - 0
    .max_flat_workgroup_size: 64
    .name:           _ZN9rocsolver6v33100L18trti2_kernel_smallILi26EfPKPfEEv13rocblas_fill_17rocblas_diagonal_T1_iil
    .private_segment_fixed_size: 0
    .sgpr_count:     34
    .sgpr_spill_count: 0
    .symbol:         _ZN9rocsolver6v33100L18trti2_kernel_smallILi26EfPKPfEEv13rocblas_fill_17rocblas_diagonal_T1_iil.kd
    .uniform_work_group_size: 1
    .uses_dynamic_stack: false
    .vgpr_count:     133
    .vgpr_spill_count: 0
    .wavefront_size: 32
  - .args:
      - .offset:         0
        .size:           4
        .value_kind:     by_value
      - .offset:         4
        .size:           4
        .value_kind:     by_value
      - .address_space:  global
        .offset:         8
        .size:           8
        .value_kind:     global_buffer
      - .offset:         16
        .size:           4
        .value_kind:     by_value
      - .offset:         20
        .size:           4
        .value_kind:     by_value
      - .offset:         24
        .size:           8
        .value_kind:     by_value
    .group_segment_fixed_size: 220
    .kernarg_segment_align: 8
    .kernarg_segment_size: 32
    .language:       OpenCL C
    .language_version:
      - 2
      - 0
    .max_flat_workgroup_size: 64
    .name:           _ZN9rocsolver6v33100L18trti2_kernel_smallILi27EfPKPfEEv13rocblas_fill_17rocblas_diagonal_T1_iil
    .private_segment_fixed_size: 0
    .sgpr_count:     34
    .sgpr_spill_count: 0
    .symbol:         _ZN9rocsolver6v33100L18trti2_kernel_smallILi27EfPKPfEEv13rocblas_fill_17rocblas_diagonal_T1_iil.kd
    .uniform_work_group_size: 1
    .uses_dynamic_stack: false
    .vgpr_count:     135
    .vgpr_spill_count: 0
    .wavefront_size: 32
  - .args:
      - .offset:         0
        .size:           4
        .value_kind:     by_value
      - .offset:         4
        .size:           4
        .value_kind:     by_value
      - .address_space:  global
        .offset:         8
        .size:           8
        .value_kind:     global_buffer
      - .offset:         16
        .size:           4
        .value_kind:     by_value
      - .offset:         20
        .size:           4
        .value_kind:     by_value
      - .offset:         24
        .size:           8
        .value_kind:     by_value
    .group_segment_fixed_size: 224
    .kernarg_segment_align: 8
    .kernarg_segment_size: 32
    .language:       OpenCL C
    .language_version:
      - 2
      - 0
    .max_flat_workgroup_size: 64
    .name:           _ZN9rocsolver6v33100L18trti2_kernel_smallILi28EfPKPfEEv13rocblas_fill_17rocblas_diagonal_T1_iil
    .private_segment_fixed_size: 0
    .sgpr_count:     36
    .sgpr_spill_count: 0
    .symbol:         _ZN9rocsolver6v33100L18trti2_kernel_smallILi28EfPKPfEEv13rocblas_fill_17rocblas_diagonal_T1_iil.kd
    .uniform_work_group_size: 1
    .uses_dynamic_stack: false
    .vgpr_count:     137
    .vgpr_spill_count: 0
    .wavefront_size: 32
  - .args:
      - .offset:         0
        .size:           4
        .value_kind:     by_value
      - .offset:         4
        .size:           4
        .value_kind:     by_value
      - .address_space:  global
        .offset:         8
        .size:           8
        .value_kind:     global_buffer
      - .offset:         16
        .size:           4
        .value_kind:     by_value
      - .offset:         20
        .size:           4
        .value_kind:     by_value
      - .offset:         24
        .size:           8
        .value_kind:     by_value
    .group_segment_fixed_size: 244
    .kernarg_segment_align: 8
    .kernarg_segment_size: 32
    .language:       OpenCL C
    .language_version:
      - 2
      - 0
    .max_flat_workgroup_size: 64
    .name:           _ZN9rocsolver6v33100L18trti2_kernel_smallILi29EfPKPfEEv13rocblas_fill_17rocblas_diagonal_T1_iil
    .private_segment_fixed_size: 0
    .sgpr_count:     42
    .sgpr_spill_count: 0
    .symbol:         _ZN9rocsolver6v33100L18trti2_kernel_smallILi29EfPKPfEEv13rocblas_fill_17rocblas_diagonal_T1_iil.kd
    .uniform_work_group_size: 1
    .uses_dynamic_stack: false
    .vgpr_count:     139
    .vgpr_spill_count: 0
    .wavefront_size: 32
  - .args:
      - .offset:         0
        .size:           4
        .value_kind:     by_value
      - .offset:         4
        .size:           4
        .value_kind:     by_value
      - .address_space:  global
        .offset:         8
        .size:           8
        .value_kind:     global_buffer
      - .offset:         16
        .size:           4
        .value_kind:     by_value
      - .offset:         20
        .size:           4
        .value_kind:     by_value
      - .offset:         24
        .size:           8
        .value_kind:     by_value
    .group_segment_fixed_size: 248
    .kernarg_segment_align: 8
    .kernarg_segment_size: 32
    .language:       OpenCL C
    .language_version:
      - 2
      - 0
    .max_flat_workgroup_size: 64
    .name:           _ZN9rocsolver6v33100L18trti2_kernel_smallILi30EfPKPfEEv13rocblas_fill_17rocblas_diagonal_T1_iil
    .private_segment_fixed_size: 0
    .sgpr_count:     42
    .sgpr_spill_count: 0
    .symbol:         _ZN9rocsolver6v33100L18trti2_kernel_smallILi30EfPKPfEEv13rocblas_fill_17rocblas_diagonal_T1_iil.kd
    .uniform_work_group_size: 1
    .uses_dynamic_stack: false
    .vgpr_count:     141
    .vgpr_spill_count: 0
    .wavefront_size: 32
  - .args:
      - .offset:         0
        .size:           4
        .value_kind:     by_value
      - .offset:         4
        .size:           4
        .value_kind:     by_value
      - .address_space:  global
        .offset:         8
        .size:           8
        .value_kind:     global_buffer
      - .offset:         16
        .size:           4
        .value_kind:     by_value
      - .offset:         20
        .size:           4
        .value_kind:     by_value
      - .offset:         24
        .size:           8
        .value_kind:     by_value
    .group_segment_fixed_size: 252
    .kernarg_segment_align: 8
    .kernarg_segment_size: 32
    .language:       OpenCL C
    .language_version:
      - 2
      - 0
    .max_flat_workgroup_size: 64
    .name:           _ZN9rocsolver6v33100L18trti2_kernel_smallILi31EfPKPfEEv13rocblas_fill_17rocblas_diagonal_T1_iil
    .private_segment_fixed_size: 0
    .sgpr_count:     42
    .sgpr_spill_count: 0
    .symbol:         _ZN9rocsolver6v33100L18trti2_kernel_smallILi31EfPKPfEEv13rocblas_fill_17rocblas_diagonal_T1_iil.kd
    .uniform_work_group_size: 1
    .uses_dynamic_stack: false
    .vgpr_count:     143
    .vgpr_spill_count: 0
    .wavefront_size: 32
  - .args:
      - .offset:         0
        .size:           4
        .value_kind:     by_value
      - .offset:         4
        .size:           4
        .value_kind:     by_value
      - .address_space:  global
        .offset:         8
        .size:           8
        .value_kind:     global_buffer
      - .offset:         16
        .size:           4
        .value_kind:     by_value
      - .offset:         20
        .size:           4
        .value_kind:     by_value
      - .offset:         24
        .size:           8
        .value_kind:     by_value
    .group_segment_fixed_size: 256
    .kernarg_segment_align: 8
    .kernarg_segment_size: 32
    .language:       OpenCL C
    .language_version:
      - 2
      - 0
    .max_flat_workgroup_size: 64
    .name:           _ZN9rocsolver6v33100L18trti2_kernel_smallILi32EfPKPfEEv13rocblas_fill_17rocblas_diagonal_T1_iil
    .private_segment_fixed_size: 0
    .sgpr_count:     42
    .sgpr_spill_count: 0
    .symbol:         _ZN9rocsolver6v33100L18trti2_kernel_smallILi32EfPKPfEEv13rocblas_fill_17rocblas_diagonal_T1_iil.kd
    .uniform_work_group_size: 1
    .uses_dynamic_stack: false
    .vgpr_count:     145
    .vgpr_spill_count: 0
    .wavefront_size: 32
  - .args:
      - .offset:         0
        .size:           4
        .value_kind:     by_value
      - .offset:         4
        .size:           4
        .value_kind:     by_value
      - .address_space:  global
        .offset:         8
        .size:           8
        .value_kind:     global_buffer
      - .offset:         16
        .size:           4
        .value_kind:     by_value
      - .offset:         20
        .size:           4
        .value_kind:     by_value
      - .offset:         24
        .size:           8
        .value_kind:     by_value
    .group_segment_fixed_size: 8736
    .kernarg_segment_align: 8
    .kernarg_segment_size: 32
    .language:       OpenCL C
    .language_version:
      - 2
      - 0
    .max_flat_workgroup_size: 64
    .name:           _ZN9rocsolver6v33100L18trti2_kernel_smallILi33EfPKPfEEv13rocblas_fill_17rocblas_diagonal_T1_iil
    .private_segment_fixed_size: 0
    .sgpr_count:     14
    .sgpr_spill_count: 0
    .symbol:         _ZN9rocsolver6v33100L18trti2_kernel_smallILi33EfPKPfEEv13rocblas_fill_17rocblas_diagonal_T1_iil.kd
    .uniform_work_group_size: 1
    .uses_dynamic_stack: false
    .vgpr_count:     102
    .vgpr_spill_count: 0
    .wavefront_size: 32
  - .args:
      - .offset:         0
        .size:           4
        .value_kind:     by_value
      - .offset:         4
        .size:           4
        .value_kind:     by_value
      - .address_space:  global
        .offset:         8
        .size:           8
        .value_kind:     global_buffer
      - .offset:         16
        .size:           4
        .value_kind:     by_value
      - .offset:         20
        .size:           4
        .value_kind:     by_value
      - .offset:         24
        .size:           8
        .value_kind:     by_value
    .group_segment_fixed_size: 8992
    .kernarg_segment_align: 8
    .kernarg_segment_size: 32
    .language:       OpenCL C
    .language_version:
      - 2
      - 0
    .max_flat_workgroup_size: 64
    .name:           _ZN9rocsolver6v33100L18trti2_kernel_smallILi34EfPKPfEEv13rocblas_fill_17rocblas_diagonal_T1_iil
    .private_segment_fixed_size: 0
    .sgpr_count:     14
    .sgpr_spill_count: 0
    .symbol:         _ZN9rocsolver6v33100L18trti2_kernel_smallILi34EfPKPfEEv13rocblas_fill_17rocblas_diagonal_T1_iil.kd
    .uniform_work_group_size: 1
    .uses_dynamic_stack: false
    .vgpr_count:     106
    .vgpr_spill_count: 0
    .wavefront_size: 32
  - .args:
      - .offset:         0
        .size:           4
        .value_kind:     by_value
      - .offset:         4
        .size:           4
        .value_kind:     by_value
      - .address_space:  global
        .offset:         8
        .size:           8
        .value_kind:     global_buffer
      - .offset:         16
        .size:           4
        .value_kind:     by_value
      - .offset:         20
        .size:           4
        .value_kind:     by_value
      - .offset:         24
        .size:           8
        .value_kind:     by_value
    .group_segment_fixed_size: 9248
    .kernarg_segment_align: 8
    .kernarg_segment_size: 32
    .language:       OpenCL C
    .language_version:
      - 2
      - 0
    .max_flat_workgroup_size: 64
    .name:           _ZN9rocsolver6v33100L18trti2_kernel_smallILi35EfPKPfEEv13rocblas_fill_17rocblas_diagonal_T1_iil
    .private_segment_fixed_size: 0
    .sgpr_count:     14
    .sgpr_spill_count: 0
    .symbol:         _ZN9rocsolver6v33100L18trti2_kernel_smallILi35EfPKPfEEv13rocblas_fill_17rocblas_diagonal_T1_iil.kd
    .uniform_work_group_size: 1
    .uses_dynamic_stack: false
    .vgpr_count:     108
    .vgpr_spill_count: 0
    .wavefront_size: 32
  - .args:
      - .offset:         0
        .size:           4
        .value_kind:     by_value
      - .offset:         4
        .size:           4
        .value_kind:     by_value
      - .address_space:  global
        .offset:         8
        .size:           8
        .value_kind:     global_buffer
      - .offset:         16
        .size:           4
        .value_kind:     by_value
      - .offset:         20
        .size:           4
        .value_kind:     by_value
      - .offset:         24
        .size:           8
        .value_kind:     by_value
    .group_segment_fixed_size: 9504
    .kernarg_segment_align: 8
    .kernarg_segment_size: 32
    .language:       OpenCL C
    .language_version:
      - 2
      - 0
    .max_flat_workgroup_size: 64
    .name:           _ZN9rocsolver6v33100L18trti2_kernel_smallILi36EfPKPfEEv13rocblas_fill_17rocblas_diagonal_T1_iil
    .private_segment_fixed_size: 0
    .sgpr_count:     14
    .sgpr_spill_count: 0
    .symbol:         _ZN9rocsolver6v33100L18trti2_kernel_smallILi36EfPKPfEEv13rocblas_fill_17rocblas_diagonal_T1_iil.kd
    .uniform_work_group_size: 1
    .uses_dynamic_stack: false
    .vgpr_count:     112
    .vgpr_spill_count: 0
    .wavefront_size: 32
  - .args:
      - .offset:         0
        .size:           4
        .value_kind:     by_value
      - .offset:         4
        .size:           4
        .value_kind:     by_value
      - .address_space:  global
        .offset:         8
        .size:           8
        .value_kind:     global_buffer
      - .offset:         16
        .size:           4
        .value_kind:     by_value
      - .offset:         20
        .size:           4
        .value_kind:     by_value
      - .offset:         24
        .size:           8
        .value_kind:     by_value
    .group_segment_fixed_size: 9792
    .kernarg_segment_align: 8
    .kernarg_segment_size: 32
    .language:       OpenCL C
    .language_version:
      - 2
      - 0
    .max_flat_workgroup_size: 64
    .name:           _ZN9rocsolver6v33100L18trti2_kernel_smallILi37EfPKPfEEv13rocblas_fill_17rocblas_diagonal_T1_iil
    .private_segment_fixed_size: 0
    .sgpr_count:     14
    .sgpr_spill_count: 0
    .symbol:         _ZN9rocsolver6v33100L18trti2_kernel_smallILi37EfPKPfEEv13rocblas_fill_17rocblas_diagonal_T1_iil.kd
    .uniform_work_group_size: 1
    .uses_dynamic_stack: false
    .vgpr_count:     114
    .vgpr_spill_count: 0
    .wavefront_size: 32
  - .args:
      - .offset:         0
        .size:           4
        .value_kind:     by_value
      - .offset:         4
        .size:           4
        .value_kind:     by_value
      - .address_space:  global
        .offset:         8
        .size:           8
        .value_kind:     global_buffer
      - .offset:         16
        .size:           4
        .value_kind:     by_value
      - .offset:         20
        .size:           4
        .value_kind:     by_value
      - .offset:         24
        .size:           8
        .value_kind:     by_value
    .group_segment_fixed_size: 10048
    .kernarg_segment_align: 8
    .kernarg_segment_size: 32
    .language:       OpenCL C
    .language_version:
      - 2
      - 0
    .max_flat_workgroup_size: 64
    .name:           _ZN9rocsolver6v33100L18trti2_kernel_smallILi38EfPKPfEEv13rocblas_fill_17rocblas_diagonal_T1_iil
    .private_segment_fixed_size: 0
    .sgpr_count:     14
    .sgpr_spill_count: 0
    .symbol:         _ZN9rocsolver6v33100L18trti2_kernel_smallILi38EfPKPfEEv13rocblas_fill_17rocblas_diagonal_T1_iil.kd
    .uniform_work_group_size: 1
    .uses_dynamic_stack: false
    .vgpr_count:     118
    .vgpr_spill_count: 0
    .wavefront_size: 32
  - .args:
      - .offset:         0
        .size:           4
        .value_kind:     by_value
      - .offset:         4
        .size:           4
        .value_kind:     by_value
      - .address_space:  global
        .offset:         8
        .size:           8
        .value_kind:     global_buffer
      - .offset:         16
        .size:           4
        .value_kind:     by_value
      - .offset:         20
        .size:           4
        .value_kind:     by_value
      - .offset:         24
        .size:           8
        .value_kind:     by_value
    .group_segment_fixed_size: 316
    .kernarg_segment_align: 8
    .kernarg_segment_size: 32
    .language:       OpenCL C
    .language_version:
      - 2
      - 0
    .max_flat_workgroup_size: 64
    .name:           _ZN9rocsolver6v33100L18trti2_kernel_smallILi39EfPKPfEEv13rocblas_fill_17rocblas_diagonal_T1_iil
    .private_segment_fixed_size: 160
    .sgpr_count:     47
    .sgpr_spill_count: 0
    .symbol:         _ZN9rocsolver6v33100L18trti2_kernel_smallILi39EfPKPfEEv13rocblas_fill_17rocblas_diagonal_T1_iil.kd
    .uniform_work_group_size: 1
    .uses_dynamic_stack: false
    .vgpr_count:     118
    .vgpr_spill_count: 0
    .wavefront_size: 32
  - .args:
      - .offset:         0
        .size:           4
        .value_kind:     by_value
      - .offset:         4
        .size:           4
        .value_kind:     by_value
      - .address_space:  global
        .offset:         8
        .size:           8
        .value_kind:     global_buffer
      - .offset:         16
        .size:           4
        .value_kind:     by_value
      - .offset:         20
        .size:           4
        .value_kind:     by_value
      - .offset:         24
        .size:           8
        .value_kind:     by_value
    .group_segment_fixed_size: 320
    .kernarg_segment_align: 8
    .kernarg_segment_size: 32
    .language:       OpenCL C
    .language_version:
      - 2
      - 0
    .max_flat_workgroup_size: 64
    .name:           _ZN9rocsolver6v33100L18trti2_kernel_smallILi40EfPKPfEEv13rocblas_fill_17rocblas_diagonal_T1_iil
    .private_segment_fixed_size: 176
    .sgpr_count:     48
    .sgpr_spill_count: 0
    .symbol:         _ZN9rocsolver6v33100L18trti2_kernel_smallILi40EfPKPfEEv13rocblas_fill_17rocblas_diagonal_T1_iil.kd
    .uniform_work_group_size: 1
    .uses_dynamic_stack: false
    .vgpr_count:     122
    .vgpr_spill_count: 0
    .wavefront_size: 32
  - .args:
      - .offset:         0
        .size:           4
        .value_kind:     by_value
      - .offset:         4
        .size:           4
        .value_kind:     by_value
      - .address_space:  global
        .offset:         8
        .size:           8
        .value_kind:     global_buffer
      - .offset:         16
        .size:           4
        .value_kind:     by_value
      - .offset:         20
        .size:           4
        .value_kind:     by_value
      - .offset:         24
        .size:           8
        .value_kind:     by_value
    .group_segment_fixed_size: 340
    .kernarg_segment_align: 8
    .kernarg_segment_size: 32
    .language:       OpenCL C
    .language_version:
      - 2
      - 0
    .max_flat_workgroup_size: 64
    .name:           _ZN9rocsolver6v33100L18trti2_kernel_smallILi41EfPKPfEEv13rocblas_fill_17rocblas_diagonal_T1_iil
    .private_segment_fixed_size: 176
    .sgpr_count:     49
    .sgpr_spill_count: 0
    .symbol:         _ZN9rocsolver6v33100L18trti2_kernel_smallILi41EfPKPfEEv13rocblas_fill_17rocblas_diagonal_T1_iil.kd
    .uniform_work_group_size: 1
    .uses_dynamic_stack: false
    .vgpr_count:     124
    .vgpr_spill_count: 0
    .wavefront_size: 32
  - .args:
      - .offset:         0
        .size:           4
        .value_kind:     by_value
      - .offset:         4
        .size:           4
        .value_kind:     by_value
      - .address_space:  global
        .offset:         8
        .size:           8
        .value_kind:     global_buffer
      - .offset:         16
        .size:           4
        .value_kind:     by_value
      - .offset:         20
        .size:           4
        .value_kind:     by_value
      - .offset:         24
        .size:           8
        .value_kind:     by_value
    .group_segment_fixed_size: 344
    .kernarg_segment_align: 8
    .kernarg_segment_size: 32
    .language:       OpenCL C
    .language_version:
      - 2
      - 0
    .max_flat_workgroup_size: 64
    .name:           _ZN9rocsolver6v33100L18trti2_kernel_smallILi42EfPKPfEEv13rocblas_fill_17rocblas_diagonal_T1_iil
    .private_segment_fixed_size: 176
    .sgpr_count:     50
    .sgpr_spill_count: 0
    .symbol:         _ZN9rocsolver6v33100L18trti2_kernel_smallILi42EfPKPfEEv13rocblas_fill_17rocblas_diagonal_T1_iil.kd
    .uniform_work_group_size: 1
    .uses_dynamic_stack: false
    .vgpr_count:     128
    .vgpr_spill_count: 0
    .wavefront_size: 32
  - .args:
      - .offset:         0
        .size:           4
        .value_kind:     by_value
      - .offset:         4
        .size:           4
        .value_kind:     by_value
      - .address_space:  global
        .offset:         8
        .size:           8
        .value_kind:     global_buffer
      - .offset:         16
        .size:           4
        .value_kind:     by_value
      - .offset:         20
        .size:           4
        .value_kind:     by_value
      - .offset:         24
        .size:           8
        .value_kind:     by_value
    .group_segment_fixed_size: 348
    .kernarg_segment_align: 8
    .kernarg_segment_size: 32
    .language:       OpenCL C
    .language_version:
      - 2
      - 0
    .max_flat_workgroup_size: 64
    .name:           _ZN9rocsolver6v33100L18trti2_kernel_smallILi43EfPKPfEEv13rocblas_fill_17rocblas_diagonal_T1_iil
    .private_segment_fixed_size: 176
    .sgpr_count:     51
    .sgpr_spill_count: 0
    .symbol:         _ZN9rocsolver6v33100L18trti2_kernel_smallILi43EfPKPfEEv13rocblas_fill_17rocblas_diagonal_T1_iil.kd
    .uniform_work_group_size: 1
    .uses_dynamic_stack: false
    .vgpr_count:     130
    .vgpr_spill_count: 0
    .wavefront_size: 32
  - .args:
      - .offset:         0
        .size:           4
        .value_kind:     by_value
      - .offset:         4
        .size:           4
        .value_kind:     by_value
      - .address_space:  global
        .offset:         8
        .size:           8
        .value_kind:     global_buffer
      - .offset:         16
        .size:           4
        .value_kind:     by_value
      - .offset:         20
        .size:           4
        .value_kind:     by_value
      - .offset:         24
        .size:           8
        .value_kind:     by_value
    .group_segment_fixed_size: 352
    .kernarg_segment_align: 8
    .kernarg_segment_size: 32
    .language:       OpenCL C
    .language_version:
      - 2
      - 0
    .max_flat_workgroup_size: 64
    .name:           _ZN9rocsolver6v33100L18trti2_kernel_smallILi44EfPKPfEEv13rocblas_fill_17rocblas_diagonal_T1_iil
    .private_segment_fixed_size: 192
    .sgpr_count:     52
    .sgpr_spill_count: 0
    .symbol:         _ZN9rocsolver6v33100L18trti2_kernel_smallILi44EfPKPfEEv13rocblas_fill_17rocblas_diagonal_T1_iil.kd
    .uniform_work_group_size: 1
    .uses_dynamic_stack: false
    .vgpr_count:     134
    .vgpr_spill_count: 0
    .wavefront_size: 32
  - .args:
      - .offset:         0
        .size:           4
        .value_kind:     by_value
      - .offset:         4
        .size:           4
        .value_kind:     by_value
      - .address_space:  global
        .offset:         8
        .size:           8
        .value_kind:     global_buffer
      - .offset:         16
        .size:           4
        .value_kind:     by_value
      - .offset:         20
        .size:           4
        .value_kind:     by_value
      - .offset:         24
        .size:           8
        .value_kind:     by_value
    .group_segment_fixed_size: 372
    .kernarg_segment_align: 8
    .kernarg_segment_size: 32
    .language:       OpenCL C
    .language_version:
      - 2
      - 0
    .max_flat_workgroup_size: 64
    .name:           _ZN9rocsolver6v33100L18trti2_kernel_smallILi45EfPKPfEEv13rocblas_fill_17rocblas_diagonal_T1_iil
    .private_segment_fixed_size: 192
    .sgpr_count:     53
    .sgpr_spill_count: 0
    .symbol:         _ZN9rocsolver6v33100L18trti2_kernel_smallILi45EfPKPfEEv13rocblas_fill_17rocblas_diagonal_T1_iil.kd
    .uniform_work_group_size: 1
    .uses_dynamic_stack: false
    .vgpr_count:     136
    .vgpr_spill_count: 0
    .wavefront_size: 32
  - .args:
      - .offset:         0
        .size:           4
        .value_kind:     by_value
      - .offset:         4
        .size:           4
        .value_kind:     by_value
      - .address_space:  global
        .offset:         8
        .size:           8
        .value_kind:     global_buffer
      - .offset:         16
        .size:           4
        .value_kind:     by_value
      - .offset:         20
        .size:           4
        .value_kind:     by_value
      - .offset:         24
        .size:           8
        .value_kind:     by_value
    .group_segment_fixed_size: 376
    .kernarg_segment_align: 8
    .kernarg_segment_size: 32
    .language:       OpenCL C
    .language_version:
      - 2
      - 0
    .max_flat_workgroup_size: 64
    .name:           _ZN9rocsolver6v33100L18trti2_kernel_smallILi46EfPKPfEEv13rocblas_fill_17rocblas_diagonal_T1_iil
    .private_segment_fixed_size: 192
    .sgpr_count:     54
    .sgpr_spill_count: 0
    .symbol:         _ZN9rocsolver6v33100L18trti2_kernel_smallILi46EfPKPfEEv13rocblas_fill_17rocblas_diagonal_T1_iil.kd
    .uniform_work_group_size: 1
    .uses_dynamic_stack: false
    .vgpr_count:     140
    .vgpr_spill_count: 0
    .wavefront_size: 32
  - .args:
      - .offset:         0
        .size:           4
        .value_kind:     by_value
      - .offset:         4
        .size:           4
        .value_kind:     by_value
      - .address_space:  global
        .offset:         8
        .size:           8
        .value_kind:     global_buffer
      - .offset:         16
        .size:           4
        .value_kind:     by_value
      - .offset:         20
        .size:           4
        .value_kind:     by_value
      - .offset:         24
        .size:           8
        .value_kind:     by_value
    .group_segment_fixed_size: 380
    .kernarg_segment_align: 8
    .kernarg_segment_size: 32
    .language:       OpenCL C
    .language_version:
      - 2
      - 0
    .max_flat_workgroup_size: 64
    .name:           _ZN9rocsolver6v33100L18trti2_kernel_smallILi47EfPKPfEEv13rocblas_fill_17rocblas_diagonal_T1_iil
    .private_segment_fixed_size: 192
    .sgpr_count:     55
    .sgpr_spill_count: 0
    .symbol:         _ZN9rocsolver6v33100L18trti2_kernel_smallILi47EfPKPfEEv13rocblas_fill_17rocblas_diagonal_T1_iil.kd
    .uniform_work_group_size: 1
    .uses_dynamic_stack: false
    .vgpr_count:     142
    .vgpr_spill_count: 0
    .wavefront_size: 32
  - .args:
      - .offset:         0
        .size:           4
        .value_kind:     by_value
      - .offset:         4
        .size:           4
        .value_kind:     by_value
      - .address_space:  global
        .offset:         8
        .size:           8
        .value_kind:     global_buffer
      - .offset:         16
        .size:           4
        .value_kind:     by_value
      - .offset:         20
        .size:           4
        .value_kind:     by_value
      - .offset:         24
        .size:           8
        .value_kind:     by_value
    .group_segment_fixed_size: 384
    .kernarg_segment_align: 8
    .kernarg_segment_size: 32
    .language:       OpenCL C
    .language_version:
      - 2
      - 0
    .max_flat_workgroup_size: 64
    .name:           _ZN9rocsolver6v33100L18trti2_kernel_smallILi48EfPKPfEEv13rocblas_fill_17rocblas_diagonal_T1_iil
    .private_segment_fixed_size: 208
    .sgpr_count:     56
    .sgpr_spill_count: 0
    .symbol:         _ZN9rocsolver6v33100L18trti2_kernel_smallILi48EfPKPfEEv13rocblas_fill_17rocblas_diagonal_T1_iil.kd
    .uniform_work_group_size: 1
    .uses_dynamic_stack: false
    .vgpr_count:     146
    .vgpr_spill_count: 0
    .wavefront_size: 32
  - .args:
      - .offset:         0
        .size:           4
        .value_kind:     by_value
      - .offset:         4
        .size:           4
        .value_kind:     by_value
      - .address_space:  global
        .offset:         8
        .size:           8
        .value_kind:     global_buffer
      - .offset:         16
        .size:           4
        .value_kind:     by_value
      - .offset:         20
        .size:           4
        .value_kind:     by_value
      - .offset:         24
        .size:           8
        .value_kind:     by_value
    .group_segment_fixed_size: 404
    .kernarg_segment_align: 8
    .kernarg_segment_size: 32
    .language:       OpenCL C
    .language_version:
      - 2
      - 0
    .max_flat_workgroup_size: 64
    .name:           _ZN9rocsolver6v33100L18trti2_kernel_smallILi49EfPKPfEEv13rocblas_fill_17rocblas_diagonal_T1_iil
    .private_segment_fixed_size: 208
    .sgpr_count:     57
    .sgpr_spill_count: 0
    .symbol:         _ZN9rocsolver6v33100L18trti2_kernel_smallILi49EfPKPfEEv13rocblas_fill_17rocblas_diagonal_T1_iil.kd
    .uniform_work_group_size: 1
    .uses_dynamic_stack: false
    .vgpr_count:     148
    .vgpr_spill_count: 0
    .wavefront_size: 32
  - .args:
      - .offset:         0
        .size:           4
        .value_kind:     by_value
      - .offset:         4
        .size:           4
        .value_kind:     by_value
      - .address_space:  global
        .offset:         8
        .size:           8
        .value_kind:     global_buffer
      - .offset:         16
        .size:           4
        .value_kind:     by_value
      - .offset:         20
        .size:           4
        .value_kind:     by_value
      - .offset:         24
        .size:           8
        .value_kind:     by_value
    .group_segment_fixed_size: 408
    .kernarg_segment_align: 8
    .kernarg_segment_size: 32
    .language:       OpenCL C
    .language_version:
      - 2
      - 0
    .max_flat_workgroup_size: 64
    .name:           _ZN9rocsolver6v33100L18trti2_kernel_smallILi50EfPKPfEEv13rocblas_fill_17rocblas_diagonal_T1_iil
    .private_segment_fixed_size: 208
    .sgpr_count:     58
    .sgpr_spill_count: 0
    .symbol:         _ZN9rocsolver6v33100L18trti2_kernel_smallILi50EfPKPfEEv13rocblas_fill_17rocblas_diagonal_T1_iil.kd
    .uniform_work_group_size: 1
    .uses_dynamic_stack: false
    .vgpr_count:     152
    .vgpr_spill_count: 0
    .wavefront_size: 32
  - .args:
      - .offset:         0
        .size:           4
        .value_kind:     by_value
      - .offset:         4
        .size:           4
        .value_kind:     by_value
      - .address_space:  global
        .offset:         8
        .size:           8
        .value_kind:     global_buffer
      - .offset:         16
        .size:           4
        .value_kind:     by_value
      - .offset:         20
        .size:           4
        .value_kind:     by_value
      - .offset:         24
        .size:           8
        .value_kind:     by_value
    .group_segment_fixed_size: 412
    .kernarg_segment_align: 8
    .kernarg_segment_size: 32
    .language:       OpenCL C
    .language_version:
      - 2
      - 0
    .max_flat_workgroup_size: 64
    .name:           _ZN9rocsolver6v33100L18trti2_kernel_smallILi51EfPKPfEEv13rocblas_fill_17rocblas_diagonal_T1_iil
    .private_segment_fixed_size: 208
    .sgpr_count:     59
    .sgpr_spill_count: 0
    .symbol:         _ZN9rocsolver6v33100L18trti2_kernel_smallILi51EfPKPfEEv13rocblas_fill_17rocblas_diagonal_T1_iil.kd
    .uniform_work_group_size: 1
    .uses_dynamic_stack: false
    .vgpr_count:     154
    .vgpr_spill_count: 0
    .wavefront_size: 32
  - .args:
      - .offset:         0
        .size:           4
        .value_kind:     by_value
      - .offset:         4
        .size:           4
        .value_kind:     by_value
      - .address_space:  global
        .offset:         8
        .size:           8
        .value_kind:     global_buffer
      - .offset:         16
        .size:           4
        .value_kind:     by_value
      - .offset:         20
        .size:           4
        .value_kind:     by_value
      - .offset:         24
        .size:           8
        .value_kind:     by_value
    .group_segment_fixed_size: 416
    .kernarg_segment_align: 8
    .kernarg_segment_size: 32
    .language:       OpenCL C
    .language_version:
      - 2
      - 0
    .max_flat_workgroup_size: 64
    .name:           _ZN9rocsolver6v33100L18trti2_kernel_smallILi52EfPKPfEEv13rocblas_fill_17rocblas_diagonal_T1_iil
    .private_segment_fixed_size: 224
    .sgpr_count:     60
    .sgpr_spill_count: 0
    .symbol:         _ZN9rocsolver6v33100L18trti2_kernel_smallILi52EfPKPfEEv13rocblas_fill_17rocblas_diagonal_T1_iil.kd
    .uniform_work_group_size: 1
    .uses_dynamic_stack: false
    .vgpr_count:     158
    .vgpr_spill_count: 0
    .wavefront_size: 32
  - .args:
      - .offset:         0
        .size:           4
        .value_kind:     by_value
      - .offset:         4
        .size:           4
        .value_kind:     by_value
      - .address_space:  global
        .offset:         8
        .size:           8
        .value_kind:     global_buffer
      - .offset:         16
        .size:           4
        .value_kind:     by_value
      - .offset:         20
        .size:           4
        .value_kind:     by_value
      - .offset:         24
        .size:           8
        .value_kind:     by_value
    .group_segment_fixed_size: 436
    .kernarg_segment_align: 8
    .kernarg_segment_size: 32
    .language:       OpenCL C
    .language_version:
      - 2
      - 0
    .max_flat_workgroup_size: 64
    .name:           _ZN9rocsolver6v33100L18trti2_kernel_smallILi53EfPKPfEEv13rocblas_fill_17rocblas_diagonal_T1_iil
    .private_segment_fixed_size: 224
    .sgpr_count:     61
    .sgpr_spill_count: 0
    .symbol:         _ZN9rocsolver6v33100L18trti2_kernel_smallILi53EfPKPfEEv13rocblas_fill_17rocblas_diagonal_T1_iil.kd
    .uniform_work_group_size: 1
    .uses_dynamic_stack: false
    .vgpr_count:     160
    .vgpr_spill_count: 0
    .wavefront_size: 32
  - .args:
      - .offset:         0
        .size:           4
        .value_kind:     by_value
      - .offset:         4
        .size:           4
        .value_kind:     by_value
      - .address_space:  global
        .offset:         8
        .size:           8
        .value_kind:     global_buffer
      - .offset:         16
        .size:           4
        .value_kind:     by_value
      - .offset:         20
        .size:           4
        .value_kind:     by_value
      - .offset:         24
        .size:           8
        .value_kind:     by_value
    .group_segment_fixed_size: 440
    .kernarg_segment_align: 8
    .kernarg_segment_size: 32
    .language:       OpenCL C
    .language_version:
      - 2
      - 0
    .max_flat_workgroup_size: 64
    .name:           _ZN9rocsolver6v33100L18trti2_kernel_smallILi54EfPKPfEEv13rocblas_fill_17rocblas_diagonal_T1_iil
    .private_segment_fixed_size: 224
    .sgpr_count:     62
    .sgpr_spill_count: 0
    .symbol:         _ZN9rocsolver6v33100L18trti2_kernel_smallILi54EfPKPfEEv13rocblas_fill_17rocblas_diagonal_T1_iil.kd
    .uniform_work_group_size: 1
    .uses_dynamic_stack: false
    .vgpr_count:     164
    .vgpr_spill_count: 0
    .wavefront_size: 32
  - .args:
      - .offset:         0
        .size:           4
        .value_kind:     by_value
      - .offset:         4
        .size:           4
        .value_kind:     by_value
      - .address_space:  global
        .offset:         8
        .size:           8
        .value_kind:     global_buffer
      - .offset:         16
        .size:           4
        .value_kind:     by_value
      - .offset:         20
        .size:           4
        .value_kind:     by_value
      - .offset:         24
        .size:           8
        .value_kind:     by_value
    .group_segment_fixed_size: 444
    .kernarg_segment_align: 8
    .kernarg_segment_size: 32
    .language:       OpenCL C
    .language_version:
      - 2
      - 0
    .max_flat_workgroup_size: 64
    .name:           _ZN9rocsolver6v33100L18trti2_kernel_smallILi55EfPKPfEEv13rocblas_fill_17rocblas_diagonal_T1_iil
    .private_segment_fixed_size: 224
    .sgpr_count:     63
    .sgpr_spill_count: 0
    .symbol:         _ZN9rocsolver6v33100L18trti2_kernel_smallILi55EfPKPfEEv13rocblas_fill_17rocblas_diagonal_T1_iil.kd
    .uniform_work_group_size: 1
    .uses_dynamic_stack: false
    .vgpr_count:     166
    .vgpr_spill_count: 0
    .wavefront_size: 32
  - .args:
      - .offset:         0
        .size:           4
        .value_kind:     by_value
      - .offset:         4
        .size:           4
        .value_kind:     by_value
      - .address_space:  global
        .offset:         8
        .size:           8
        .value_kind:     global_buffer
      - .offset:         16
        .size:           4
        .value_kind:     by_value
      - .offset:         20
        .size:           4
        .value_kind:     by_value
      - .offset:         24
        .size:           8
        .value_kind:     by_value
    .group_segment_fixed_size: 448
    .kernarg_segment_align: 8
    .kernarg_segment_size: 32
    .language:       OpenCL C
    .language_version:
      - 2
      - 0
    .max_flat_workgroup_size: 64
    .name:           _ZN9rocsolver6v33100L18trti2_kernel_smallILi56EfPKPfEEv13rocblas_fill_17rocblas_diagonal_T1_iil
    .private_segment_fixed_size: 240
    .sgpr_count:     64
    .sgpr_spill_count: 0
    .symbol:         _ZN9rocsolver6v33100L18trti2_kernel_smallILi56EfPKPfEEv13rocblas_fill_17rocblas_diagonal_T1_iil.kd
    .uniform_work_group_size: 1
    .uses_dynamic_stack: false
    .vgpr_count:     170
    .vgpr_spill_count: 0
    .wavefront_size: 32
  - .args:
      - .offset:         0
        .size:           4
        .value_kind:     by_value
      - .offset:         4
        .size:           4
        .value_kind:     by_value
      - .address_space:  global
        .offset:         8
        .size:           8
        .value_kind:     global_buffer
      - .offset:         16
        .size:           4
        .value_kind:     by_value
      - .offset:         20
        .size:           4
        .value_kind:     by_value
      - .offset:         24
        .size:           8
        .value_kind:     by_value
    .group_segment_fixed_size: 468
    .kernarg_segment_align: 8
    .kernarg_segment_size: 32
    .language:       OpenCL C
    .language_version:
      - 2
      - 0
    .max_flat_workgroup_size: 64
    .name:           _ZN9rocsolver6v33100L18trti2_kernel_smallILi57EfPKPfEEv13rocblas_fill_17rocblas_diagonal_T1_iil
    .private_segment_fixed_size: 240
    .sgpr_count:     65
    .sgpr_spill_count: 0
    .symbol:         _ZN9rocsolver6v33100L18trti2_kernel_smallILi57EfPKPfEEv13rocblas_fill_17rocblas_diagonal_T1_iil.kd
    .uniform_work_group_size: 1
    .uses_dynamic_stack: false
    .vgpr_count:     172
    .vgpr_spill_count: 0
    .wavefront_size: 32
  - .args:
      - .offset:         0
        .size:           4
        .value_kind:     by_value
      - .offset:         4
        .size:           4
        .value_kind:     by_value
      - .address_space:  global
        .offset:         8
        .size:           8
        .value_kind:     global_buffer
      - .offset:         16
        .size:           4
        .value_kind:     by_value
      - .offset:         20
        .size:           4
        .value_kind:     by_value
      - .offset:         24
        .size:           8
        .value_kind:     by_value
    .group_segment_fixed_size: 472
    .kernarg_segment_align: 8
    .kernarg_segment_size: 32
    .language:       OpenCL C
    .language_version:
      - 2
      - 0
    .max_flat_workgroup_size: 64
    .name:           _ZN9rocsolver6v33100L18trti2_kernel_smallILi58EfPKPfEEv13rocblas_fill_17rocblas_diagonal_T1_iil
    .private_segment_fixed_size: 240
    .sgpr_count:     66
    .sgpr_spill_count: 0
    .symbol:         _ZN9rocsolver6v33100L18trti2_kernel_smallILi58EfPKPfEEv13rocblas_fill_17rocblas_diagonal_T1_iil.kd
    .uniform_work_group_size: 1
    .uses_dynamic_stack: false
    .vgpr_count:     176
    .vgpr_spill_count: 0
    .wavefront_size: 32
  - .args:
      - .offset:         0
        .size:           4
        .value_kind:     by_value
      - .offset:         4
        .size:           4
        .value_kind:     by_value
      - .address_space:  global
        .offset:         8
        .size:           8
        .value_kind:     global_buffer
      - .offset:         16
        .size:           4
        .value_kind:     by_value
      - .offset:         20
        .size:           4
        .value_kind:     by_value
      - .offset:         24
        .size:           8
        .value_kind:     by_value
    .group_segment_fixed_size: 476
    .kernarg_segment_align: 8
    .kernarg_segment_size: 32
    .language:       OpenCL C
    .language_version:
      - 2
      - 0
    .max_flat_workgroup_size: 64
    .name:           _ZN9rocsolver6v33100L18trti2_kernel_smallILi59EfPKPfEEv13rocblas_fill_17rocblas_diagonal_T1_iil
    .private_segment_fixed_size: 240
    .sgpr_count:     67
    .sgpr_spill_count: 0
    .symbol:         _ZN9rocsolver6v33100L18trti2_kernel_smallILi59EfPKPfEEv13rocblas_fill_17rocblas_diagonal_T1_iil.kd
    .uniform_work_group_size: 1
    .uses_dynamic_stack: false
    .vgpr_count:     178
    .vgpr_spill_count: 0
    .wavefront_size: 32
  - .args:
      - .offset:         0
        .size:           4
        .value_kind:     by_value
      - .offset:         4
        .size:           4
        .value_kind:     by_value
      - .address_space:  global
        .offset:         8
        .size:           8
        .value_kind:     global_buffer
      - .offset:         16
        .size:           4
        .value_kind:     by_value
      - .offset:         20
        .size:           4
        .value_kind:     by_value
      - .offset:         24
        .size:           8
        .value_kind:     by_value
    .group_segment_fixed_size: 480
    .kernarg_segment_align: 8
    .kernarg_segment_size: 32
    .language:       OpenCL C
    .language_version:
      - 2
      - 0
    .max_flat_workgroup_size: 64
    .name:           _ZN9rocsolver6v33100L18trti2_kernel_smallILi60EfPKPfEEv13rocblas_fill_17rocblas_diagonal_T1_iil
    .private_segment_fixed_size: 256
    .sgpr_count:     68
    .sgpr_spill_count: 0
    .symbol:         _ZN9rocsolver6v33100L18trti2_kernel_smallILi60EfPKPfEEv13rocblas_fill_17rocblas_diagonal_T1_iil.kd
    .uniform_work_group_size: 1
    .uses_dynamic_stack: false
    .vgpr_count:     182
    .vgpr_spill_count: 0
    .wavefront_size: 32
  - .args:
      - .offset:         0
        .size:           4
        .value_kind:     by_value
      - .offset:         4
        .size:           4
        .value_kind:     by_value
      - .address_space:  global
        .offset:         8
        .size:           8
        .value_kind:     global_buffer
      - .offset:         16
        .size:           4
        .value_kind:     by_value
      - .offset:         20
        .size:           4
        .value_kind:     by_value
      - .offset:         24
        .size:           8
        .value_kind:     by_value
    .group_segment_fixed_size: 500
    .kernarg_segment_align: 8
    .kernarg_segment_size: 32
    .language:       OpenCL C
    .language_version:
      - 2
      - 0
    .max_flat_workgroup_size: 64
    .name:           _ZN9rocsolver6v33100L18trti2_kernel_smallILi61EfPKPfEEv13rocblas_fill_17rocblas_diagonal_T1_iil
    .private_segment_fixed_size: 256
    .sgpr_count:     69
    .sgpr_spill_count: 0
    .symbol:         _ZN9rocsolver6v33100L18trti2_kernel_smallILi61EfPKPfEEv13rocblas_fill_17rocblas_diagonal_T1_iil.kd
    .uniform_work_group_size: 1
    .uses_dynamic_stack: false
    .vgpr_count:     184
    .vgpr_spill_count: 0
    .wavefront_size: 32
  - .args:
      - .offset:         0
        .size:           4
        .value_kind:     by_value
      - .offset:         4
        .size:           4
        .value_kind:     by_value
      - .address_space:  global
        .offset:         8
        .size:           8
        .value_kind:     global_buffer
      - .offset:         16
        .size:           4
        .value_kind:     by_value
      - .offset:         20
        .size:           4
        .value_kind:     by_value
      - .offset:         24
        .size:           8
        .value_kind:     by_value
    .group_segment_fixed_size: 504
    .kernarg_segment_align: 8
    .kernarg_segment_size: 32
    .language:       OpenCL C
    .language_version:
      - 2
      - 0
    .max_flat_workgroup_size: 64
    .name:           _ZN9rocsolver6v33100L18trti2_kernel_smallILi62EfPKPfEEv13rocblas_fill_17rocblas_diagonal_T1_iil
    .private_segment_fixed_size: 256
    .sgpr_count:     70
    .sgpr_spill_count: 0
    .symbol:         _ZN9rocsolver6v33100L18trti2_kernel_smallILi62EfPKPfEEv13rocblas_fill_17rocblas_diagonal_T1_iil.kd
    .uniform_work_group_size: 1
    .uses_dynamic_stack: false
    .vgpr_count:     188
    .vgpr_spill_count: 0
    .wavefront_size: 32
  - .args:
      - .offset:         0
        .size:           4
        .value_kind:     by_value
      - .offset:         4
        .size:           4
        .value_kind:     by_value
      - .address_space:  global
        .offset:         8
        .size:           8
        .value_kind:     global_buffer
      - .offset:         16
        .size:           4
        .value_kind:     by_value
      - .offset:         20
        .size:           4
        .value_kind:     by_value
      - .offset:         24
        .size:           8
        .value_kind:     by_value
    .group_segment_fixed_size: 508
    .kernarg_segment_align: 8
    .kernarg_segment_size: 32
    .language:       OpenCL C
    .language_version:
      - 2
      - 0
    .max_flat_workgroup_size: 64
    .name:           _ZN9rocsolver6v33100L18trti2_kernel_smallILi63EfPKPfEEv13rocblas_fill_17rocblas_diagonal_T1_iil
    .private_segment_fixed_size: 256
    .sgpr_count:     71
    .sgpr_spill_count: 0
    .symbol:         _ZN9rocsolver6v33100L18trti2_kernel_smallILi63EfPKPfEEv13rocblas_fill_17rocblas_diagonal_T1_iil.kd
    .uniform_work_group_size: 1
    .uses_dynamic_stack: false
    .vgpr_count:     190
    .vgpr_spill_count: 0
    .wavefront_size: 32
  - .args:
      - .offset:         0
        .size:           4
        .value_kind:     by_value
      - .offset:         4
        .size:           4
        .value_kind:     by_value
      - .address_space:  global
        .offset:         8
        .size:           8
        .value_kind:     global_buffer
      - .offset:         16
        .size:           4
        .value_kind:     by_value
      - .offset:         20
        .size:           4
        .value_kind:     by_value
      - .offset:         24
        .size:           8
        .value_kind:     by_value
    .group_segment_fixed_size: 512
    .kernarg_segment_align: 8
    .kernarg_segment_size: 32
    .language:       OpenCL C
    .language_version:
      - 2
      - 0
    .max_flat_workgroup_size: 64
    .name:           _ZN9rocsolver6v33100L18trti2_kernel_smallILi64EfPKPfEEv13rocblas_fill_17rocblas_diagonal_T1_iil
    .private_segment_fixed_size: 272
    .sgpr_count:     72
    .sgpr_spill_count: 0
    .symbol:         _ZN9rocsolver6v33100L18trti2_kernel_smallILi64EfPKPfEEv13rocblas_fill_17rocblas_diagonal_T1_iil.kd
    .uniform_work_group_size: 1
    .uses_dynamic_stack: false
    .vgpr_count:     194
    .vgpr_spill_count: 0
    .wavefront_size: 32
amdhsa.target:   amdgcn-amd-amdhsa--gfx1250
amdhsa.version:
  - 1
  - 2
...

	.end_amdgpu_metadata
